;; amdgpu-corpus repo=ggml-org/llama.cpp kind=compiled arch=gfx1250 opt=O3
	.amdgcn_target "amdgcn-amd-amdhsa--gfx1250"
	.amdhsa_code_object_version 6
	.section	.text._ZL19k_bin_bcast_unravelIXadL_ZL9op_repeatffEEfffJEEvPKT0_PKT1_PT2_15HIP_vector_typeIjLj3EES9_S9_jS9_S9_S9_S9_S9_S9_iiiiiiiiiiiDpT3_,"axG",@progbits,_ZL19k_bin_bcast_unravelIXadL_ZL9op_repeatffEEfffJEEvPKT0_PKT1_PT2_15HIP_vector_typeIjLj3EES9_S9_jS9_S9_S9_S9_S9_S9_iiiiiiiiiiiDpT3_,comdat
	.globl	_ZL19k_bin_bcast_unravelIXadL_ZL9op_repeatffEEfffJEEvPKT0_PKT1_PT2_15HIP_vector_typeIjLj3EES9_S9_jS9_S9_S9_S9_S9_S9_iiiiiiiiiiiDpT3_ ; -- Begin function _ZL19k_bin_bcast_unravelIXadL_ZL9op_repeatffEEfffJEEvPKT0_PKT1_PT2_15HIP_vector_typeIjLj3EES9_S9_jS9_S9_S9_S9_S9_S9_iiiiiiiiiiiDpT3_
	.p2align	8
	.type	_ZL19k_bin_bcast_unravelIXadL_ZL9op_repeatffEEfffJEEvPKT0_PKT1_PT2_15HIP_vector_typeIjLj3EES9_S9_jS9_S9_S9_S9_S9_S9_iiiiiiiiiiiDpT3_,@function
_ZL19k_bin_bcast_unravelIXadL_ZL9op_repeatffEEfffJEEvPKT0_PKT1_PT2_15HIP_vector_typeIjLj3EES9_S9_jS9_S9_S9_S9_S9_S9_iiiiiiiiiiiDpT3_: ; @_ZL19k_bin_bcast_unravelIXadL_ZL9op_repeatffEEfffJEEvPKT0_PKT1_PT2_15HIP_vector_typeIjLj3EES9_S9_jS9_S9_S9_S9_S9_S9_iiiiiiiiiiiDpT3_
; %bb.0:
	s_load_b32 s2, s[0:1], 0xc4
	s_bfe_u32 s3, ttmp6, 0x4000c
	s_load_b256 s[4:11], s[0:1], 0x38
	s_add_co_i32 s3, s3, 1
	s_and_b32 s12, ttmp6, 15
	s_mul_i32 s3, ttmp9, s3
	s_getreg_b32 s13, hwreg(HW_REG_IB_STS2, 6, 4)
	s_add_co_i32 s12, s12, s3
	s_wait_kmcnt 0x0
	s_and_b32 s2, s2, 0xffff
	s_cmp_eq_u32 s13, 0
	s_cselect_b32 s3, ttmp9, s12
	s_delay_alu instid0(SALU_CYCLE_1) | instskip(SKIP_1) | instid1(VALU_DEP_1)
	v_mad_u32 v0, s3, s2, v0
	s_load_b32 s2, s[0:1], 0x2c
	v_mul_hi_u32 v1, v0, s6
	s_delay_alu instid0(VALU_DEP_1) | instskip(NEXT) | instid1(VALU_DEP_1)
	v_add_nc_u32_e32 v1, v0, v1
	v_lshrrev_b32_e32 v3, s7, v1
	s_delay_alu instid0(VALU_DEP_1) | instskip(NEXT) | instid1(VALU_DEP_1)
	v_mul_lo_u32 v1, v3, s8
	v_sub_nc_u32_e32 v1, v0, v1
	s_delay_alu instid0(VALU_DEP_1) | instskip(NEXT) | instid1(VALU_DEP_1)
	v_mul_hi_u32 v0, v1, s9
	v_add_nc_u32_e32 v0, v1, v0
	s_delay_alu instid0(VALU_DEP_1) | instskip(SKIP_1) | instid1(VALU_DEP_1)
	v_lshrrev_b32_e32 v0, s10, v0
	s_load_b96 s[8:10], s[0:1], 0x18
	v_mul_lo_u32 v2, v0, s11
	v_cmp_gt_u32_e64 s3, s4, v0
	v_cmp_gt_u32_e64 s4, s5, v3
	s_delay_alu instid0(VALU_DEP_3) | instskip(SKIP_1) | instid1(VALU_DEP_1)
	v_sub_nc_u32_e32 v1, v1, v2
	s_wait_kmcnt 0x0
	v_mul_hi_u32 v2, v1, s8
	s_delay_alu instid0(VALU_DEP_1) | instskip(NEXT) | instid1(VALU_DEP_1)
	v_add_nc_u32_e32 v2, v1, v2
	v_lshrrev_b32_e32 v4, s9, v2
	s_delay_alu instid0(VALU_DEP_1) | instskip(NEXT) | instid1(VALU_DEP_1)
	v_mul_lo_u32 v2, v4, s10
	v_sub_nc_u32_e32 v2, v1, v2
	v_cmp_gt_u32_e64 s2, s2, v4
	s_delay_alu instid0(VALU_DEP_2) | instskip(SKIP_1) | instid1(SALU_CYCLE_1)
	v_cmp_gt_u32_e32 vcc_lo, s10, v2
	s_and_b32 s2, vcc_lo, s2
	s_and_b32 s2, s2, s3
	s_mov_b32 s3, 0
	s_and_b32 s2, s4, s2
	s_delay_alu instid0(SALU_CYCLE_1)
	s_and_saveexec_b32 s4, s2
	s_cbranch_execz .LBB0_2
; %bb.1:
	s_clause 0x1
	s_load_b256 s[4:11], s[0:1], 0x58
	s_load_b128 s[12:15], s[0:1], 0x78
	v_mov_b32_e32 v1, 0
	s_load_b128 s[16:19], s[0:1], 0xa4
	s_wait_kmcnt 0x0
	s_mov_b32 s2, s10
	s_delay_alu instid0(VALU_DEP_1) | instid1(SALU_CYCLE_1)
	v_mul_u64_e32 v[6:7], s[2:3], v[0:1]
	v_mov_b32_e32 v5, v1
	s_mov_b32 s2, s7
	v_mul_hi_u32 v6, s13, v3
	s_delay_alu instid0(VALU_DEP_2) | instskip(NEXT) | instid1(VALU_DEP_2)
	v_mul_u64_e32 v[8:9], s[2:3], v[4:5]
	v_dual_add_nc_u32 v5, v3, v6 :: v_dual_add_nc_u32 v6, v0, v7
	s_delay_alu instid0(VALU_DEP_1) | instskip(SKIP_1) | instid1(VALU_DEP_3)
	v_lshrrev_b32_e32 v5, s14, v5
	v_mul_hi_u32 v7, s4, v2
	v_lshrrev_b32_e32 v6, s11, v6
	s_delay_alu instid0(VALU_DEP_3) | instskip(SKIP_1) | instid1(VALU_DEP_3)
	v_mul_lo_u32 v5, v5, s15
	v_add_nc_u32_e32 v8, v4, v9
	v_mul_lo_u32 v6, v6, s12
	s_delay_alu instid0(VALU_DEP_2) | instskip(NEXT) | instid1(VALU_DEP_1)
	v_dual_add_nc_u32 v7, v2, v7 :: v_dual_lshrrev_b32 v8, s8, v8
	v_dual_sub_nc_u32 v5, v3, v5 :: v_dual_lshrrev_b32 v7, s5, v7
	s_delay_alu instid0(VALU_DEP_2) | instskip(SKIP_1) | instid1(VALU_DEP_4)
	v_mul_lo_u32 v8, v8, s9
	s_load_b96 s[8:10], s[0:1], 0x88
	v_sub_nc_u32_e32 v6, v0, v6
	s_delay_alu instid0(VALU_DEP_3) | instskip(SKIP_2) | instid1(VALU_DEP_2)
	v_mul_lo_u32 v5, v5, s19
	v_mul_lo_u32 v7, v7, s6
	s_load_b128 s[4:7], s[0:1], 0x8
	v_mad_u32 v5, v6, s18, v5
	s_delay_alu instid0(VALU_DEP_2) | instskip(NEXT) | instid1(VALU_DEP_1)
	v_dual_sub_nc_u32 v6, v4, v8 :: v_dual_sub_nc_u32 v7, v2, v7
	v_mul_lo_u32 v8, v7, s16
	s_wait_kmcnt 0x0
	v_mul_lo_u32 v3, v3, s10
	s_delay_alu instid0(VALU_DEP_3) | instskip(NEXT) | instid1(VALU_DEP_3)
	v_mad_u32 v6, v6, s17, v5
	v_ashrrev_i32_e32 v9, 31, v8
	s_delay_alu instid0(VALU_DEP_3) | instskip(NEXT) | instid1(VALU_DEP_3)
	v_mad_u32 v0, v0, s9, v3
	v_dual_mov_b32 v3, v1 :: v_dual_ashrrev_i32 v7, 31, v6
	s_delay_alu instid0(VALU_DEP_1) | instskip(NEXT) | instid1(VALU_DEP_3)
	v_lshl_add_u64 v[6:7], v[6:7], 2, s[4:5]
	v_mad_u32 v0, v4, s8, v0
	s_delay_alu instid0(VALU_DEP_2) | instskip(SKIP_2) | instid1(VALU_DEP_1)
	v_lshl_add_u64 v[6:7], v[8:9], 2, v[6:7]
	global_load_b32 v6, v[6:7], off
	v_lshl_add_u64 v[4:5], v[0:1], 2, s[6:7]
	v_lshl_add_u64 v[0:1], v[2:3], 2, v[4:5]
	s_wait_loadcnt 0x0
	global_store_b32 v[0:1], v6, off
.LBB0_2:
	s_endpgm
	.section	.rodata,"a",@progbits
	.p2align	6, 0x0
	.amdhsa_kernel _ZL19k_bin_bcast_unravelIXadL_ZL9op_repeatffEEfffJEEvPKT0_PKT1_PT2_15HIP_vector_typeIjLj3EES9_S9_jS9_S9_S9_S9_S9_S9_iiiiiiiiiiiDpT3_
		.amdhsa_group_segment_fixed_size 0
		.amdhsa_private_segment_fixed_size 0
		.amdhsa_kernarg_size 440
		.amdhsa_user_sgpr_count 2
		.amdhsa_user_sgpr_dispatch_ptr 0
		.amdhsa_user_sgpr_queue_ptr 0
		.amdhsa_user_sgpr_kernarg_segment_ptr 1
		.amdhsa_user_sgpr_dispatch_id 0
		.amdhsa_user_sgpr_kernarg_preload_length 0
		.amdhsa_user_sgpr_kernarg_preload_offset 0
		.amdhsa_user_sgpr_private_segment_size 0
		.amdhsa_wavefront_size32 1
		.amdhsa_uses_dynamic_stack 0
		.amdhsa_enable_private_segment 0
		.amdhsa_system_sgpr_workgroup_id_x 1
		.amdhsa_system_sgpr_workgroup_id_y 0
		.amdhsa_system_sgpr_workgroup_id_z 0
		.amdhsa_system_sgpr_workgroup_info 0
		.amdhsa_system_vgpr_workitem_id 0
		.amdhsa_next_free_vgpr 10
		.amdhsa_next_free_sgpr 20
		.amdhsa_named_barrier_count 0
		.amdhsa_reserve_vcc 1
		.amdhsa_float_round_mode_32 0
		.amdhsa_float_round_mode_16_64 0
		.amdhsa_float_denorm_mode_32 3
		.amdhsa_float_denorm_mode_16_64 3
		.amdhsa_fp16_overflow 0
		.amdhsa_memory_ordered 1
		.amdhsa_forward_progress 1
		.amdhsa_inst_pref_size 5
		.amdhsa_round_robin_scheduling 0
		.amdhsa_exception_fp_ieee_invalid_op 0
		.amdhsa_exception_fp_denorm_src 0
		.amdhsa_exception_fp_ieee_div_zero 0
		.amdhsa_exception_fp_ieee_overflow 0
		.amdhsa_exception_fp_ieee_underflow 0
		.amdhsa_exception_fp_ieee_inexact 0
		.amdhsa_exception_int_div_zero 0
	.end_amdhsa_kernel
	.section	.text._ZL19k_bin_bcast_unravelIXadL_ZL9op_repeatffEEfffJEEvPKT0_PKT1_PT2_15HIP_vector_typeIjLj3EES9_S9_jS9_S9_S9_S9_S9_S9_iiiiiiiiiiiDpT3_,"axG",@progbits,_ZL19k_bin_bcast_unravelIXadL_ZL9op_repeatffEEfffJEEvPKT0_PKT1_PT2_15HIP_vector_typeIjLj3EES9_S9_jS9_S9_S9_S9_S9_S9_iiiiiiiiiiiDpT3_,comdat
.Lfunc_end0:
	.size	_ZL19k_bin_bcast_unravelIXadL_ZL9op_repeatffEEfffJEEvPKT0_PKT1_PT2_15HIP_vector_typeIjLj3EES9_S9_jS9_S9_S9_S9_S9_S9_iiiiiiiiiiiDpT3_, .Lfunc_end0-_ZL19k_bin_bcast_unravelIXadL_ZL9op_repeatffEEfffJEEvPKT0_PKT1_PT2_15HIP_vector_typeIjLj3EES9_S9_jS9_S9_S9_S9_S9_S9_iiiiiiiiiiiDpT3_
                                        ; -- End function
	.set _ZL19k_bin_bcast_unravelIXadL_ZL9op_repeatffEEfffJEEvPKT0_PKT1_PT2_15HIP_vector_typeIjLj3EES9_S9_jS9_S9_S9_S9_S9_S9_iiiiiiiiiiiDpT3_.num_vgpr, 10
	.set _ZL19k_bin_bcast_unravelIXadL_ZL9op_repeatffEEfffJEEvPKT0_PKT1_PT2_15HIP_vector_typeIjLj3EES9_S9_jS9_S9_S9_S9_S9_S9_iiiiiiiiiiiDpT3_.num_agpr, 0
	.set _ZL19k_bin_bcast_unravelIXadL_ZL9op_repeatffEEfffJEEvPKT0_PKT1_PT2_15HIP_vector_typeIjLj3EES9_S9_jS9_S9_S9_S9_S9_S9_iiiiiiiiiiiDpT3_.numbered_sgpr, 20
	.set _ZL19k_bin_bcast_unravelIXadL_ZL9op_repeatffEEfffJEEvPKT0_PKT1_PT2_15HIP_vector_typeIjLj3EES9_S9_jS9_S9_S9_S9_S9_S9_iiiiiiiiiiiDpT3_.num_named_barrier, 0
	.set _ZL19k_bin_bcast_unravelIXadL_ZL9op_repeatffEEfffJEEvPKT0_PKT1_PT2_15HIP_vector_typeIjLj3EES9_S9_jS9_S9_S9_S9_S9_S9_iiiiiiiiiiiDpT3_.private_seg_size, 0
	.set _ZL19k_bin_bcast_unravelIXadL_ZL9op_repeatffEEfffJEEvPKT0_PKT1_PT2_15HIP_vector_typeIjLj3EES9_S9_jS9_S9_S9_S9_S9_S9_iiiiiiiiiiiDpT3_.uses_vcc, 1
	.set _ZL19k_bin_bcast_unravelIXadL_ZL9op_repeatffEEfffJEEvPKT0_PKT1_PT2_15HIP_vector_typeIjLj3EES9_S9_jS9_S9_S9_S9_S9_S9_iiiiiiiiiiiDpT3_.uses_flat_scratch, 0
	.set _ZL19k_bin_bcast_unravelIXadL_ZL9op_repeatffEEfffJEEvPKT0_PKT1_PT2_15HIP_vector_typeIjLj3EES9_S9_jS9_S9_S9_S9_S9_S9_iiiiiiiiiiiDpT3_.has_dyn_sized_stack, 0
	.set _ZL19k_bin_bcast_unravelIXadL_ZL9op_repeatffEEfffJEEvPKT0_PKT1_PT2_15HIP_vector_typeIjLj3EES9_S9_jS9_S9_S9_S9_S9_S9_iiiiiiiiiiiDpT3_.has_recursion, 0
	.set _ZL19k_bin_bcast_unravelIXadL_ZL9op_repeatffEEfffJEEvPKT0_PKT1_PT2_15HIP_vector_typeIjLj3EES9_S9_jS9_S9_S9_S9_S9_S9_iiiiiiiiiiiDpT3_.has_indirect_call, 0
	.section	.AMDGPU.csdata,"",@progbits
; Kernel info:
; codeLenInByte = 640
; TotalNumSgprs: 22
; NumVgprs: 10
; ScratchSize: 0
; MemoryBound: 0
; FloatMode: 240
; IeeeMode: 1
; LDSByteSize: 0 bytes/workgroup (compile time only)
; SGPRBlocks: 0
; VGPRBlocks: 0
; NumSGPRsForWavesPerEU: 22
; NumVGPRsForWavesPerEU: 10
; NamedBarCnt: 0
; Occupancy: 16
; WaveLimiterHint : 1
; COMPUTE_PGM_RSRC2:SCRATCH_EN: 0
; COMPUTE_PGM_RSRC2:USER_SGPR: 2
; COMPUTE_PGM_RSRC2:TRAP_HANDLER: 0
; COMPUTE_PGM_RSRC2:TGID_X_EN: 1
; COMPUTE_PGM_RSRC2:TGID_Y_EN: 0
; COMPUTE_PGM_RSRC2:TGID_Z_EN: 0
; COMPUTE_PGM_RSRC2:TIDIG_COMP_CNT: 0
	.section	.text._ZL11k_bin_bcastIXadL_ZL9op_repeatffEEfffJEEvPKT0_PKT1_PT2_iii15HIP_vector_typeIjLj3EES9_S9_S9_S9_iiiiiiiiiiiDpT3_,"axG",@progbits,_ZL11k_bin_bcastIXadL_ZL9op_repeatffEEfffJEEvPKT0_PKT1_PT2_iii15HIP_vector_typeIjLj3EES9_S9_S9_S9_iiiiiiiiiiiDpT3_,comdat
	.globl	_ZL11k_bin_bcastIXadL_ZL9op_repeatffEEfffJEEvPKT0_PKT1_PT2_iii15HIP_vector_typeIjLj3EES9_S9_S9_S9_iiiiiiiiiiiDpT3_ ; -- Begin function _ZL11k_bin_bcastIXadL_ZL9op_repeatffEEfffJEEvPKT0_PKT1_PT2_iii15HIP_vector_typeIjLj3EES9_S9_S9_S9_iiiiiiiiiiiDpT3_
	.p2align	8
	.type	_ZL11k_bin_bcastIXadL_ZL9op_repeatffEEfffJEEvPKT0_PKT1_PT2_iii15HIP_vector_typeIjLj3EES9_S9_S9_S9_iiiiiiiiiiiDpT3_,@function
_ZL11k_bin_bcastIXadL_ZL9op_repeatffEEfffJEEvPKT0_PKT1_PT2_iii15HIP_vector_typeIjLj3EES9_S9_S9_S9_iiiiiiiiiiiDpT3_: ; @_ZL11k_bin_bcastIXadL_ZL9op_repeatffEEfffJEEvPKT0_PKT1_PT2_iii15HIP_vector_typeIjLj3EES9_S9_S9_S9_iiiiiiiiiiiDpT3_
; %bb.0:
	s_load_b64 s[2:3], s[0:1], 0x9c
	s_bfe_u32 s5, ttmp6, 0x40014
	s_bfe_u32 s16, ttmp6, 0x40010
	s_bfe_u32 s19, ttmp6, 0x4000c
	s_lshr_b32 s4, ttmp7, 16
	s_and_b32 s7, ttmp7, 0xffff
	s_add_co_i32 s5, s5, 1
	s_add_co_i32 s16, s16, 1
	s_load_b256 s[8:15], s[0:1], 0x18
	s_add_co_i32 s19, s19, 1
	s_bfe_u32 s6, ttmp6, 0x40008
	s_bfe_u32 s17, ttmp6, 0x40004
	s_mul_i32 s5, s4, s5
	s_mul_i32 s16, s7, s16
	s_and_b32 s18, ttmp6, 15
	s_mul_i32 s19, ttmp9, s19
	s_add_co_i32 s6, s6, s5
	s_add_co_i32 s17, s17, s16
	;; [unrolled: 1-line block ×3, first 2 shown]
	v_bfe_u32 v1, v0, 20, 10
	s_wait_kmcnt 0x0
	s_lshr_b32 s5, s2, 16
	s_and_b32 s16, s2, 0xffff
	s_getreg_b32 s2, hwreg(HW_REG_IB_STS2, 6, 4)
	s_and_b32 s3, s3, 0xffff
	s_cmp_eq_u32 s2, 0
	v_bfe_u32 v4, v0, 10, 10
	s_cselect_b32 s2, s4, s6
	s_delay_alu instid0(SALU_CYCLE_1) | instskip(SKIP_2) | instid1(VALU_DEP_1)
	v_mad_u32 v2, s2, s3, v1
	s_cselect_b32 s2, ttmp9, s18
	s_cselect_b32 s3, s7, s17
	v_mul_hi_u32 v1, v2, s11
	s_delay_alu instid0(VALU_DEP_1) | instskip(NEXT) | instid1(VALU_DEP_1)
	v_add_nc_u32_e32 v1, v2, v1
	v_lshrrev_b32_e32 v3, s12, v1
	v_and_b32_e32 v1, 0x3ff, v0
	s_delay_alu instid0(VALU_DEP_2) | instskip(NEXT) | instid1(VALU_DEP_2)
	v_mul_lo_u32 v5, v3, s13
	v_mad_u32 v0, s2, s16, v1
	v_mad_u32 v1, s3, s5, v4
	v_cmp_gt_u32_e64 s3, s10, v3
	s_delay_alu instid0(VALU_DEP_4) | instskip(NEXT) | instid1(VALU_DEP_4)
	v_sub_nc_u32_e32 v2, v2, v5
	v_cmp_gt_u32_e32 vcc_lo, s8, v0
	s_delay_alu instid0(VALU_DEP_4) | instskip(NEXT) | instid1(VALU_DEP_3)
	v_cmp_gt_u32_e64 s2, s9, v1
	v_cmp_gt_u32_e64 s4, s13, v2
	s_and_b32 s2, vcc_lo, s2
	s_delay_alu instid0(SALU_CYCLE_1) | instskip(NEXT) | instid1(SALU_CYCLE_1)
	s_and_b32 s2, s2, s3
	s_and_b32 s2, s2, s4
	s_delay_alu instid0(SALU_CYCLE_1)
	s_and_saveexec_b32 s3, s2
	s_cbranch_execz .LBB1_4
; %bb.1:
	v_cmp_gt_i32_e32 vcc_lo, s8, v0
	s_and_b32 exec_lo, exec_lo, vcc_lo
	s_cbranch_execz .LBB1_4
; %bb.2:
	s_clause 0x3
	s_load_b256 s[20:27], s[0:1], 0x3c
	s_load_b32 s2, s[0:1], 0x5c
	s_load_b96 s[28:30], s[0:1], 0x60
	s_load_b128 s[4:7], s[0:1], 0x7c
	s_wait_kmcnt 0x0
	v_mul_hi_u32 v4, s26, v2
	v_mul_hi_u32 v6, s20, v1
	;; [unrolled: 1-line block ×3, first 2 shown]
	v_mul_lo_u32 v7, v1, s28
	s_delay_alu instid0(VALU_DEP_3) | instskip(NEXT) | instid1(VALU_DEP_1)
	v_dual_add_nc_u32 v4, v2, v4 :: v_dual_add_nc_u32 v6, v1, v6
	v_dual_add_nc_u32 v5, v3, v5 :: v_dual_lshrrev_b32 v4, s27, v4
	s_delay_alu instid0(VALU_DEP_1) | instskip(NEXT) | instid1(VALU_DEP_1)
	v_dual_lshrrev_b32 v6, s21, v6 :: v_dual_lshrrev_b32 v5, s24, v5
	v_mul_lo_u32 v6, v6, s22
	s_load_b128 s[20:23], s[0:1], 0x8
	s_delay_alu instid0(VALU_DEP_3) | instskip(NEXT) | instid1(VALU_DEP_3)
	v_mul_lo_u32 v4, v4, s2
	v_mul_lo_u32 v5, v5, s25
	s_add_nc_u64 s[2:3], s[0:1], 0x90
	s_delay_alu instid0(VALU_DEP_1) | instskip(SKIP_1) | instid1(VALU_DEP_2)
	v_dual_sub_nc_u32 v4, v2, v4 :: v_dual_sub_nc_u32 v5, v3, v5
	v_mad_u32 v3, v3, s29, v7
	v_mul_lo_u32 v4, v4, s7
	s_delay_alu instid0(VALU_DEP_2) | instskip(NEXT) | instid1(VALU_DEP_2)
	v_mad_u32 v2, v2, s30, v3
	v_mad_u32 v4, v5, s6, v4
	s_load_b32 s6, s[2:3], 0x0
	s_load_b32 s7, s[0:1], 0x38
	v_dual_sub_nc_u32 v5, v1, v6 :: v_dual_mov_b32 v1, 0
	s_wait_xcnt 0x0
	s_mov_b32 s1, 0
	s_mov_b32 s0, s14
	s_delay_alu instid0(VALU_DEP_1) | instskip(NEXT) | instid1(VALU_DEP_3)
	v_mov_b32_e32 v3, v1
	v_mad_u32 v4, v5, s5, v4
	v_mov_b32_e32 v5, v1
	s_wait_kmcnt 0x0
	s_delay_alu instid0(VALU_DEP_3) | instskip(SKIP_3) | instid1(VALU_DEP_3)
	v_lshl_add_u64 v[2:3], v[2:3], 2, s[22:23]
	s_mov_b32 s5, s1
	s_mul_i32 s2, s6, s16
	s_sub_co_i32 s3, 0, s7
	v_lshl_add_u64 v[4:5], v[4:5], 2, s[20:21]
.LBB1_3:                                ; =>This Inner Loop Header: Depth=1
	v_mul_u64_e32 v[6:7], s[0:1], v[0:1]
	s_delay_alu instid0(VALU_DEP_1) | instskip(NEXT) | instid1(VALU_DEP_1)
	v_dual_mov_b32 v7, v1 :: v_dual_add_nc_u32 v6, v0, v7
	v_lshrrev_b32_e32 v6, s15, v6
	s_delay_alu instid0(VALU_DEP_1) | instskip(NEXT) | instid1(VALU_DEP_1)
	v_mad_u32 v6, s3, v6, v0
	v_mul_lo_u32 v6, v6, s4
	s_delay_alu instid0(VALU_DEP_1) | instskip(SKIP_4) | instid1(VALU_DEP_2)
	v_lshl_add_u64 v[6:7], v[6:7], 2, v[4:5]
	global_load_b32 v8, v[6:7], off
	s_wait_xcnt 0x0
	v_dual_mov_b32 v6, v0 :: v_dual_ashrrev_i32 v7, 31, v0
	v_add_nc_u32_e32 v0, s2, v0
	v_lshl_add_u64 v[6:7], v[6:7], 2, v[2:3]
	s_delay_alu instid0(VALU_DEP_2)
	v_cmp_le_i32_e32 vcc_lo, s8, v0
	s_or_b32 s5, vcc_lo, s5
	s_wait_loadcnt 0x0
	global_store_b32 v[6:7], v8, off
	s_wait_xcnt 0x0
	s_and_not1_b32 exec_lo, exec_lo, s5
	s_cbranch_execnz .LBB1_3
.LBB1_4:
	s_endpgm
	.section	.rodata,"a",@progbits
	.p2align	6, 0x0
	.amdhsa_kernel _ZL11k_bin_bcastIXadL_ZL9op_repeatffEEfffJEEvPKT0_PKT1_PT2_iii15HIP_vector_typeIjLj3EES9_S9_S9_S9_iiiiiiiiiiiDpT3_
		.amdhsa_group_segment_fixed_size 0
		.amdhsa_private_segment_fixed_size 0
		.amdhsa_kernarg_size 400
		.amdhsa_user_sgpr_count 2
		.amdhsa_user_sgpr_dispatch_ptr 0
		.amdhsa_user_sgpr_queue_ptr 0
		.amdhsa_user_sgpr_kernarg_segment_ptr 1
		.amdhsa_user_sgpr_dispatch_id 0
		.amdhsa_user_sgpr_kernarg_preload_length 0
		.amdhsa_user_sgpr_kernarg_preload_offset 0
		.amdhsa_user_sgpr_private_segment_size 0
		.amdhsa_wavefront_size32 1
		.amdhsa_uses_dynamic_stack 0
		.amdhsa_enable_private_segment 0
		.amdhsa_system_sgpr_workgroup_id_x 1
		.amdhsa_system_sgpr_workgroup_id_y 1
		.amdhsa_system_sgpr_workgroup_id_z 1
		.amdhsa_system_sgpr_workgroup_info 0
		.amdhsa_system_vgpr_workitem_id 2
		.amdhsa_next_free_vgpr 9
		.amdhsa_next_free_sgpr 31
		.amdhsa_named_barrier_count 0
		.amdhsa_reserve_vcc 1
		.amdhsa_float_round_mode_32 0
		.amdhsa_float_round_mode_16_64 0
		.amdhsa_float_denorm_mode_32 3
		.amdhsa_float_denorm_mode_16_64 3
		.amdhsa_fp16_overflow 0
		.amdhsa_memory_ordered 1
		.amdhsa_forward_progress 1
		.amdhsa_inst_pref_size 6
		.amdhsa_round_robin_scheduling 0
		.amdhsa_exception_fp_ieee_invalid_op 0
		.amdhsa_exception_fp_denorm_src 0
		.amdhsa_exception_fp_ieee_div_zero 0
		.amdhsa_exception_fp_ieee_overflow 0
		.amdhsa_exception_fp_ieee_underflow 0
		.amdhsa_exception_fp_ieee_inexact 0
		.amdhsa_exception_int_div_zero 0
	.end_amdhsa_kernel
	.section	.text._ZL11k_bin_bcastIXadL_ZL9op_repeatffEEfffJEEvPKT0_PKT1_PT2_iii15HIP_vector_typeIjLj3EES9_S9_S9_S9_iiiiiiiiiiiDpT3_,"axG",@progbits,_ZL11k_bin_bcastIXadL_ZL9op_repeatffEEfffJEEvPKT0_PKT1_PT2_iii15HIP_vector_typeIjLj3EES9_S9_S9_S9_iiiiiiiiiiiDpT3_,comdat
.Lfunc_end1:
	.size	_ZL11k_bin_bcastIXadL_ZL9op_repeatffEEfffJEEvPKT0_PKT1_PT2_iii15HIP_vector_typeIjLj3EES9_S9_S9_S9_iiiiiiiiiiiDpT3_, .Lfunc_end1-_ZL11k_bin_bcastIXadL_ZL9op_repeatffEEfffJEEvPKT0_PKT1_PT2_iii15HIP_vector_typeIjLj3EES9_S9_S9_S9_iiiiiiiiiiiDpT3_
                                        ; -- End function
	.set _ZL11k_bin_bcastIXadL_ZL9op_repeatffEEfffJEEvPKT0_PKT1_PT2_iii15HIP_vector_typeIjLj3EES9_S9_S9_S9_iiiiiiiiiiiDpT3_.num_vgpr, 9
	.set _ZL11k_bin_bcastIXadL_ZL9op_repeatffEEfffJEEvPKT0_PKT1_PT2_iii15HIP_vector_typeIjLj3EES9_S9_S9_S9_iiiiiiiiiiiDpT3_.num_agpr, 0
	.set _ZL11k_bin_bcastIXadL_ZL9op_repeatffEEfffJEEvPKT0_PKT1_PT2_iii15HIP_vector_typeIjLj3EES9_S9_S9_S9_iiiiiiiiiiiDpT3_.numbered_sgpr, 31
	.set _ZL11k_bin_bcastIXadL_ZL9op_repeatffEEfffJEEvPKT0_PKT1_PT2_iii15HIP_vector_typeIjLj3EES9_S9_S9_S9_iiiiiiiiiiiDpT3_.num_named_barrier, 0
	.set _ZL11k_bin_bcastIXadL_ZL9op_repeatffEEfffJEEvPKT0_PKT1_PT2_iii15HIP_vector_typeIjLj3EES9_S9_S9_S9_iiiiiiiiiiiDpT3_.private_seg_size, 0
	.set _ZL11k_bin_bcastIXadL_ZL9op_repeatffEEfffJEEvPKT0_PKT1_PT2_iii15HIP_vector_typeIjLj3EES9_S9_S9_S9_iiiiiiiiiiiDpT3_.uses_vcc, 1
	.set _ZL11k_bin_bcastIXadL_ZL9op_repeatffEEfffJEEvPKT0_PKT1_PT2_iii15HIP_vector_typeIjLj3EES9_S9_S9_S9_iiiiiiiiiiiDpT3_.uses_flat_scratch, 0
	.set _ZL11k_bin_bcastIXadL_ZL9op_repeatffEEfffJEEvPKT0_PKT1_PT2_iii15HIP_vector_typeIjLj3EES9_S9_S9_S9_iiiiiiiiiiiDpT3_.has_dyn_sized_stack, 0
	.set _ZL11k_bin_bcastIXadL_ZL9op_repeatffEEfffJEEvPKT0_PKT1_PT2_iii15HIP_vector_typeIjLj3EES9_S9_S9_S9_iiiiiiiiiiiDpT3_.has_recursion, 0
	.set _ZL11k_bin_bcastIXadL_ZL9op_repeatffEEfffJEEvPKT0_PKT1_PT2_iii15HIP_vector_typeIjLj3EES9_S9_S9_S9_iiiiiiiiiiiDpT3_.has_indirect_call, 0
	.section	.AMDGPU.csdata,"",@progbits
; Kernel info:
; codeLenInByte = 756
; TotalNumSgprs: 33
; NumVgprs: 9
; ScratchSize: 0
; MemoryBound: 0
; FloatMode: 240
; IeeeMode: 1
; LDSByteSize: 0 bytes/workgroup (compile time only)
; SGPRBlocks: 0
; VGPRBlocks: 0
; NumSGPRsForWavesPerEU: 33
; NumVGPRsForWavesPerEU: 9
; NamedBarCnt: 0
; Occupancy: 16
; WaveLimiterHint : 1
; COMPUTE_PGM_RSRC2:SCRATCH_EN: 0
; COMPUTE_PGM_RSRC2:USER_SGPR: 2
; COMPUTE_PGM_RSRC2:TRAP_HANDLER: 0
; COMPUTE_PGM_RSRC2:TGID_X_EN: 1
; COMPUTE_PGM_RSRC2:TGID_Y_EN: 1
; COMPUTE_PGM_RSRC2:TGID_Z_EN: 1
; COMPUTE_PGM_RSRC2:TIDIG_COMP_CNT: 2
	.section	.text._ZL19k_bin_bcast_unravelIXadL_ZL9op_repeatffEE6__halfS0_S0_JEEvPKT0_PKT1_PT2_15HIP_vector_typeIjLj3EESA_SA_jSA_SA_SA_SA_SA_SA_iiiiiiiiiiiDpT3_,"axG",@progbits,_ZL19k_bin_bcast_unravelIXadL_ZL9op_repeatffEE6__halfS0_S0_JEEvPKT0_PKT1_PT2_15HIP_vector_typeIjLj3EESA_SA_jSA_SA_SA_SA_SA_SA_iiiiiiiiiiiDpT3_,comdat
	.globl	_ZL19k_bin_bcast_unravelIXadL_ZL9op_repeatffEE6__halfS0_S0_JEEvPKT0_PKT1_PT2_15HIP_vector_typeIjLj3EESA_SA_jSA_SA_SA_SA_SA_SA_iiiiiiiiiiiDpT3_ ; -- Begin function _ZL19k_bin_bcast_unravelIXadL_ZL9op_repeatffEE6__halfS0_S0_JEEvPKT0_PKT1_PT2_15HIP_vector_typeIjLj3EESA_SA_jSA_SA_SA_SA_SA_SA_iiiiiiiiiiiDpT3_
	.p2align	8
	.type	_ZL19k_bin_bcast_unravelIXadL_ZL9op_repeatffEE6__halfS0_S0_JEEvPKT0_PKT1_PT2_15HIP_vector_typeIjLj3EESA_SA_jSA_SA_SA_SA_SA_SA_iiiiiiiiiiiDpT3_,@function
_ZL19k_bin_bcast_unravelIXadL_ZL9op_repeatffEE6__halfS0_S0_JEEvPKT0_PKT1_PT2_15HIP_vector_typeIjLj3EESA_SA_jSA_SA_SA_SA_SA_SA_iiiiiiiiiiiDpT3_: ; @_ZL19k_bin_bcast_unravelIXadL_ZL9op_repeatffEE6__halfS0_S0_JEEvPKT0_PKT1_PT2_15HIP_vector_typeIjLj3EESA_SA_jSA_SA_SA_SA_SA_SA_iiiiiiiiiiiDpT3_
; %bb.0:
	s_load_b32 s2, s[0:1], 0xc4
	s_bfe_u32 s3, ttmp6, 0x4000c
	s_load_b256 s[4:11], s[0:1], 0x38
	s_add_co_i32 s3, s3, 1
	s_and_b32 s12, ttmp6, 15
	s_mul_i32 s3, ttmp9, s3
	s_getreg_b32 s13, hwreg(HW_REG_IB_STS2, 6, 4)
	s_add_co_i32 s12, s12, s3
	s_wait_kmcnt 0x0
	s_and_b32 s2, s2, 0xffff
	s_cmp_eq_u32 s13, 0
	s_cselect_b32 s3, ttmp9, s12
	s_delay_alu instid0(SALU_CYCLE_1) | instskip(SKIP_1) | instid1(VALU_DEP_1)
	v_mad_u32 v0, s3, s2, v0
	s_load_b32 s2, s[0:1], 0x2c
	v_mul_hi_u32 v1, v0, s6
	s_delay_alu instid0(VALU_DEP_1) | instskip(NEXT) | instid1(VALU_DEP_1)
	v_add_nc_u32_e32 v1, v0, v1
	v_lshrrev_b32_e32 v3, s7, v1
	s_delay_alu instid0(VALU_DEP_1) | instskip(NEXT) | instid1(VALU_DEP_1)
	v_mul_lo_u32 v1, v3, s8
	v_sub_nc_u32_e32 v1, v0, v1
	s_delay_alu instid0(VALU_DEP_1) | instskip(NEXT) | instid1(VALU_DEP_1)
	v_mul_hi_u32 v0, v1, s9
	v_add_nc_u32_e32 v0, v1, v0
	s_delay_alu instid0(VALU_DEP_1) | instskip(SKIP_1) | instid1(VALU_DEP_1)
	v_lshrrev_b32_e32 v0, s10, v0
	s_load_b96 s[8:10], s[0:1], 0x18
	v_mul_lo_u32 v2, v0, s11
	v_cmp_gt_u32_e64 s3, s4, v0
	v_cmp_gt_u32_e64 s4, s5, v3
	s_delay_alu instid0(VALU_DEP_3) | instskip(SKIP_1) | instid1(VALU_DEP_1)
	v_sub_nc_u32_e32 v1, v1, v2
	s_wait_kmcnt 0x0
	v_mul_hi_u32 v2, v1, s8
	s_delay_alu instid0(VALU_DEP_1) | instskip(NEXT) | instid1(VALU_DEP_1)
	v_add_nc_u32_e32 v2, v1, v2
	v_lshrrev_b32_e32 v4, s9, v2
	s_delay_alu instid0(VALU_DEP_1) | instskip(NEXT) | instid1(VALU_DEP_1)
	v_mul_lo_u32 v2, v4, s10
	v_sub_nc_u32_e32 v2, v1, v2
	v_cmp_gt_u32_e64 s2, s2, v4
	s_delay_alu instid0(VALU_DEP_2) | instskip(SKIP_1) | instid1(SALU_CYCLE_1)
	v_cmp_gt_u32_e32 vcc_lo, s10, v2
	s_and_b32 s2, vcc_lo, s2
	s_and_b32 s2, s2, s3
	s_mov_b32 s3, 0
	s_and_b32 s2, s4, s2
	s_delay_alu instid0(SALU_CYCLE_1)
	s_and_saveexec_b32 s4, s2
	s_cbranch_execz .LBB2_2
; %bb.1:
	s_clause 0x1
	s_load_b256 s[4:11], s[0:1], 0x58
	s_load_b128 s[12:15], s[0:1], 0x78
	v_mov_b32_e32 v1, 0
	s_load_b128 s[16:19], s[0:1], 0xa4
	s_wait_kmcnt 0x0
	s_mov_b32 s2, s10
	s_delay_alu instid0(VALU_DEP_1) | instid1(SALU_CYCLE_1)
	v_mul_u64_e32 v[6:7], s[2:3], v[0:1]
	v_mov_b32_e32 v5, v1
	s_mov_b32 s2, s7
	v_mul_hi_u32 v6, s13, v3
	s_delay_alu instid0(VALU_DEP_2) | instskip(NEXT) | instid1(VALU_DEP_2)
	v_mul_u64_e32 v[8:9], s[2:3], v[4:5]
	v_dual_add_nc_u32 v5, v3, v6 :: v_dual_add_nc_u32 v6, v0, v7
	s_delay_alu instid0(VALU_DEP_1) | instskip(SKIP_1) | instid1(VALU_DEP_3)
	v_lshrrev_b32_e32 v5, s14, v5
	v_mul_hi_u32 v7, s4, v2
	v_lshrrev_b32_e32 v6, s11, v6
	s_delay_alu instid0(VALU_DEP_3) | instskip(SKIP_1) | instid1(VALU_DEP_3)
	v_mul_lo_u32 v5, v5, s15
	v_add_nc_u32_e32 v8, v4, v9
	v_mul_lo_u32 v6, v6, s12
	s_delay_alu instid0(VALU_DEP_2) | instskip(NEXT) | instid1(VALU_DEP_1)
	v_dual_add_nc_u32 v7, v2, v7 :: v_dual_lshrrev_b32 v8, s8, v8
	v_dual_sub_nc_u32 v5, v3, v5 :: v_dual_lshrrev_b32 v7, s5, v7
	s_delay_alu instid0(VALU_DEP_2) | instskip(SKIP_1) | instid1(VALU_DEP_4)
	v_mul_lo_u32 v8, v8, s9
	s_load_b96 s[8:10], s[0:1], 0x88
	v_sub_nc_u32_e32 v6, v0, v6
	s_delay_alu instid0(VALU_DEP_3) | instskip(SKIP_2) | instid1(VALU_DEP_2)
	v_mul_lo_u32 v5, v5, s19
	v_mul_lo_u32 v7, v7, s6
	s_load_b128 s[4:7], s[0:1], 0x8
	v_mad_u32 v5, v6, s18, v5
	s_delay_alu instid0(VALU_DEP_2) | instskip(NEXT) | instid1(VALU_DEP_1)
	v_dual_sub_nc_u32 v6, v4, v8 :: v_dual_sub_nc_u32 v7, v2, v7
	v_mul_lo_u32 v8, v7, s16
	s_wait_kmcnt 0x0
	v_mul_lo_u32 v3, v3, s10
	s_delay_alu instid0(VALU_DEP_3) | instskip(NEXT) | instid1(VALU_DEP_3)
	v_mad_u32 v6, v6, s17, v5
	v_ashrrev_i32_e32 v9, 31, v8
	s_delay_alu instid0(VALU_DEP_3) | instskip(NEXT) | instid1(VALU_DEP_3)
	v_mad_u32 v0, v0, s9, v3
	v_dual_mov_b32 v3, v1 :: v_dual_ashrrev_i32 v7, 31, v6
	s_delay_alu instid0(VALU_DEP_1) | instskip(NEXT) | instid1(VALU_DEP_3)
	v_lshl_add_u64 v[6:7], v[6:7], 1, s[4:5]
	v_mad_u32 v0, v4, s8, v0
	s_delay_alu instid0(VALU_DEP_2) | instskip(SKIP_2) | instid1(VALU_DEP_1)
	v_lshl_add_u64 v[6:7], v[8:9], 1, v[6:7]
	global_load_u16 v6, v[6:7], off
	v_lshl_add_u64 v[4:5], v[0:1], 1, s[6:7]
	v_lshl_add_u64 v[0:1], v[2:3], 1, v[4:5]
	s_wait_loadcnt 0x0
	global_store_b16 v[0:1], v6, off
.LBB2_2:
	s_endpgm
	.section	.rodata,"a",@progbits
	.p2align	6, 0x0
	.amdhsa_kernel _ZL19k_bin_bcast_unravelIXadL_ZL9op_repeatffEE6__halfS0_S0_JEEvPKT0_PKT1_PT2_15HIP_vector_typeIjLj3EESA_SA_jSA_SA_SA_SA_SA_SA_iiiiiiiiiiiDpT3_
		.amdhsa_group_segment_fixed_size 0
		.amdhsa_private_segment_fixed_size 0
		.amdhsa_kernarg_size 440
		.amdhsa_user_sgpr_count 2
		.amdhsa_user_sgpr_dispatch_ptr 0
		.amdhsa_user_sgpr_queue_ptr 0
		.amdhsa_user_sgpr_kernarg_segment_ptr 1
		.amdhsa_user_sgpr_dispatch_id 0
		.amdhsa_user_sgpr_kernarg_preload_length 0
		.amdhsa_user_sgpr_kernarg_preload_offset 0
		.amdhsa_user_sgpr_private_segment_size 0
		.amdhsa_wavefront_size32 1
		.amdhsa_uses_dynamic_stack 0
		.amdhsa_enable_private_segment 0
		.amdhsa_system_sgpr_workgroup_id_x 1
		.amdhsa_system_sgpr_workgroup_id_y 0
		.amdhsa_system_sgpr_workgroup_id_z 0
		.amdhsa_system_sgpr_workgroup_info 0
		.amdhsa_system_vgpr_workitem_id 0
		.amdhsa_next_free_vgpr 10
		.amdhsa_next_free_sgpr 20
		.amdhsa_named_barrier_count 0
		.amdhsa_reserve_vcc 1
		.amdhsa_float_round_mode_32 0
		.amdhsa_float_round_mode_16_64 0
		.amdhsa_float_denorm_mode_32 3
		.amdhsa_float_denorm_mode_16_64 3
		.amdhsa_fp16_overflow 0
		.amdhsa_memory_ordered 1
		.amdhsa_forward_progress 1
		.amdhsa_inst_pref_size 5
		.amdhsa_round_robin_scheduling 0
		.amdhsa_exception_fp_ieee_invalid_op 0
		.amdhsa_exception_fp_denorm_src 0
		.amdhsa_exception_fp_ieee_div_zero 0
		.amdhsa_exception_fp_ieee_overflow 0
		.amdhsa_exception_fp_ieee_underflow 0
		.amdhsa_exception_fp_ieee_inexact 0
		.amdhsa_exception_int_div_zero 0
	.end_amdhsa_kernel
	.section	.text._ZL19k_bin_bcast_unravelIXadL_ZL9op_repeatffEE6__halfS0_S0_JEEvPKT0_PKT1_PT2_15HIP_vector_typeIjLj3EESA_SA_jSA_SA_SA_SA_SA_SA_iiiiiiiiiiiDpT3_,"axG",@progbits,_ZL19k_bin_bcast_unravelIXadL_ZL9op_repeatffEE6__halfS0_S0_JEEvPKT0_PKT1_PT2_15HIP_vector_typeIjLj3EESA_SA_jSA_SA_SA_SA_SA_SA_iiiiiiiiiiiDpT3_,comdat
.Lfunc_end2:
	.size	_ZL19k_bin_bcast_unravelIXadL_ZL9op_repeatffEE6__halfS0_S0_JEEvPKT0_PKT1_PT2_15HIP_vector_typeIjLj3EESA_SA_jSA_SA_SA_SA_SA_SA_iiiiiiiiiiiDpT3_, .Lfunc_end2-_ZL19k_bin_bcast_unravelIXadL_ZL9op_repeatffEE6__halfS0_S0_JEEvPKT0_PKT1_PT2_15HIP_vector_typeIjLj3EESA_SA_jSA_SA_SA_SA_SA_SA_iiiiiiiiiiiDpT3_
                                        ; -- End function
	.set _ZL19k_bin_bcast_unravelIXadL_ZL9op_repeatffEE6__halfS0_S0_JEEvPKT0_PKT1_PT2_15HIP_vector_typeIjLj3EESA_SA_jSA_SA_SA_SA_SA_SA_iiiiiiiiiiiDpT3_.num_vgpr, 10
	.set _ZL19k_bin_bcast_unravelIXadL_ZL9op_repeatffEE6__halfS0_S0_JEEvPKT0_PKT1_PT2_15HIP_vector_typeIjLj3EESA_SA_jSA_SA_SA_SA_SA_SA_iiiiiiiiiiiDpT3_.num_agpr, 0
	.set _ZL19k_bin_bcast_unravelIXadL_ZL9op_repeatffEE6__halfS0_S0_JEEvPKT0_PKT1_PT2_15HIP_vector_typeIjLj3EESA_SA_jSA_SA_SA_SA_SA_SA_iiiiiiiiiiiDpT3_.numbered_sgpr, 20
	.set _ZL19k_bin_bcast_unravelIXadL_ZL9op_repeatffEE6__halfS0_S0_JEEvPKT0_PKT1_PT2_15HIP_vector_typeIjLj3EESA_SA_jSA_SA_SA_SA_SA_SA_iiiiiiiiiiiDpT3_.num_named_barrier, 0
	.set _ZL19k_bin_bcast_unravelIXadL_ZL9op_repeatffEE6__halfS0_S0_JEEvPKT0_PKT1_PT2_15HIP_vector_typeIjLj3EESA_SA_jSA_SA_SA_SA_SA_SA_iiiiiiiiiiiDpT3_.private_seg_size, 0
	.set _ZL19k_bin_bcast_unravelIXadL_ZL9op_repeatffEE6__halfS0_S0_JEEvPKT0_PKT1_PT2_15HIP_vector_typeIjLj3EESA_SA_jSA_SA_SA_SA_SA_SA_iiiiiiiiiiiDpT3_.uses_vcc, 1
	.set _ZL19k_bin_bcast_unravelIXadL_ZL9op_repeatffEE6__halfS0_S0_JEEvPKT0_PKT1_PT2_15HIP_vector_typeIjLj3EESA_SA_jSA_SA_SA_SA_SA_SA_iiiiiiiiiiiDpT3_.uses_flat_scratch, 0
	.set _ZL19k_bin_bcast_unravelIXadL_ZL9op_repeatffEE6__halfS0_S0_JEEvPKT0_PKT1_PT2_15HIP_vector_typeIjLj3EESA_SA_jSA_SA_SA_SA_SA_SA_iiiiiiiiiiiDpT3_.has_dyn_sized_stack, 0
	.set _ZL19k_bin_bcast_unravelIXadL_ZL9op_repeatffEE6__halfS0_S0_JEEvPKT0_PKT1_PT2_15HIP_vector_typeIjLj3EESA_SA_jSA_SA_SA_SA_SA_SA_iiiiiiiiiiiDpT3_.has_recursion, 0
	.set _ZL19k_bin_bcast_unravelIXadL_ZL9op_repeatffEE6__halfS0_S0_JEEvPKT0_PKT1_PT2_15HIP_vector_typeIjLj3EESA_SA_jSA_SA_SA_SA_SA_SA_iiiiiiiiiiiDpT3_.has_indirect_call, 0
	.section	.AMDGPU.csdata,"",@progbits
; Kernel info:
; codeLenInByte = 640
; TotalNumSgprs: 22
; NumVgprs: 10
; ScratchSize: 0
; MemoryBound: 0
; FloatMode: 240
; IeeeMode: 1
; LDSByteSize: 0 bytes/workgroup (compile time only)
; SGPRBlocks: 0
; VGPRBlocks: 0
; NumSGPRsForWavesPerEU: 22
; NumVGPRsForWavesPerEU: 10
; NamedBarCnt: 0
; Occupancy: 16
; WaveLimiterHint : 1
; COMPUTE_PGM_RSRC2:SCRATCH_EN: 0
; COMPUTE_PGM_RSRC2:USER_SGPR: 2
; COMPUTE_PGM_RSRC2:TRAP_HANDLER: 0
; COMPUTE_PGM_RSRC2:TGID_X_EN: 1
; COMPUTE_PGM_RSRC2:TGID_Y_EN: 0
; COMPUTE_PGM_RSRC2:TGID_Z_EN: 0
; COMPUTE_PGM_RSRC2:TIDIG_COMP_CNT: 0
	.section	.text._ZL11k_bin_bcastIXadL_ZL9op_repeatffEE6__halfS0_S0_JEEvPKT0_PKT1_PT2_iii15HIP_vector_typeIjLj3EESA_SA_SA_SA_iiiiiiiiiiiDpT3_,"axG",@progbits,_ZL11k_bin_bcastIXadL_ZL9op_repeatffEE6__halfS0_S0_JEEvPKT0_PKT1_PT2_iii15HIP_vector_typeIjLj3EESA_SA_SA_SA_iiiiiiiiiiiDpT3_,comdat
	.globl	_ZL11k_bin_bcastIXadL_ZL9op_repeatffEE6__halfS0_S0_JEEvPKT0_PKT1_PT2_iii15HIP_vector_typeIjLj3EESA_SA_SA_SA_iiiiiiiiiiiDpT3_ ; -- Begin function _ZL11k_bin_bcastIXadL_ZL9op_repeatffEE6__halfS0_S0_JEEvPKT0_PKT1_PT2_iii15HIP_vector_typeIjLj3EESA_SA_SA_SA_iiiiiiiiiiiDpT3_
	.p2align	8
	.type	_ZL11k_bin_bcastIXadL_ZL9op_repeatffEE6__halfS0_S0_JEEvPKT0_PKT1_PT2_iii15HIP_vector_typeIjLj3EESA_SA_SA_SA_iiiiiiiiiiiDpT3_,@function
_ZL11k_bin_bcastIXadL_ZL9op_repeatffEE6__halfS0_S0_JEEvPKT0_PKT1_PT2_iii15HIP_vector_typeIjLj3EESA_SA_SA_SA_iiiiiiiiiiiDpT3_: ; @_ZL11k_bin_bcastIXadL_ZL9op_repeatffEE6__halfS0_S0_JEEvPKT0_PKT1_PT2_iii15HIP_vector_typeIjLj3EESA_SA_SA_SA_iiiiiiiiiiiDpT3_
; %bb.0:
	s_load_b64 s[2:3], s[0:1], 0x9c
	s_bfe_u32 s5, ttmp6, 0x40014
	s_bfe_u32 s16, ttmp6, 0x40010
	;; [unrolled: 1-line block ×3, first 2 shown]
	s_lshr_b32 s4, ttmp7, 16
	s_and_b32 s7, ttmp7, 0xffff
	s_add_co_i32 s5, s5, 1
	s_add_co_i32 s16, s16, 1
	s_load_b256 s[8:15], s[0:1], 0x18
	s_add_co_i32 s19, s19, 1
	s_bfe_u32 s6, ttmp6, 0x40008
	s_bfe_u32 s17, ttmp6, 0x40004
	s_mul_i32 s5, s4, s5
	s_mul_i32 s16, s7, s16
	s_and_b32 s18, ttmp6, 15
	s_mul_i32 s19, ttmp9, s19
	s_add_co_i32 s6, s6, s5
	s_add_co_i32 s17, s17, s16
	s_add_co_i32 s18, s18, s19
	v_bfe_u32 v1, v0, 20, 10
	s_wait_kmcnt 0x0
	s_lshr_b32 s5, s2, 16
	s_and_b32 s16, s2, 0xffff
	s_getreg_b32 s2, hwreg(HW_REG_IB_STS2, 6, 4)
	s_and_b32 s3, s3, 0xffff
	s_cmp_eq_u32 s2, 0
	v_bfe_u32 v4, v0, 10, 10
	s_cselect_b32 s2, s4, s6
	s_delay_alu instid0(SALU_CYCLE_1) | instskip(SKIP_2) | instid1(VALU_DEP_1)
	v_mad_u32 v2, s2, s3, v1
	s_cselect_b32 s2, ttmp9, s18
	s_cselect_b32 s3, s7, s17
	v_mul_hi_u32 v1, v2, s11
	s_delay_alu instid0(VALU_DEP_1) | instskip(NEXT) | instid1(VALU_DEP_1)
	v_add_nc_u32_e32 v1, v2, v1
	v_lshrrev_b32_e32 v3, s12, v1
	v_and_b32_e32 v1, 0x3ff, v0
	s_delay_alu instid0(VALU_DEP_2) | instskip(NEXT) | instid1(VALU_DEP_2)
	v_mul_lo_u32 v5, v3, s13
	v_mad_u32 v0, s2, s16, v1
	v_mad_u32 v1, s3, s5, v4
	v_cmp_gt_u32_e64 s3, s10, v3
	s_delay_alu instid0(VALU_DEP_4) | instskip(NEXT) | instid1(VALU_DEP_4)
	v_sub_nc_u32_e32 v2, v2, v5
	v_cmp_gt_u32_e32 vcc_lo, s8, v0
	s_delay_alu instid0(VALU_DEP_4) | instskip(NEXT) | instid1(VALU_DEP_3)
	v_cmp_gt_u32_e64 s2, s9, v1
	v_cmp_gt_u32_e64 s4, s13, v2
	s_and_b32 s2, vcc_lo, s2
	s_delay_alu instid0(SALU_CYCLE_1) | instskip(NEXT) | instid1(SALU_CYCLE_1)
	s_and_b32 s2, s2, s3
	s_and_b32 s2, s2, s4
	s_delay_alu instid0(SALU_CYCLE_1)
	s_and_saveexec_b32 s3, s2
	s_cbranch_execz .LBB3_4
; %bb.1:
	v_cmp_gt_i32_e32 vcc_lo, s8, v0
	s_and_b32 exec_lo, exec_lo, vcc_lo
	s_cbranch_execz .LBB3_4
; %bb.2:
	s_clause 0x3
	s_load_b256 s[20:27], s[0:1], 0x3c
	s_load_b32 s2, s[0:1], 0x5c
	s_load_b96 s[28:30], s[0:1], 0x60
	s_load_b128 s[4:7], s[0:1], 0x7c
	s_wait_kmcnt 0x0
	v_mul_hi_u32 v4, s26, v2
	v_mul_hi_u32 v6, s20, v1
	;; [unrolled: 1-line block ×3, first 2 shown]
	v_mul_lo_u32 v7, v1, s28
	s_delay_alu instid0(VALU_DEP_3) | instskip(NEXT) | instid1(VALU_DEP_1)
	v_dual_add_nc_u32 v4, v2, v4 :: v_dual_add_nc_u32 v6, v1, v6
	v_dual_add_nc_u32 v5, v3, v5 :: v_dual_lshrrev_b32 v4, s27, v4
	s_delay_alu instid0(VALU_DEP_1) | instskip(NEXT) | instid1(VALU_DEP_1)
	v_dual_lshrrev_b32 v6, s21, v6 :: v_dual_lshrrev_b32 v5, s24, v5
	v_mul_lo_u32 v6, v6, s22
	s_load_b128 s[20:23], s[0:1], 0x8
	s_delay_alu instid0(VALU_DEP_3) | instskip(NEXT) | instid1(VALU_DEP_3)
	v_mul_lo_u32 v4, v4, s2
	v_mul_lo_u32 v5, v5, s25
	s_add_nc_u64 s[2:3], s[0:1], 0x90
	s_delay_alu instid0(VALU_DEP_1) | instskip(SKIP_1) | instid1(VALU_DEP_2)
	v_dual_sub_nc_u32 v4, v2, v4 :: v_dual_sub_nc_u32 v5, v3, v5
	v_mad_u32 v3, v3, s29, v7
	v_mul_lo_u32 v4, v4, s7
	s_delay_alu instid0(VALU_DEP_2) | instskip(NEXT) | instid1(VALU_DEP_2)
	v_mad_u32 v2, v2, s30, v3
	v_mad_u32 v4, v5, s6, v4
	s_load_b32 s6, s[2:3], 0x0
	s_load_b32 s7, s[0:1], 0x38
	v_dual_sub_nc_u32 v5, v1, v6 :: v_dual_mov_b32 v1, 0
	s_wait_xcnt 0x0
	s_mov_b32 s1, 0
	s_mov_b32 s0, s14
	s_delay_alu instid0(VALU_DEP_1) | instskip(NEXT) | instid1(VALU_DEP_3)
	v_mov_b32_e32 v3, v1
	v_mad_u32 v4, v5, s5, v4
	v_mov_b32_e32 v5, v1
	s_wait_kmcnt 0x0
	s_delay_alu instid0(VALU_DEP_3) | instskip(SKIP_3) | instid1(VALU_DEP_3)
	v_lshl_add_u64 v[2:3], v[2:3], 1, s[22:23]
	s_mov_b32 s5, s1
	s_mul_i32 s2, s6, s16
	s_sub_co_i32 s3, 0, s7
	v_lshl_add_u64 v[4:5], v[4:5], 1, s[20:21]
.LBB3_3:                                ; =>This Inner Loop Header: Depth=1
	v_mul_u64_e32 v[6:7], s[0:1], v[0:1]
	s_delay_alu instid0(VALU_DEP_1) | instskip(NEXT) | instid1(VALU_DEP_1)
	v_dual_mov_b32 v7, v1 :: v_dual_add_nc_u32 v6, v0, v7
	v_lshrrev_b32_e32 v6, s15, v6
	s_delay_alu instid0(VALU_DEP_1) | instskip(NEXT) | instid1(VALU_DEP_1)
	v_mad_u32 v6, s3, v6, v0
	v_mul_lo_u32 v6, v6, s4
	s_delay_alu instid0(VALU_DEP_1) | instskip(SKIP_4) | instid1(VALU_DEP_2)
	v_lshl_add_u64 v[6:7], v[6:7], 1, v[4:5]
	global_load_u16 v8, v[6:7], off
	s_wait_xcnt 0x0
	v_dual_mov_b32 v6, v0 :: v_dual_ashrrev_i32 v7, 31, v0
	v_add_nc_u32_e32 v0, s2, v0
	v_lshl_add_u64 v[6:7], v[6:7], 1, v[2:3]
	s_delay_alu instid0(VALU_DEP_2)
	v_cmp_le_i32_e32 vcc_lo, s8, v0
	s_or_b32 s5, vcc_lo, s5
	s_wait_loadcnt 0x0
	global_store_b16 v[6:7], v8, off
	s_wait_xcnt 0x0
	s_and_not1_b32 exec_lo, exec_lo, s5
	s_cbranch_execnz .LBB3_3
.LBB3_4:
	s_endpgm
	.section	.rodata,"a",@progbits
	.p2align	6, 0x0
	.amdhsa_kernel _ZL11k_bin_bcastIXadL_ZL9op_repeatffEE6__halfS0_S0_JEEvPKT0_PKT1_PT2_iii15HIP_vector_typeIjLj3EESA_SA_SA_SA_iiiiiiiiiiiDpT3_
		.amdhsa_group_segment_fixed_size 0
		.amdhsa_private_segment_fixed_size 0
		.amdhsa_kernarg_size 400
		.amdhsa_user_sgpr_count 2
		.amdhsa_user_sgpr_dispatch_ptr 0
		.amdhsa_user_sgpr_queue_ptr 0
		.amdhsa_user_sgpr_kernarg_segment_ptr 1
		.amdhsa_user_sgpr_dispatch_id 0
		.amdhsa_user_sgpr_kernarg_preload_length 0
		.amdhsa_user_sgpr_kernarg_preload_offset 0
		.amdhsa_user_sgpr_private_segment_size 0
		.amdhsa_wavefront_size32 1
		.amdhsa_uses_dynamic_stack 0
		.amdhsa_enable_private_segment 0
		.amdhsa_system_sgpr_workgroup_id_x 1
		.amdhsa_system_sgpr_workgroup_id_y 1
		.amdhsa_system_sgpr_workgroup_id_z 1
		.amdhsa_system_sgpr_workgroup_info 0
		.amdhsa_system_vgpr_workitem_id 2
		.amdhsa_next_free_vgpr 9
		.amdhsa_next_free_sgpr 31
		.amdhsa_named_barrier_count 0
		.amdhsa_reserve_vcc 1
		.amdhsa_float_round_mode_32 0
		.amdhsa_float_round_mode_16_64 0
		.amdhsa_float_denorm_mode_32 3
		.amdhsa_float_denorm_mode_16_64 3
		.amdhsa_fp16_overflow 0
		.amdhsa_memory_ordered 1
		.amdhsa_forward_progress 1
		.amdhsa_inst_pref_size 6
		.amdhsa_round_robin_scheduling 0
		.amdhsa_exception_fp_ieee_invalid_op 0
		.amdhsa_exception_fp_denorm_src 0
		.amdhsa_exception_fp_ieee_div_zero 0
		.amdhsa_exception_fp_ieee_overflow 0
		.amdhsa_exception_fp_ieee_underflow 0
		.amdhsa_exception_fp_ieee_inexact 0
		.amdhsa_exception_int_div_zero 0
	.end_amdhsa_kernel
	.section	.text._ZL11k_bin_bcastIXadL_ZL9op_repeatffEE6__halfS0_S0_JEEvPKT0_PKT1_PT2_iii15HIP_vector_typeIjLj3EESA_SA_SA_SA_iiiiiiiiiiiDpT3_,"axG",@progbits,_ZL11k_bin_bcastIXadL_ZL9op_repeatffEE6__halfS0_S0_JEEvPKT0_PKT1_PT2_iii15HIP_vector_typeIjLj3EESA_SA_SA_SA_iiiiiiiiiiiDpT3_,comdat
.Lfunc_end3:
	.size	_ZL11k_bin_bcastIXadL_ZL9op_repeatffEE6__halfS0_S0_JEEvPKT0_PKT1_PT2_iii15HIP_vector_typeIjLj3EESA_SA_SA_SA_iiiiiiiiiiiDpT3_, .Lfunc_end3-_ZL11k_bin_bcastIXadL_ZL9op_repeatffEE6__halfS0_S0_JEEvPKT0_PKT1_PT2_iii15HIP_vector_typeIjLj3EESA_SA_SA_SA_iiiiiiiiiiiDpT3_
                                        ; -- End function
	.set _ZL11k_bin_bcastIXadL_ZL9op_repeatffEE6__halfS0_S0_JEEvPKT0_PKT1_PT2_iii15HIP_vector_typeIjLj3EESA_SA_SA_SA_iiiiiiiiiiiDpT3_.num_vgpr, 9
	.set _ZL11k_bin_bcastIXadL_ZL9op_repeatffEE6__halfS0_S0_JEEvPKT0_PKT1_PT2_iii15HIP_vector_typeIjLj3EESA_SA_SA_SA_iiiiiiiiiiiDpT3_.num_agpr, 0
	.set _ZL11k_bin_bcastIXadL_ZL9op_repeatffEE6__halfS0_S0_JEEvPKT0_PKT1_PT2_iii15HIP_vector_typeIjLj3EESA_SA_SA_SA_iiiiiiiiiiiDpT3_.numbered_sgpr, 31
	.set _ZL11k_bin_bcastIXadL_ZL9op_repeatffEE6__halfS0_S0_JEEvPKT0_PKT1_PT2_iii15HIP_vector_typeIjLj3EESA_SA_SA_SA_iiiiiiiiiiiDpT3_.num_named_barrier, 0
	.set _ZL11k_bin_bcastIXadL_ZL9op_repeatffEE6__halfS0_S0_JEEvPKT0_PKT1_PT2_iii15HIP_vector_typeIjLj3EESA_SA_SA_SA_iiiiiiiiiiiDpT3_.private_seg_size, 0
	.set _ZL11k_bin_bcastIXadL_ZL9op_repeatffEE6__halfS0_S0_JEEvPKT0_PKT1_PT2_iii15HIP_vector_typeIjLj3EESA_SA_SA_SA_iiiiiiiiiiiDpT3_.uses_vcc, 1
	.set _ZL11k_bin_bcastIXadL_ZL9op_repeatffEE6__halfS0_S0_JEEvPKT0_PKT1_PT2_iii15HIP_vector_typeIjLj3EESA_SA_SA_SA_iiiiiiiiiiiDpT3_.uses_flat_scratch, 0
	.set _ZL11k_bin_bcastIXadL_ZL9op_repeatffEE6__halfS0_S0_JEEvPKT0_PKT1_PT2_iii15HIP_vector_typeIjLj3EESA_SA_SA_SA_iiiiiiiiiiiDpT3_.has_dyn_sized_stack, 0
	.set _ZL11k_bin_bcastIXadL_ZL9op_repeatffEE6__halfS0_S0_JEEvPKT0_PKT1_PT2_iii15HIP_vector_typeIjLj3EESA_SA_SA_SA_iiiiiiiiiiiDpT3_.has_recursion, 0
	.set _ZL11k_bin_bcastIXadL_ZL9op_repeatffEE6__halfS0_S0_JEEvPKT0_PKT1_PT2_iii15HIP_vector_typeIjLj3EESA_SA_SA_SA_iiiiiiiiiiiDpT3_.has_indirect_call, 0
	.section	.AMDGPU.csdata,"",@progbits
; Kernel info:
; codeLenInByte = 756
; TotalNumSgprs: 33
; NumVgprs: 9
; ScratchSize: 0
; MemoryBound: 0
; FloatMode: 240
; IeeeMode: 1
; LDSByteSize: 0 bytes/workgroup (compile time only)
; SGPRBlocks: 0
; VGPRBlocks: 0
; NumSGPRsForWavesPerEU: 33
; NumVGPRsForWavesPerEU: 9
; NamedBarCnt: 0
; Occupancy: 16
; WaveLimiterHint : 1
; COMPUTE_PGM_RSRC2:SCRATCH_EN: 0
; COMPUTE_PGM_RSRC2:USER_SGPR: 2
; COMPUTE_PGM_RSRC2:TRAP_HANDLER: 0
; COMPUTE_PGM_RSRC2:TGID_X_EN: 1
; COMPUTE_PGM_RSRC2:TGID_Y_EN: 1
; COMPUTE_PGM_RSRC2:TGID_Z_EN: 1
; COMPUTE_PGM_RSRC2:TIDIG_COMP_CNT: 2
	.section	.text._ZL19k_bin_bcast_unravelIXadL_ZL9op_repeatffEE6__halffS0_JEEvPKT0_PKT1_PT2_15HIP_vector_typeIjLj3EESA_SA_jSA_SA_SA_SA_SA_SA_iiiiiiiiiiiDpT3_,"axG",@progbits,_ZL19k_bin_bcast_unravelIXadL_ZL9op_repeatffEE6__halffS0_JEEvPKT0_PKT1_PT2_15HIP_vector_typeIjLj3EESA_SA_jSA_SA_SA_SA_SA_SA_iiiiiiiiiiiDpT3_,comdat
	.globl	_ZL19k_bin_bcast_unravelIXadL_ZL9op_repeatffEE6__halffS0_JEEvPKT0_PKT1_PT2_15HIP_vector_typeIjLj3EESA_SA_jSA_SA_SA_SA_SA_SA_iiiiiiiiiiiDpT3_ ; -- Begin function _ZL19k_bin_bcast_unravelIXadL_ZL9op_repeatffEE6__halffS0_JEEvPKT0_PKT1_PT2_15HIP_vector_typeIjLj3EESA_SA_jSA_SA_SA_SA_SA_SA_iiiiiiiiiiiDpT3_
	.p2align	8
	.type	_ZL19k_bin_bcast_unravelIXadL_ZL9op_repeatffEE6__halffS0_JEEvPKT0_PKT1_PT2_15HIP_vector_typeIjLj3EESA_SA_jSA_SA_SA_SA_SA_SA_iiiiiiiiiiiDpT3_,@function
_ZL19k_bin_bcast_unravelIXadL_ZL9op_repeatffEE6__halffS0_JEEvPKT0_PKT1_PT2_15HIP_vector_typeIjLj3EESA_SA_jSA_SA_SA_SA_SA_SA_iiiiiiiiiiiDpT3_: ; @_ZL19k_bin_bcast_unravelIXadL_ZL9op_repeatffEE6__halffS0_JEEvPKT0_PKT1_PT2_15HIP_vector_typeIjLj3EESA_SA_jSA_SA_SA_SA_SA_SA_iiiiiiiiiiiDpT3_
; %bb.0:
	s_load_b32 s2, s[0:1], 0xc4
	s_bfe_u32 s3, ttmp6, 0x4000c
	s_load_b256 s[4:11], s[0:1], 0x38
	s_add_co_i32 s3, s3, 1
	s_and_b32 s12, ttmp6, 15
	s_mul_i32 s3, ttmp9, s3
	s_getreg_b32 s13, hwreg(HW_REG_IB_STS2, 6, 4)
	s_add_co_i32 s12, s12, s3
	s_wait_kmcnt 0x0
	s_and_b32 s2, s2, 0xffff
	s_cmp_eq_u32 s13, 0
	s_cselect_b32 s3, ttmp9, s12
	s_delay_alu instid0(SALU_CYCLE_1) | instskip(SKIP_1) | instid1(VALU_DEP_1)
	v_mad_u32 v0, s3, s2, v0
	s_load_b32 s2, s[0:1], 0x2c
	v_mul_hi_u32 v1, v0, s6
	s_delay_alu instid0(VALU_DEP_1) | instskip(NEXT) | instid1(VALU_DEP_1)
	v_add_nc_u32_e32 v1, v0, v1
	v_lshrrev_b32_e32 v3, s7, v1
	s_delay_alu instid0(VALU_DEP_1) | instskip(NEXT) | instid1(VALU_DEP_1)
	v_mul_lo_u32 v1, v3, s8
	v_sub_nc_u32_e32 v1, v0, v1
	s_delay_alu instid0(VALU_DEP_1) | instskip(NEXT) | instid1(VALU_DEP_1)
	v_mul_hi_u32 v0, v1, s9
	v_add_nc_u32_e32 v0, v1, v0
	s_delay_alu instid0(VALU_DEP_1) | instskip(SKIP_1) | instid1(VALU_DEP_1)
	v_lshrrev_b32_e32 v0, s10, v0
	s_load_b96 s[8:10], s[0:1], 0x18
	v_mul_lo_u32 v2, v0, s11
	v_cmp_gt_u32_e64 s3, s4, v0
	v_cmp_gt_u32_e64 s4, s5, v3
	s_delay_alu instid0(VALU_DEP_3) | instskip(SKIP_1) | instid1(VALU_DEP_1)
	v_sub_nc_u32_e32 v1, v1, v2
	s_wait_kmcnt 0x0
	v_mul_hi_u32 v2, v1, s8
	s_delay_alu instid0(VALU_DEP_1) | instskip(NEXT) | instid1(VALU_DEP_1)
	v_add_nc_u32_e32 v2, v1, v2
	v_lshrrev_b32_e32 v4, s9, v2
	s_delay_alu instid0(VALU_DEP_1) | instskip(NEXT) | instid1(VALU_DEP_1)
	v_mul_lo_u32 v2, v4, s10
	v_sub_nc_u32_e32 v2, v1, v2
	v_cmp_gt_u32_e64 s2, s2, v4
	s_delay_alu instid0(VALU_DEP_2) | instskip(SKIP_1) | instid1(SALU_CYCLE_1)
	v_cmp_gt_u32_e32 vcc_lo, s10, v2
	s_and_b32 s2, vcc_lo, s2
	s_and_b32 s2, s2, s3
	s_mov_b32 s3, 0
	s_and_b32 s2, s4, s2
	s_delay_alu instid0(SALU_CYCLE_1)
	s_and_saveexec_b32 s4, s2
	s_cbranch_execz .LBB4_2
; %bb.1:
	s_clause 0x1
	s_load_b256 s[4:11], s[0:1], 0x58
	s_load_b128 s[12:15], s[0:1], 0x78
	v_mov_b32_e32 v1, 0
	s_load_b128 s[16:19], s[0:1], 0xa4
	s_wait_kmcnt 0x0
	s_mov_b32 s2, s10
	s_delay_alu instid0(VALU_DEP_1) | instid1(SALU_CYCLE_1)
	v_mul_u64_e32 v[6:7], s[2:3], v[0:1]
	v_mov_b32_e32 v5, v1
	s_mov_b32 s2, s7
	v_mul_hi_u32 v6, s13, v3
	s_delay_alu instid0(VALU_DEP_2) | instskip(NEXT) | instid1(VALU_DEP_2)
	v_mul_u64_e32 v[8:9], s[2:3], v[4:5]
	v_dual_add_nc_u32 v5, v3, v6 :: v_dual_add_nc_u32 v6, v0, v7
	s_delay_alu instid0(VALU_DEP_1) | instskip(SKIP_1) | instid1(VALU_DEP_3)
	v_lshrrev_b32_e32 v5, s14, v5
	v_mul_hi_u32 v7, s4, v2
	v_lshrrev_b32_e32 v6, s11, v6
	s_delay_alu instid0(VALU_DEP_3) | instskip(NEXT) | instid1(VALU_DEP_2)
	v_mul_lo_u32 v5, v5, s15
	v_mul_lo_u32 v6, v6, s12
	s_delay_alu instid0(VALU_DEP_4) | instskip(NEXT) | instid1(VALU_DEP_1)
	v_dual_add_nc_u32 v7, v2, v7 :: v_dual_add_nc_u32 v8, v4, v9
	v_dual_sub_nc_u32 v5, v3, v5 :: v_dual_lshrrev_b32 v7, s5, v7
	s_delay_alu instid0(VALU_DEP_2) | instskip(NEXT) | instid1(VALU_DEP_2)
	v_dual_lshrrev_b32 v8, s8, v8 :: v_dual_sub_nc_u32 v6, v0, v6
	v_mul_lo_u32 v5, v5, s19
	s_delay_alu instid0(VALU_DEP_3) | instskip(NEXT) | instid1(VALU_DEP_3)
	v_mul_lo_u32 v7, v7, s6
	v_mul_lo_u32 v8, v8, s9
	s_clause 0x1
	s_load_b128 s[4:7], s[0:1], 0x8
	s_load_b96 s[8:10], s[0:1], 0x88
	s_delay_alu instid0(VALU_DEP_3) | instskip(NEXT) | instid1(VALU_DEP_2)
	v_mad_u32 v5, v6, s18, v5
	v_dual_sub_nc_u32 v7, v2, v7 :: v_dual_sub_nc_u32 v6, v4, v8
	s_delay_alu instid0(VALU_DEP_1) | instskip(NEXT) | instid1(VALU_DEP_2)
	v_mul_lo_u32 v8, v7, s16
	v_mad_u32 v6, v6, s17, v5
	s_wait_kmcnt 0x0
	v_mul_lo_u32 v3, v3, s10
	s_delay_alu instid0(VALU_DEP_2) | instskip(NEXT) | instid1(VALU_DEP_2)
	v_dual_ashrrev_i32 v9, 31, v8 :: v_dual_ashrrev_i32 v7, 31, v6
	v_mad_u32 v0, v0, s9, v3
	v_mov_b32_e32 v3, v1
	s_delay_alu instid0(VALU_DEP_3) | instskip(NEXT) | instid1(VALU_DEP_1)
	v_lshl_add_u64 v[6:7], v[6:7], 2, s[4:5]
	v_lshl_add_u64 v[6:7], v[8:9], 2, v[6:7]
	s_delay_alu instid0(VALU_DEP_4) | instskip(SKIP_2) | instid1(VALU_DEP_1)
	v_mad_u32 v0, v4, s8, v0
	global_load_b32 v5, v[6:7], off
	v_lshl_add_u64 v[0:1], v[0:1], 1, s[6:7]
	v_lshl_add_u64 v[0:1], v[2:3], 1, v[0:1]
	s_wait_loadcnt 0x0
	v_cvt_f16_f32_e32 v4, v5
	global_store_b16 v[0:1], v4, off
.LBB4_2:
	s_endpgm
	.section	.rodata,"a",@progbits
	.p2align	6, 0x0
	.amdhsa_kernel _ZL19k_bin_bcast_unravelIXadL_ZL9op_repeatffEE6__halffS0_JEEvPKT0_PKT1_PT2_15HIP_vector_typeIjLj3EESA_SA_jSA_SA_SA_SA_SA_SA_iiiiiiiiiiiDpT3_
		.amdhsa_group_segment_fixed_size 0
		.amdhsa_private_segment_fixed_size 0
		.amdhsa_kernarg_size 440
		.amdhsa_user_sgpr_count 2
		.amdhsa_user_sgpr_dispatch_ptr 0
		.amdhsa_user_sgpr_queue_ptr 0
		.amdhsa_user_sgpr_kernarg_segment_ptr 1
		.amdhsa_user_sgpr_dispatch_id 0
		.amdhsa_user_sgpr_kernarg_preload_length 0
		.amdhsa_user_sgpr_kernarg_preload_offset 0
		.amdhsa_user_sgpr_private_segment_size 0
		.amdhsa_wavefront_size32 1
		.amdhsa_uses_dynamic_stack 0
		.amdhsa_enable_private_segment 0
		.amdhsa_system_sgpr_workgroup_id_x 1
		.amdhsa_system_sgpr_workgroup_id_y 0
		.amdhsa_system_sgpr_workgroup_id_z 0
		.amdhsa_system_sgpr_workgroup_info 0
		.amdhsa_system_vgpr_workitem_id 0
		.amdhsa_next_free_vgpr 10
		.amdhsa_next_free_sgpr 20
		.amdhsa_named_barrier_count 0
		.amdhsa_reserve_vcc 1
		.amdhsa_float_round_mode_32 0
		.amdhsa_float_round_mode_16_64 0
		.amdhsa_float_denorm_mode_32 3
		.amdhsa_float_denorm_mode_16_64 3
		.amdhsa_fp16_overflow 0
		.amdhsa_memory_ordered 1
		.amdhsa_forward_progress 1
		.amdhsa_inst_pref_size 6
		.amdhsa_round_robin_scheduling 0
		.amdhsa_exception_fp_ieee_invalid_op 0
		.amdhsa_exception_fp_denorm_src 0
		.amdhsa_exception_fp_ieee_div_zero 0
		.amdhsa_exception_fp_ieee_overflow 0
		.amdhsa_exception_fp_ieee_underflow 0
		.amdhsa_exception_fp_ieee_inexact 0
		.amdhsa_exception_int_div_zero 0
	.end_amdhsa_kernel
	.section	.text._ZL19k_bin_bcast_unravelIXadL_ZL9op_repeatffEE6__halffS0_JEEvPKT0_PKT1_PT2_15HIP_vector_typeIjLj3EESA_SA_jSA_SA_SA_SA_SA_SA_iiiiiiiiiiiDpT3_,"axG",@progbits,_ZL19k_bin_bcast_unravelIXadL_ZL9op_repeatffEE6__halffS0_JEEvPKT0_PKT1_PT2_15HIP_vector_typeIjLj3EESA_SA_jSA_SA_SA_SA_SA_SA_iiiiiiiiiiiDpT3_,comdat
.Lfunc_end4:
	.size	_ZL19k_bin_bcast_unravelIXadL_ZL9op_repeatffEE6__halffS0_JEEvPKT0_PKT1_PT2_15HIP_vector_typeIjLj3EESA_SA_jSA_SA_SA_SA_SA_SA_iiiiiiiiiiiDpT3_, .Lfunc_end4-_ZL19k_bin_bcast_unravelIXadL_ZL9op_repeatffEE6__halffS0_JEEvPKT0_PKT1_PT2_15HIP_vector_typeIjLj3EESA_SA_jSA_SA_SA_SA_SA_SA_iiiiiiiiiiiDpT3_
                                        ; -- End function
	.set _ZL19k_bin_bcast_unravelIXadL_ZL9op_repeatffEE6__halffS0_JEEvPKT0_PKT1_PT2_15HIP_vector_typeIjLj3EESA_SA_jSA_SA_SA_SA_SA_SA_iiiiiiiiiiiDpT3_.num_vgpr, 10
	.set _ZL19k_bin_bcast_unravelIXadL_ZL9op_repeatffEE6__halffS0_JEEvPKT0_PKT1_PT2_15HIP_vector_typeIjLj3EESA_SA_jSA_SA_SA_SA_SA_SA_iiiiiiiiiiiDpT3_.num_agpr, 0
	.set _ZL19k_bin_bcast_unravelIXadL_ZL9op_repeatffEE6__halffS0_JEEvPKT0_PKT1_PT2_15HIP_vector_typeIjLj3EESA_SA_jSA_SA_SA_SA_SA_SA_iiiiiiiiiiiDpT3_.numbered_sgpr, 20
	.set _ZL19k_bin_bcast_unravelIXadL_ZL9op_repeatffEE6__halffS0_JEEvPKT0_PKT1_PT2_15HIP_vector_typeIjLj3EESA_SA_jSA_SA_SA_SA_SA_SA_iiiiiiiiiiiDpT3_.num_named_barrier, 0
	.set _ZL19k_bin_bcast_unravelIXadL_ZL9op_repeatffEE6__halffS0_JEEvPKT0_PKT1_PT2_15HIP_vector_typeIjLj3EESA_SA_jSA_SA_SA_SA_SA_SA_iiiiiiiiiiiDpT3_.private_seg_size, 0
	.set _ZL19k_bin_bcast_unravelIXadL_ZL9op_repeatffEE6__halffS0_JEEvPKT0_PKT1_PT2_15HIP_vector_typeIjLj3EESA_SA_jSA_SA_SA_SA_SA_SA_iiiiiiiiiiiDpT3_.uses_vcc, 1
	.set _ZL19k_bin_bcast_unravelIXadL_ZL9op_repeatffEE6__halffS0_JEEvPKT0_PKT1_PT2_15HIP_vector_typeIjLj3EESA_SA_jSA_SA_SA_SA_SA_SA_iiiiiiiiiiiDpT3_.uses_flat_scratch, 0
	.set _ZL19k_bin_bcast_unravelIXadL_ZL9op_repeatffEE6__halffS0_JEEvPKT0_PKT1_PT2_15HIP_vector_typeIjLj3EESA_SA_jSA_SA_SA_SA_SA_SA_iiiiiiiiiiiDpT3_.has_dyn_sized_stack, 0
	.set _ZL19k_bin_bcast_unravelIXadL_ZL9op_repeatffEE6__halffS0_JEEvPKT0_PKT1_PT2_15HIP_vector_typeIjLj3EESA_SA_jSA_SA_SA_SA_SA_SA_iiiiiiiiiiiDpT3_.has_recursion, 0
	.set _ZL19k_bin_bcast_unravelIXadL_ZL9op_repeatffEE6__halffS0_JEEvPKT0_PKT1_PT2_15HIP_vector_typeIjLj3EESA_SA_jSA_SA_SA_SA_SA_SA_iiiiiiiiiiiDpT3_.has_indirect_call, 0
	.section	.AMDGPU.csdata,"",@progbits
; Kernel info:
; codeLenInByte = 652
; TotalNumSgprs: 22
; NumVgprs: 10
; ScratchSize: 0
; MemoryBound: 0
; FloatMode: 240
; IeeeMode: 1
; LDSByteSize: 0 bytes/workgroup (compile time only)
; SGPRBlocks: 0
; VGPRBlocks: 0
; NumSGPRsForWavesPerEU: 22
; NumVGPRsForWavesPerEU: 10
; NamedBarCnt: 0
; Occupancy: 16
; WaveLimiterHint : 1
; COMPUTE_PGM_RSRC2:SCRATCH_EN: 0
; COMPUTE_PGM_RSRC2:USER_SGPR: 2
; COMPUTE_PGM_RSRC2:TRAP_HANDLER: 0
; COMPUTE_PGM_RSRC2:TGID_X_EN: 1
; COMPUTE_PGM_RSRC2:TGID_Y_EN: 0
; COMPUTE_PGM_RSRC2:TGID_Z_EN: 0
; COMPUTE_PGM_RSRC2:TIDIG_COMP_CNT: 0
	.section	.text._ZL11k_bin_bcastIXadL_ZL9op_repeatffEE6__halffS0_JEEvPKT0_PKT1_PT2_iii15HIP_vector_typeIjLj3EESA_SA_SA_SA_iiiiiiiiiiiDpT3_,"axG",@progbits,_ZL11k_bin_bcastIXadL_ZL9op_repeatffEE6__halffS0_JEEvPKT0_PKT1_PT2_iii15HIP_vector_typeIjLj3EESA_SA_SA_SA_iiiiiiiiiiiDpT3_,comdat
	.globl	_ZL11k_bin_bcastIXadL_ZL9op_repeatffEE6__halffS0_JEEvPKT0_PKT1_PT2_iii15HIP_vector_typeIjLj3EESA_SA_SA_SA_iiiiiiiiiiiDpT3_ ; -- Begin function _ZL11k_bin_bcastIXadL_ZL9op_repeatffEE6__halffS0_JEEvPKT0_PKT1_PT2_iii15HIP_vector_typeIjLj3EESA_SA_SA_SA_iiiiiiiiiiiDpT3_
	.p2align	8
	.type	_ZL11k_bin_bcastIXadL_ZL9op_repeatffEE6__halffS0_JEEvPKT0_PKT1_PT2_iii15HIP_vector_typeIjLj3EESA_SA_SA_SA_iiiiiiiiiiiDpT3_,@function
_ZL11k_bin_bcastIXadL_ZL9op_repeatffEE6__halffS0_JEEvPKT0_PKT1_PT2_iii15HIP_vector_typeIjLj3EESA_SA_SA_SA_iiiiiiiiiiiDpT3_: ; @_ZL11k_bin_bcastIXadL_ZL9op_repeatffEE6__halffS0_JEEvPKT0_PKT1_PT2_iii15HIP_vector_typeIjLj3EESA_SA_SA_SA_iiiiiiiiiiiDpT3_
; %bb.0:
	s_load_b64 s[2:3], s[0:1], 0x9c
	s_bfe_u32 s5, ttmp6, 0x40014
	s_bfe_u32 s16, ttmp6, 0x40010
	;; [unrolled: 1-line block ×3, first 2 shown]
	s_lshr_b32 s4, ttmp7, 16
	s_and_b32 s7, ttmp7, 0xffff
	s_add_co_i32 s5, s5, 1
	s_add_co_i32 s16, s16, 1
	s_load_b256 s[8:15], s[0:1], 0x18
	s_add_co_i32 s19, s19, 1
	s_bfe_u32 s6, ttmp6, 0x40008
	s_bfe_u32 s17, ttmp6, 0x40004
	s_mul_i32 s5, s4, s5
	s_mul_i32 s16, s7, s16
	s_and_b32 s18, ttmp6, 15
	s_mul_i32 s19, ttmp9, s19
	s_add_co_i32 s6, s6, s5
	s_add_co_i32 s17, s17, s16
	s_add_co_i32 s18, s18, s19
	v_bfe_u32 v1, v0, 20, 10
	s_wait_kmcnt 0x0
	s_lshr_b32 s5, s2, 16
	s_and_b32 s16, s2, 0xffff
	s_getreg_b32 s2, hwreg(HW_REG_IB_STS2, 6, 4)
	s_and_b32 s3, s3, 0xffff
	s_cmp_eq_u32 s2, 0
	v_bfe_u32 v4, v0, 10, 10
	s_cselect_b32 s2, s4, s6
	s_delay_alu instid0(SALU_CYCLE_1) | instskip(SKIP_2) | instid1(VALU_DEP_1)
	v_mad_u32 v2, s2, s3, v1
	s_cselect_b32 s2, ttmp9, s18
	s_cselect_b32 s3, s7, s17
	v_mul_hi_u32 v1, v2, s11
	s_delay_alu instid0(VALU_DEP_1) | instskip(NEXT) | instid1(VALU_DEP_1)
	v_add_nc_u32_e32 v1, v2, v1
	v_lshrrev_b32_e32 v3, s12, v1
	v_and_b32_e32 v1, 0x3ff, v0
	s_delay_alu instid0(VALU_DEP_2) | instskip(NEXT) | instid1(VALU_DEP_2)
	v_mul_lo_u32 v5, v3, s13
	v_mad_u32 v0, s2, s16, v1
	v_mad_u32 v1, s3, s5, v4
	v_cmp_gt_u32_e64 s3, s10, v3
	s_delay_alu instid0(VALU_DEP_4) | instskip(NEXT) | instid1(VALU_DEP_4)
	v_sub_nc_u32_e32 v2, v2, v5
	v_cmp_gt_u32_e32 vcc_lo, s8, v0
	s_delay_alu instid0(VALU_DEP_4) | instskip(NEXT) | instid1(VALU_DEP_3)
	v_cmp_gt_u32_e64 s2, s9, v1
	v_cmp_gt_u32_e64 s4, s13, v2
	s_and_b32 s2, vcc_lo, s2
	s_delay_alu instid0(SALU_CYCLE_1) | instskip(NEXT) | instid1(SALU_CYCLE_1)
	s_and_b32 s2, s2, s3
	s_and_b32 s2, s2, s4
	s_delay_alu instid0(SALU_CYCLE_1)
	s_and_saveexec_b32 s3, s2
	s_cbranch_execz .LBB5_4
; %bb.1:
	v_cmp_gt_i32_e32 vcc_lo, s8, v0
	s_and_b32 exec_lo, exec_lo, vcc_lo
	s_cbranch_execz .LBB5_4
; %bb.2:
	s_clause 0x3
	s_load_b256 s[20:27], s[0:1], 0x3c
	s_load_b32 s2, s[0:1], 0x5c
	s_load_b96 s[28:30], s[0:1], 0x60
	s_load_b128 s[4:7], s[0:1], 0x7c
	s_wait_kmcnt 0x0
	v_mul_hi_u32 v4, s26, v2
	v_mul_hi_u32 v6, s20, v1
	;; [unrolled: 1-line block ×3, first 2 shown]
	v_mul_lo_u32 v7, v1, s28
	s_delay_alu instid0(VALU_DEP_3) | instskip(NEXT) | instid1(VALU_DEP_1)
	v_dual_add_nc_u32 v4, v2, v4 :: v_dual_add_nc_u32 v6, v1, v6
	v_dual_add_nc_u32 v5, v3, v5 :: v_dual_lshrrev_b32 v4, s27, v4
	s_delay_alu instid0(VALU_DEP_1) | instskip(NEXT) | instid1(VALU_DEP_1)
	v_dual_lshrrev_b32 v6, s21, v6 :: v_dual_lshrrev_b32 v5, s24, v5
	v_mul_lo_u32 v6, v6, s22
	s_load_b128 s[20:23], s[0:1], 0x8
	s_delay_alu instid0(VALU_DEP_3) | instskip(NEXT) | instid1(VALU_DEP_3)
	v_mul_lo_u32 v4, v4, s2
	v_mul_lo_u32 v5, v5, s25
	s_add_nc_u64 s[2:3], s[0:1], 0x90
	s_delay_alu instid0(VALU_DEP_1) | instskip(SKIP_1) | instid1(VALU_DEP_2)
	v_dual_sub_nc_u32 v4, v2, v4 :: v_dual_sub_nc_u32 v5, v3, v5
	v_mad_u32 v3, v3, s29, v7
	v_mul_lo_u32 v4, v4, s7
	s_delay_alu instid0(VALU_DEP_2) | instskip(NEXT) | instid1(VALU_DEP_2)
	v_mad_u32 v2, v2, s30, v3
	v_mad_u32 v4, v5, s6, v4
	s_load_b32 s6, s[2:3], 0x0
	s_load_b32 s7, s[0:1], 0x38
	v_dual_sub_nc_u32 v5, v1, v6 :: v_dual_mov_b32 v1, 0
	s_wait_xcnt 0x0
	s_mov_b32 s1, 0
	s_mov_b32 s0, s14
	s_delay_alu instid0(VALU_DEP_1) | instskip(NEXT) | instid1(VALU_DEP_3)
	v_mov_b32_e32 v3, v1
	v_mad_u32 v4, v5, s5, v4
	v_mov_b32_e32 v5, v1
	s_wait_kmcnt 0x0
	s_delay_alu instid0(VALU_DEP_3) | instskip(SKIP_3) | instid1(VALU_DEP_3)
	v_lshl_add_u64 v[2:3], v[2:3], 1, s[22:23]
	s_mov_b32 s5, s1
	s_mul_i32 s2, s6, s16
	s_sub_co_i32 s3, 0, s7
	v_lshl_add_u64 v[4:5], v[4:5], 2, s[20:21]
.LBB5_3:                                ; =>This Inner Loop Header: Depth=1
	v_mul_u64_e32 v[6:7], s[0:1], v[0:1]
	s_delay_alu instid0(VALU_DEP_1) | instskip(NEXT) | instid1(VALU_DEP_1)
	v_dual_mov_b32 v7, v1 :: v_dual_add_nc_u32 v6, v0, v7
	v_lshrrev_b32_e32 v6, s15, v6
	s_delay_alu instid0(VALU_DEP_1) | instskip(NEXT) | instid1(VALU_DEP_1)
	v_mad_u32 v6, s3, v6, v0
	v_mul_lo_u32 v6, v6, s4
	s_delay_alu instid0(VALU_DEP_1) | instskip(SKIP_4) | instid1(VALU_DEP_2)
	v_lshl_add_u64 v[6:7], v[6:7], 2, v[4:5]
	global_load_b32 v8, v[6:7], off
	s_wait_xcnt 0x0
	v_dual_mov_b32 v6, v0 :: v_dual_ashrrev_i32 v7, 31, v0
	v_add_nc_u32_e32 v0, s2, v0
	v_lshl_add_u64 v[6:7], v[6:7], 1, v[2:3]
	s_delay_alu instid0(VALU_DEP_2)
	v_cmp_le_i32_e32 vcc_lo, s8, v0
	s_or_b32 s5, vcc_lo, s5
	s_wait_loadcnt 0x0
	v_cvt_f16_f32_e32 v8, v8
	global_store_b16 v[6:7], v8, off
	s_wait_xcnt 0x0
	s_and_not1_b32 exec_lo, exec_lo, s5
	s_cbranch_execnz .LBB5_3
.LBB5_4:
	s_endpgm
	.section	.rodata,"a",@progbits
	.p2align	6, 0x0
	.amdhsa_kernel _ZL11k_bin_bcastIXadL_ZL9op_repeatffEE6__halffS0_JEEvPKT0_PKT1_PT2_iii15HIP_vector_typeIjLj3EESA_SA_SA_SA_iiiiiiiiiiiDpT3_
		.amdhsa_group_segment_fixed_size 0
		.amdhsa_private_segment_fixed_size 0
		.amdhsa_kernarg_size 400
		.amdhsa_user_sgpr_count 2
		.amdhsa_user_sgpr_dispatch_ptr 0
		.amdhsa_user_sgpr_queue_ptr 0
		.amdhsa_user_sgpr_kernarg_segment_ptr 1
		.amdhsa_user_sgpr_dispatch_id 0
		.amdhsa_user_sgpr_kernarg_preload_length 0
		.amdhsa_user_sgpr_kernarg_preload_offset 0
		.amdhsa_user_sgpr_private_segment_size 0
		.amdhsa_wavefront_size32 1
		.amdhsa_uses_dynamic_stack 0
		.amdhsa_enable_private_segment 0
		.amdhsa_system_sgpr_workgroup_id_x 1
		.amdhsa_system_sgpr_workgroup_id_y 1
		.amdhsa_system_sgpr_workgroup_id_z 1
		.amdhsa_system_sgpr_workgroup_info 0
		.amdhsa_system_vgpr_workitem_id 2
		.amdhsa_next_free_vgpr 9
		.amdhsa_next_free_sgpr 31
		.amdhsa_named_barrier_count 0
		.amdhsa_reserve_vcc 1
		.amdhsa_float_round_mode_32 0
		.amdhsa_float_round_mode_16_64 0
		.amdhsa_float_denorm_mode_32 3
		.amdhsa_float_denorm_mode_16_64 3
		.amdhsa_fp16_overflow 0
		.amdhsa_memory_ordered 1
		.amdhsa_forward_progress 1
		.amdhsa_inst_pref_size 6
		.amdhsa_round_robin_scheduling 0
		.amdhsa_exception_fp_ieee_invalid_op 0
		.amdhsa_exception_fp_denorm_src 0
		.amdhsa_exception_fp_ieee_div_zero 0
		.amdhsa_exception_fp_ieee_overflow 0
		.amdhsa_exception_fp_ieee_underflow 0
		.amdhsa_exception_fp_ieee_inexact 0
		.amdhsa_exception_int_div_zero 0
	.end_amdhsa_kernel
	.section	.text._ZL11k_bin_bcastIXadL_ZL9op_repeatffEE6__halffS0_JEEvPKT0_PKT1_PT2_iii15HIP_vector_typeIjLj3EESA_SA_SA_SA_iiiiiiiiiiiDpT3_,"axG",@progbits,_ZL11k_bin_bcastIXadL_ZL9op_repeatffEE6__halffS0_JEEvPKT0_PKT1_PT2_iii15HIP_vector_typeIjLj3EESA_SA_SA_SA_iiiiiiiiiiiDpT3_,comdat
.Lfunc_end5:
	.size	_ZL11k_bin_bcastIXadL_ZL9op_repeatffEE6__halffS0_JEEvPKT0_PKT1_PT2_iii15HIP_vector_typeIjLj3EESA_SA_SA_SA_iiiiiiiiiiiDpT3_, .Lfunc_end5-_ZL11k_bin_bcastIXadL_ZL9op_repeatffEE6__halffS0_JEEvPKT0_PKT1_PT2_iii15HIP_vector_typeIjLj3EESA_SA_SA_SA_iiiiiiiiiiiDpT3_
                                        ; -- End function
	.set _ZL11k_bin_bcastIXadL_ZL9op_repeatffEE6__halffS0_JEEvPKT0_PKT1_PT2_iii15HIP_vector_typeIjLj3EESA_SA_SA_SA_iiiiiiiiiiiDpT3_.num_vgpr, 9
	.set _ZL11k_bin_bcastIXadL_ZL9op_repeatffEE6__halffS0_JEEvPKT0_PKT1_PT2_iii15HIP_vector_typeIjLj3EESA_SA_SA_SA_iiiiiiiiiiiDpT3_.num_agpr, 0
	.set _ZL11k_bin_bcastIXadL_ZL9op_repeatffEE6__halffS0_JEEvPKT0_PKT1_PT2_iii15HIP_vector_typeIjLj3EESA_SA_SA_SA_iiiiiiiiiiiDpT3_.numbered_sgpr, 31
	.set _ZL11k_bin_bcastIXadL_ZL9op_repeatffEE6__halffS0_JEEvPKT0_PKT1_PT2_iii15HIP_vector_typeIjLj3EESA_SA_SA_SA_iiiiiiiiiiiDpT3_.num_named_barrier, 0
	.set _ZL11k_bin_bcastIXadL_ZL9op_repeatffEE6__halffS0_JEEvPKT0_PKT1_PT2_iii15HIP_vector_typeIjLj3EESA_SA_SA_SA_iiiiiiiiiiiDpT3_.private_seg_size, 0
	.set _ZL11k_bin_bcastIXadL_ZL9op_repeatffEE6__halffS0_JEEvPKT0_PKT1_PT2_iii15HIP_vector_typeIjLj3EESA_SA_SA_SA_iiiiiiiiiiiDpT3_.uses_vcc, 1
	.set _ZL11k_bin_bcastIXadL_ZL9op_repeatffEE6__halffS0_JEEvPKT0_PKT1_PT2_iii15HIP_vector_typeIjLj3EESA_SA_SA_SA_iiiiiiiiiiiDpT3_.uses_flat_scratch, 0
	.set _ZL11k_bin_bcastIXadL_ZL9op_repeatffEE6__halffS0_JEEvPKT0_PKT1_PT2_iii15HIP_vector_typeIjLj3EESA_SA_SA_SA_iiiiiiiiiiiDpT3_.has_dyn_sized_stack, 0
	.set _ZL11k_bin_bcastIXadL_ZL9op_repeatffEE6__halffS0_JEEvPKT0_PKT1_PT2_iii15HIP_vector_typeIjLj3EESA_SA_SA_SA_iiiiiiiiiiiDpT3_.has_recursion, 0
	.set _ZL11k_bin_bcastIXadL_ZL9op_repeatffEE6__halffS0_JEEvPKT0_PKT1_PT2_iii15HIP_vector_typeIjLj3EESA_SA_SA_SA_iiiiiiiiiiiDpT3_.has_indirect_call, 0
	.section	.AMDGPU.csdata,"",@progbits
; Kernel info:
; codeLenInByte = 760
; TotalNumSgprs: 33
; NumVgprs: 9
; ScratchSize: 0
; MemoryBound: 0
; FloatMode: 240
; IeeeMode: 1
; LDSByteSize: 0 bytes/workgroup (compile time only)
; SGPRBlocks: 0
; VGPRBlocks: 0
; NumSGPRsForWavesPerEU: 33
; NumVGPRsForWavesPerEU: 9
; NamedBarCnt: 0
; Occupancy: 16
; WaveLimiterHint : 1
; COMPUTE_PGM_RSRC2:SCRATCH_EN: 0
; COMPUTE_PGM_RSRC2:USER_SGPR: 2
; COMPUTE_PGM_RSRC2:TRAP_HANDLER: 0
; COMPUTE_PGM_RSRC2:TGID_X_EN: 1
; COMPUTE_PGM_RSRC2:TGID_Y_EN: 1
; COMPUTE_PGM_RSRC2:TGID_Z_EN: 1
; COMPUTE_PGM_RSRC2:TIDIG_COMP_CNT: 2
	.section	.text._ZL19k_bin_bcast_unravelIXadL_ZL9op_repeatffEE6__halfffJEEvPKT0_PKT1_PT2_15HIP_vector_typeIjLj3EESA_SA_jSA_SA_SA_SA_SA_SA_iiiiiiiiiiiDpT3_,"axG",@progbits,_ZL19k_bin_bcast_unravelIXadL_ZL9op_repeatffEE6__halfffJEEvPKT0_PKT1_PT2_15HIP_vector_typeIjLj3EESA_SA_jSA_SA_SA_SA_SA_SA_iiiiiiiiiiiDpT3_,comdat
	.globl	_ZL19k_bin_bcast_unravelIXadL_ZL9op_repeatffEE6__halfffJEEvPKT0_PKT1_PT2_15HIP_vector_typeIjLj3EESA_SA_jSA_SA_SA_SA_SA_SA_iiiiiiiiiiiDpT3_ ; -- Begin function _ZL19k_bin_bcast_unravelIXadL_ZL9op_repeatffEE6__halfffJEEvPKT0_PKT1_PT2_15HIP_vector_typeIjLj3EESA_SA_jSA_SA_SA_SA_SA_SA_iiiiiiiiiiiDpT3_
	.p2align	8
	.type	_ZL19k_bin_bcast_unravelIXadL_ZL9op_repeatffEE6__halfffJEEvPKT0_PKT1_PT2_15HIP_vector_typeIjLj3EESA_SA_jSA_SA_SA_SA_SA_SA_iiiiiiiiiiiDpT3_,@function
_ZL19k_bin_bcast_unravelIXadL_ZL9op_repeatffEE6__halfffJEEvPKT0_PKT1_PT2_15HIP_vector_typeIjLj3EESA_SA_jSA_SA_SA_SA_SA_SA_iiiiiiiiiiiDpT3_: ; @_ZL19k_bin_bcast_unravelIXadL_ZL9op_repeatffEE6__halfffJEEvPKT0_PKT1_PT2_15HIP_vector_typeIjLj3EESA_SA_jSA_SA_SA_SA_SA_SA_iiiiiiiiiiiDpT3_
; %bb.0:
	s_load_b32 s2, s[0:1], 0xc4
	s_bfe_u32 s3, ttmp6, 0x4000c
	s_load_b256 s[4:11], s[0:1], 0x38
	s_add_co_i32 s3, s3, 1
	s_and_b32 s12, ttmp6, 15
	s_mul_i32 s3, ttmp9, s3
	s_getreg_b32 s13, hwreg(HW_REG_IB_STS2, 6, 4)
	s_add_co_i32 s12, s12, s3
	s_wait_kmcnt 0x0
	s_and_b32 s2, s2, 0xffff
	s_cmp_eq_u32 s13, 0
	s_cselect_b32 s3, ttmp9, s12
	s_delay_alu instid0(SALU_CYCLE_1) | instskip(SKIP_1) | instid1(VALU_DEP_1)
	v_mad_u32 v0, s3, s2, v0
	s_load_b32 s2, s[0:1], 0x2c
	v_mul_hi_u32 v1, v0, s6
	s_delay_alu instid0(VALU_DEP_1) | instskip(NEXT) | instid1(VALU_DEP_1)
	v_add_nc_u32_e32 v1, v0, v1
	v_lshrrev_b32_e32 v3, s7, v1
	s_delay_alu instid0(VALU_DEP_1) | instskip(NEXT) | instid1(VALU_DEP_1)
	v_mul_lo_u32 v1, v3, s8
	v_sub_nc_u32_e32 v1, v0, v1
	s_delay_alu instid0(VALU_DEP_1) | instskip(NEXT) | instid1(VALU_DEP_1)
	v_mul_hi_u32 v0, v1, s9
	v_add_nc_u32_e32 v0, v1, v0
	s_delay_alu instid0(VALU_DEP_1) | instskip(SKIP_1) | instid1(VALU_DEP_1)
	v_lshrrev_b32_e32 v0, s10, v0
	s_load_b96 s[8:10], s[0:1], 0x18
	v_mul_lo_u32 v2, v0, s11
	v_cmp_gt_u32_e64 s3, s4, v0
	v_cmp_gt_u32_e64 s4, s5, v3
	s_delay_alu instid0(VALU_DEP_3) | instskip(SKIP_1) | instid1(VALU_DEP_1)
	v_sub_nc_u32_e32 v1, v1, v2
	s_wait_kmcnt 0x0
	v_mul_hi_u32 v2, v1, s8
	s_delay_alu instid0(VALU_DEP_1) | instskip(NEXT) | instid1(VALU_DEP_1)
	v_add_nc_u32_e32 v2, v1, v2
	v_lshrrev_b32_e32 v4, s9, v2
	s_delay_alu instid0(VALU_DEP_1) | instskip(NEXT) | instid1(VALU_DEP_1)
	v_mul_lo_u32 v2, v4, s10
	v_sub_nc_u32_e32 v2, v1, v2
	v_cmp_gt_u32_e64 s2, s2, v4
	s_delay_alu instid0(VALU_DEP_2) | instskip(SKIP_1) | instid1(SALU_CYCLE_1)
	v_cmp_gt_u32_e32 vcc_lo, s10, v2
	s_and_b32 s2, vcc_lo, s2
	s_and_b32 s2, s2, s3
	s_mov_b32 s3, 0
	s_and_b32 s2, s4, s2
	s_delay_alu instid0(SALU_CYCLE_1)
	s_and_saveexec_b32 s4, s2
	s_cbranch_execz .LBB6_2
; %bb.1:
	s_clause 0x1
	s_load_b256 s[4:11], s[0:1], 0x58
	s_load_b128 s[12:15], s[0:1], 0x78
	v_mov_b32_e32 v1, 0
	s_load_b128 s[16:19], s[0:1], 0xa4
	s_wait_kmcnt 0x0
	s_mov_b32 s2, s10
	s_delay_alu instid0(VALU_DEP_1) | instid1(SALU_CYCLE_1)
	v_mul_u64_e32 v[6:7], s[2:3], v[0:1]
	v_mov_b32_e32 v5, v1
	s_mov_b32 s2, s7
	v_mul_hi_u32 v6, s13, v3
	s_delay_alu instid0(VALU_DEP_2) | instskip(NEXT) | instid1(VALU_DEP_2)
	v_mul_u64_e32 v[8:9], s[2:3], v[4:5]
	v_dual_add_nc_u32 v5, v3, v6 :: v_dual_add_nc_u32 v6, v0, v7
	s_delay_alu instid0(VALU_DEP_1) | instskip(SKIP_1) | instid1(VALU_DEP_3)
	v_lshrrev_b32_e32 v5, s14, v5
	v_mul_hi_u32 v7, s4, v2
	v_lshrrev_b32_e32 v6, s11, v6
	s_delay_alu instid0(VALU_DEP_3) | instskip(SKIP_1) | instid1(VALU_DEP_3)
	v_mul_lo_u32 v5, v5, s15
	v_add_nc_u32_e32 v8, v4, v9
	v_mul_lo_u32 v6, v6, s12
	s_delay_alu instid0(VALU_DEP_2) | instskip(NEXT) | instid1(VALU_DEP_1)
	v_dual_add_nc_u32 v7, v2, v7 :: v_dual_lshrrev_b32 v8, s8, v8
	v_dual_sub_nc_u32 v5, v3, v5 :: v_dual_lshrrev_b32 v7, s5, v7
	s_delay_alu instid0(VALU_DEP_2) | instskip(SKIP_1) | instid1(VALU_DEP_4)
	v_mul_lo_u32 v8, v8, s9
	s_load_b96 s[8:10], s[0:1], 0x88
	v_sub_nc_u32_e32 v6, v0, v6
	s_delay_alu instid0(VALU_DEP_3) | instskip(SKIP_2) | instid1(VALU_DEP_2)
	v_mul_lo_u32 v5, v5, s19
	v_mul_lo_u32 v7, v7, s6
	s_load_b128 s[4:7], s[0:1], 0x8
	v_mad_u32 v5, v6, s18, v5
	s_delay_alu instid0(VALU_DEP_2) | instskip(NEXT) | instid1(VALU_DEP_1)
	v_dual_sub_nc_u32 v6, v4, v8 :: v_dual_sub_nc_u32 v7, v2, v7
	v_mul_lo_u32 v8, v7, s16
	s_wait_kmcnt 0x0
	v_mul_lo_u32 v3, v3, s10
	s_delay_alu instid0(VALU_DEP_3) | instskip(NEXT) | instid1(VALU_DEP_3)
	v_mad_u32 v6, v6, s17, v5
	v_ashrrev_i32_e32 v9, 31, v8
	s_delay_alu instid0(VALU_DEP_3) | instskip(NEXT) | instid1(VALU_DEP_3)
	v_mad_u32 v0, v0, s9, v3
	v_dual_mov_b32 v3, v1 :: v_dual_ashrrev_i32 v7, 31, v6
	s_delay_alu instid0(VALU_DEP_1) | instskip(NEXT) | instid1(VALU_DEP_3)
	v_lshl_add_u64 v[6:7], v[6:7], 2, s[4:5]
	v_mad_u32 v0, v4, s8, v0
	s_delay_alu instid0(VALU_DEP_2) | instskip(SKIP_2) | instid1(VALU_DEP_1)
	v_lshl_add_u64 v[6:7], v[8:9], 2, v[6:7]
	global_load_b32 v6, v[6:7], off
	v_lshl_add_u64 v[4:5], v[0:1], 2, s[6:7]
	v_lshl_add_u64 v[0:1], v[2:3], 2, v[4:5]
	s_wait_loadcnt 0x0
	global_store_b32 v[0:1], v6, off
.LBB6_2:
	s_endpgm
	.section	.rodata,"a",@progbits
	.p2align	6, 0x0
	.amdhsa_kernel _ZL19k_bin_bcast_unravelIXadL_ZL9op_repeatffEE6__halfffJEEvPKT0_PKT1_PT2_15HIP_vector_typeIjLj3EESA_SA_jSA_SA_SA_SA_SA_SA_iiiiiiiiiiiDpT3_
		.amdhsa_group_segment_fixed_size 0
		.amdhsa_private_segment_fixed_size 0
		.amdhsa_kernarg_size 440
		.amdhsa_user_sgpr_count 2
		.amdhsa_user_sgpr_dispatch_ptr 0
		.amdhsa_user_sgpr_queue_ptr 0
		.amdhsa_user_sgpr_kernarg_segment_ptr 1
		.amdhsa_user_sgpr_dispatch_id 0
		.amdhsa_user_sgpr_kernarg_preload_length 0
		.amdhsa_user_sgpr_kernarg_preload_offset 0
		.amdhsa_user_sgpr_private_segment_size 0
		.amdhsa_wavefront_size32 1
		.amdhsa_uses_dynamic_stack 0
		.amdhsa_enable_private_segment 0
		.amdhsa_system_sgpr_workgroup_id_x 1
		.amdhsa_system_sgpr_workgroup_id_y 0
		.amdhsa_system_sgpr_workgroup_id_z 0
		.amdhsa_system_sgpr_workgroup_info 0
		.amdhsa_system_vgpr_workitem_id 0
		.amdhsa_next_free_vgpr 10
		.amdhsa_next_free_sgpr 20
		.amdhsa_named_barrier_count 0
		.amdhsa_reserve_vcc 1
		.amdhsa_float_round_mode_32 0
		.amdhsa_float_round_mode_16_64 0
		.amdhsa_float_denorm_mode_32 3
		.amdhsa_float_denorm_mode_16_64 3
		.amdhsa_fp16_overflow 0
		.amdhsa_memory_ordered 1
		.amdhsa_forward_progress 1
		.amdhsa_inst_pref_size 5
		.amdhsa_round_robin_scheduling 0
		.amdhsa_exception_fp_ieee_invalid_op 0
		.amdhsa_exception_fp_denorm_src 0
		.amdhsa_exception_fp_ieee_div_zero 0
		.amdhsa_exception_fp_ieee_overflow 0
		.amdhsa_exception_fp_ieee_underflow 0
		.amdhsa_exception_fp_ieee_inexact 0
		.amdhsa_exception_int_div_zero 0
	.end_amdhsa_kernel
	.section	.text._ZL19k_bin_bcast_unravelIXadL_ZL9op_repeatffEE6__halfffJEEvPKT0_PKT1_PT2_15HIP_vector_typeIjLj3EESA_SA_jSA_SA_SA_SA_SA_SA_iiiiiiiiiiiDpT3_,"axG",@progbits,_ZL19k_bin_bcast_unravelIXadL_ZL9op_repeatffEE6__halfffJEEvPKT0_PKT1_PT2_15HIP_vector_typeIjLj3EESA_SA_jSA_SA_SA_SA_SA_SA_iiiiiiiiiiiDpT3_,comdat
.Lfunc_end6:
	.size	_ZL19k_bin_bcast_unravelIXadL_ZL9op_repeatffEE6__halfffJEEvPKT0_PKT1_PT2_15HIP_vector_typeIjLj3EESA_SA_jSA_SA_SA_SA_SA_SA_iiiiiiiiiiiDpT3_, .Lfunc_end6-_ZL19k_bin_bcast_unravelIXadL_ZL9op_repeatffEE6__halfffJEEvPKT0_PKT1_PT2_15HIP_vector_typeIjLj3EESA_SA_jSA_SA_SA_SA_SA_SA_iiiiiiiiiiiDpT3_
                                        ; -- End function
	.set _ZL19k_bin_bcast_unravelIXadL_ZL9op_repeatffEE6__halfffJEEvPKT0_PKT1_PT2_15HIP_vector_typeIjLj3EESA_SA_jSA_SA_SA_SA_SA_SA_iiiiiiiiiiiDpT3_.num_vgpr, 10
	.set _ZL19k_bin_bcast_unravelIXadL_ZL9op_repeatffEE6__halfffJEEvPKT0_PKT1_PT2_15HIP_vector_typeIjLj3EESA_SA_jSA_SA_SA_SA_SA_SA_iiiiiiiiiiiDpT3_.num_agpr, 0
	.set _ZL19k_bin_bcast_unravelIXadL_ZL9op_repeatffEE6__halfffJEEvPKT0_PKT1_PT2_15HIP_vector_typeIjLj3EESA_SA_jSA_SA_SA_SA_SA_SA_iiiiiiiiiiiDpT3_.numbered_sgpr, 20
	.set _ZL19k_bin_bcast_unravelIXadL_ZL9op_repeatffEE6__halfffJEEvPKT0_PKT1_PT2_15HIP_vector_typeIjLj3EESA_SA_jSA_SA_SA_SA_SA_SA_iiiiiiiiiiiDpT3_.num_named_barrier, 0
	.set _ZL19k_bin_bcast_unravelIXadL_ZL9op_repeatffEE6__halfffJEEvPKT0_PKT1_PT2_15HIP_vector_typeIjLj3EESA_SA_jSA_SA_SA_SA_SA_SA_iiiiiiiiiiiDpT3_.private_seg_size, 0
	.set _ZL19k_bin_bcast_unravelIXadL_ZL9op_repeatffEE6__halfffJEEvPKT0_PKT1_PT2_15HIP_vector_typeIjLj3EESA_SA_jSA_SA_SA_SA_SA_SA_iiiiiiiiiiiDpT3_.uses_vcc, 1
	.set _ZL19k_bin_bcast_unravelIXadL_ZL9op_repeatffEE6__halfffJEEvPKT0_PKT1_PT2_15HIP_vector_typeIjLj3EESA_SA_jSA_SA_SA_SA_SA_SA_iiiiiiiiiiiDpT3_.uses_flat_scratch, 0
	.set _ZL19k_bin_bcast_unravelIXadL_ZL9op_repeatffEE6__halfffJEEvPKT0_PKT1_PT2_15HIP_vector_typeIjLj3EESA_SA_jSA_SA_SA_SA_SA_SA_iiiiiiiiiiiDpT3_.has_dyn_sized_stack, 0
	.set _ZL19k_bin_bcast_unravelIXadL_ZL9op_repeatffEE6__halfffJEEvPKT0_PKT1_PT2_15HIP_vector_typeIjLj3EESA_SA_jSA_SA_SA_SA_SA_SA_iiiiiiiiiiiDpT3_.has_recursion, 0
	.set _ZL19k_bin_bcast_unravelIXadL_ZL9op_repeatffEE6__halfffJEEvPKT0_PKT1_PT2_15HIP_vector_typeIjLj3EESA_SA_jSA_SA_SA_SA_SA_SA_iiiiiiiiiiiDpT3_.has_indirect_call, 0
	.section	.AMDGPU.csdata,"",@progbits
; Kernel info:
; codeLenInByte = 640
; TotalNumSgprs: 22
; NumVgprs: 10
; ScratchSize: 0
; MemoryBound: 0
; FloatMode: 240
; IeeeMode: 1
; LDSByteSize: 0 bytes/workgroup (compile time only)
; SGPRBlocks: 0
; VGPRBlocks: 0
; NumSGPRsForWavesPerEU: 22
; NumVGPRsForWavesPerEU: 10
; NamedBarCnt: 0
; Occupancy: 16
; WaveLimiterHint : 1
; COMPUTE_PGM_RSRC2:SCRATCH_EN: 0
; COMPUTE_PGM_RSRC2:USER_SGPR: 2
; COMPUTE_PGM_RSRC2:TRAP_HANDLER: 0
; COMPUTE_PGM_RSRC2:TGID_X_EN: 1
; COMPUTE_PGM_RSRC2:TGID_Y_EN: 0
; COMPUTE_PGM_RSRC2:TGID_Z_EN: 0
; COMPUTE_PGM_RSRC2:TIDIG_COMP_CNT: 0
	.section	.text._ZL11k_bin_bcastIXadL_ZL9op_repeatffEE6__halfffJEEvPKT0_PKT1_PT2_iii15HIP_vector_typeIjLj3EESA_SA_SA_SA_iiiiiiiiiiiDpT3_,"axG",@progbits,_ZL11k_bin_bcastIXadL_ZL9op_repeatffEE6__halfffJEEvPKT0_PKT1_PT2_iii15HIP_vector_typeIjLj3EESA_SA_SA_SA_iiiiiiiiiiiDpT3_,comdat
	.globl	_ZL11k_bin_bcastIXadL_ZL9op_repeatffEE6__halfffJEEvPKT0_PKT1_PT2_iii15HIP_vector_typeIjLj3EESA_SA_SA_SA_iiiiiiiiiiiDpT3_ ; -- Begin function _ZL11k_bin_bcastIXadL_ZL9op_repeatffEE6__halfffJEEvPKT0_PKT1_PT2_iii15HIP_vector_typeIjLj3EESA_SA_SA_SA_iiiiiiiiiiiDpT3_
	.p2align	8
	.type	_ZL11k_bin_bcastIXadL_ZL9op_repeatffEE6__halfffJEEvPKT0_PKT1_PT2_iii15HIP_vector_typeIjLj3EESA_SA_SA_SA_iiiiiiiiiiiDpT3_,@function
_ZL11k_bin_bcastIXadL_ZL9op_repeatffEE6__halfffJEEvPKT0_PKT1_PT2_iii15HIP_vector_typeIjLj3EESA_SA_SA_SA_iiiiiiiiiiiDpT3_: ; @_ZL11k_bin_bcastIXadL_ZL9op_repeatffEE6__halfffJEEvPKT0_PKT1_PT2_iii15HIP_vector_typeIjLj3EESA_SA_SA_SA_iiiiiiiiiiiDpT3_
; %bb.0:
	s_load_b64 s[2:3], s[0:1], 0x9c
	s_bfe_u32 s5, ttmp6, 0x40014
	s_bfe_u32 s16, ttmp6, 0x40010
	;; [unrolled: 1-line block ×3, first 2 shown]
	s_lshr_b32 s4, ttmp7, 16
	s_and_b32 s7, ttmp7, 0xffff
	s_add_co_i32 s5, s5, 1
	s_add_co_i32 s16, s16, 1
	s_load_b256 s[8:15], s[0:1], 0x18
	s_add_co_i32 s19, s19, 1
	s_bfe_u32 s6, ttmp6, 0x40008
	s_bfe_u32 s17, ttmp6, 0x40004
	s_mul_i32 s5, s4, s5
	s_mul_i32 s16, s7, s16
	s_and_b32 s18, ttmp6, 15
	s_mul_i32 s19, ttmp9, s19
	s_add_co_i32 s6, s6, s5
	s_add_co_i32 s17, s17, s16
	;; [unrolled: 1-line block ×3, first 2 shown]
	v_bfe_u32 v1, v0, 20, 10
	s_wait_kmcnt 0x0
	s_lshr_b32 s5, s2, 16
	s_and_b32 s16, s2, 0xffff
	s_getreg_b32 s2, hwreg(HW_REG_IB_STS2, 6, 4)
	s_and_b32 s3, s3, 0xffff
	s_cmp_eq_u32 s2, 0
	v_bfe_u32 v4, v0, 10, 10
	s_cselect_b32 s2, s4, s6
	s_delay_alu instid0(SALU_CYCLE_1) | instskip(SKIP_2) | instid1(VALU_DEP_1)
	v_mad_u32 v2, s2, s3, v1
	s_cselect_b32 s2, ttmp9, s18
	s_cselect_b32 s3, s7, s17
	v_mul_hi_u32 v1, v2, s11
	s_delay_alu instid0(VALU_DEP_1) | instskip(NEXT) | instid1(VALU_DEP_1)
	v_add_nc_u32_e32 v1, v2, v1
	v_lshrrev_b32_e32 v3, s12, v1
	v_and_b32_e32 v1, 0x3ff, v0
	s_delay_alu instid0(VALU_DEP_2) | instskip(NEXT) | instid1(VALU_DEP_2)
	v_mul_lo_u32 v5, v3, s13
	v_mad_u32 v0, s2, s16, v1
	v_mad_u32 v1, s3, s5, v4
	v_cmp_gt_u32_e64 s3, s10, v3
	s_delay_alu instid0(VALU_DEP_4) | instskip(NEXT) | instid1(VALU_DEP_4)
	v_sub_nc_u32_e32 v2, v2, v5
	v_cmp_gt_u32_e32 vcc_lo, s8, v0
	s_delay_alu instid0(VALU_DEP_4) | instskip(NEXT) | instid1(VALU_DEP_3)
	v_cmp_gt_u32_e64 s2, s9, v1
	v_cmp_gt_u32_e64 s4, s13, v2
	s_and_b32 s2, vcc_lo, s2
	s_delay_alu instid0(SALU_CYCLE_1) | instskip(NEXT) | instid1(SALU_CYCLE_1)
	s_and_b32 s2, s2, s3
	s_and_b32 s2, s2, s4
	s_delay_alu instid0(SALU_CYCLE_1)
	s_and_saveexec_b32 s3, s2
	s_cbranch_execz .LBB7_4
; %bb.1:
	v_cmp_gt_i32_e32 vcc_lo, s8, v0
	s_and_b32 exec_lo, exec_lo, vcc_lo
	s_cbranch_execz .LBB7_4
; %bb.2:
	s_clause 0x3
	s_load_b256 s[20:27], s[0:1], 0x3c
	s_load_b32 s2, s[0:1], 0x5c
	s_load_b96 s[28:30], s[0:1], 0x60
	s_load_b128 s[4:7], s[0:1], 0x7c
	s_wait_kmcnt 0x0
	v_mul_hi_u32 v4, s26, v2
	v_mul_hi_u32 v6, s20, v1
	;; [unrolled: 1-line block ×3, first 2 shown]
	v_mul_lo_u32 v7, v1, s28
	s_delay_alu instid0(VALU_DEP_3) | instskip(NEXT) | instid1(VALU_DEP_1)
	v_dual_add_nc_u32 v4, v2, v4 :: v_dual_add_nc_u32 v6, v1, v6
	v_dual_add_nc_u32 v5, v3, v5 :: v_dual_lshrrev_b32 v4, s27, v4
	s_delay_alu instid0(VALU_DEP_1) | instskip(NEXT) | instid1(VALU_DEP_1)
	v_dual_lshrrev_b32 v6, s21, v6 :: v_dual_lshrrev_b32 v5, s24, v5
	v_mul_lo_u32 v6, v6, s22
	s_load_b128 s[20:23], s[0:1], 0x8
	s_delay_alu instid0(VALU_DEP_3) | instskip(NEXT) | instid1(VALU_DEP_3)
	v_mul_lo_u32 v4, v4, s2
	v_mul_lo_u32 v5, v5, s25
	s_add_nc_u64 s[2:3], s[0:1], 0x90
	s_delay_alu instid0(VALU_DEP_1) | instskip(SKIP_1) | instid1(VALU_DEP_2)
	v_dual_sub_nc_u32 v4, v2, v4 :: v_dual_sub_nc_u32 v5, v3, v5
	v_mad_u32 v3, v3, s29, v7
	v_mul_lo_u32 v4, v4, s7
	s_delay_alu instid0(VALU_DEP_2) | instskip(NEXT) | instid1(VALU_DEP_2)
	v_mad_u32 v2, v2, s30, v3
	v_mad_u32 v4, v5, s6, v4
	s_load_b32 s6, s[2:3], 0x0
	s_load_b32 s7, s[0:1], 0x38
	v_dual_sub_nc_u32 v5, v1, v6 :: v_dual_mov_b32 v1, 0
	s_wait_xcnt 0x0
	s_mov_b32 s1, 0
	s_mov_b32 s0, s14
	s_delay_alu instid0(VALU_DEP_1) | instskip(NEXT) | instid1(VALU_DEP_3)
	v_mov_b32_e32 v3, v1
	v_mad_u32 v4, v5, s5, v4
	v_mov_b32_e32 v5, v1
	s_wait_kmcnt 0x0
	s_delay_alu instid0(VALU_DEP_3) | instskip(SKIP_3) | instid1(VALU_DEP_3)
	v_lshl_add_u64 v[2:3], v[2:3], 2, s[22:23]
	s_mov_b32 s5, s1
	s_mul_i32 s2, s6, s16
	s_sub_co_i32 s3, 0, s7
	v_lshl_add_u64 v[4:5], v[4:5], 2, s[20:21]
.LBB7_3:                                ; =>This Inner Loop Header: Depth=1
	v_mul_u64_e32 v[6:7], s[0:1], v[0:1]
	s_delay_alu instid0(VALU_DEP_1) | instskip(NEXT) | instid1(VALU_DEP_1)
	v_dual_mov_b32 v7, v1 :: v_dual_add_nc_u32 v6, v0, v7
	v_lshrrev_b32_e32 v6, s15, v6
	s_delay_alu instid0(VALU_DEP_1) | instskip(NEXT) | instid1(VALU_DEP_1)
	v_mad_u32 v6, s3, v6, v0
	v_mul_lo_u32 v6, v6, s4
	s_delay_alu instid0(VALU_DEP_1) | instskip(SKIP_4) | instid1(VALU_DEP_2)
	v_lshl_add_u64 v[6:7], v[6:7], 2, v[4:5]
	global_load_b32 v8, v[6:7], off
	s_wait_xcnt 0x0
	v_dual_mov_b32 v6, v0 :: v_dual_ashrrev_i32 v7, 31, v0
	v_add_nc_u32_e32 v0, s2, v0
	v_lshl_add_u64 v[6:7], v[6:7], 2, v[2:3]
	s_delay_alu instid0(VALU_DEP_2)
	v_cmp_le_i32_e32 vcc_lo, s8, v0
	s_or_b32 s5, vcc_lo, s5
	s_wait_loadcnt 0x0
	global_store_b32 v[6:7], v8, off
	s_wait_xcnt 0x0
	s_and_not1_b32 exec_lo, exec_lo, s5
	s_cbranch_execnz .LBB7_3
.LBB7_4:
	s_endpgm
	.section	.rodata,"a",@progbits
	.p2align	6, 0x0
	.amdhsa_kernel _ZL11k_bin_bcastIXadL_ZL9op_repeatffEE6__halfffJEEvPKT0_PKT1_PT2_iii15HIP_vector_typeIjLj3EESA_SA_SA_SA_iiiiiiiiiiiDpT3_
		.amdhsa_group_segment_fixed_size 0
		.amdhsa_private_segment_fixed_size 0
		.amdhsa_kernarg_size 400
		.amdhsa_user_sgpr_count 2
		.amdhsa_user_sgpr_dispatch_ptr 0
		.amdhsa_user_sgpr_queue_ptr 0
		.amdhsa_user_sgpr_kernarg_segment_ptr 1
		.amdhsa_user_sgpr_dispatch_id 0
		.amdhsa_user_sgpr_kernarg_preload_length 0
		.amdhsa_user_sgpr_kernarg_preload_offset 0
		.amdhsa_user_sgpr_private_segment_size 0
		.amdhsa_wavefront_size32 1
		.amdhsa_uses_dynamic_stack 0
		.amdhsa_enable_private_segment 0
		.amdhsa_system_sgpr_workgroup_id_x 1
		.amdhsa_system_sgpr_workgroup_id_y 1
		.amdhsa_system_sgpr_workgroup_id_z 1
		.amdhsa_system_sgpr_workgroup_info 0
		.amdhsa_system_vgpr_workitem_id 2
		.amdhsa_next_free_vgpr 9
		.amdhsa_next_free_sgpr 31
		.amdhsa_named_barrier_count 0
		.amdhsa_reserve_vcc 1
		.amdhsa_float_round_mode_32 0
		.amdhsa_float_round_mode_16_64 0
		.amdhsa_float_denorm_mode_32 3
		.amdhsa_float_denorm_mode_16_64 3
		.amdhsa_fp16_overflow 0
		.amdhsa_memory_ordered 1
		.amdhsa_forward_progress 1
		.amdhsa_inst_pref_size 6
		.amdhsa_round_robin_scheduling 0
		.amdhsa_exception_fp_ieee_invalid_op 0
		.amdhsa_exception_fp_denorm_src 0
		.amdhsa_exception_fp_ieee_div_zero 0
		.amdhsa_exception_fp_ieee_overflow 0
		.amdhsa_exception_fp_ieee_underflow 0
		.amdhsa_exception_fp_ieee_inexact 0
		.amdhsa_exception_int_div_zero 0
	.end_amdhsa_kernel
	.section	.text._ZL11k_bin_bcastIXadL_ZL9op_repeatffEE6__halfffJEEvPKT0_PKT1_PT2_iii15HIP_vector_typeIjLj3EESA_SA_SA_SA_iiiiiiiiiiiDpT3_,"axG",@progbits,_ZL11k_bin_bcastIXadL_ZL9op_repeatffEE6__halfffJEEvPKT0_PKT1_PT2_iii15HIP_vector_typeIjLj3EESA_SA_SA_SA_iiiiiiiiiiiDpT3_,comdat
.Lfunc_end7:
	.size	_ZL11k_bin_bcastIXadL_ZL9op_repeatffEE6__halfffJEEvPKT0_PKT1_PT2_iii15HIP_vector_typeIjLj3EESA_SA_SA_SA_iiiiiiiiiiiDpT3_, .Lfunc_end7-_ZL11k_bin_bcastIXadL_ZL9op_repeatffEE6__halfffJEEvPKT0_PKT1_PT2_iii15HIP_vector_typeIjLj3EESA_SA_SA_SA_iiiiiiiiiiiDpT3_
                                        ; -- End function
	.set _ZL11k_bin_bcastIXadL_ZL9op_repeatffEE6__halfffJEEvPKT0_PKT1_PT2_iii15HIP_vector_typeIjLj3EESA_SA_SA_SA_iiiiiiiiiiiDpT3_.num_vgpr, 9
	.set _ZL11k_bin_bcastIXadL_ZL9op_repeatffEE6__halfffJEEvPKT0_PKT1_PT2_iii15HIP_vector_typeIjLj3EESA_SA_SA_SA_iiiiiiiiiiiDpT3_.num_agpr, 0
	.set _ZL11k_bin_bcastIXadL_ZL9op_repeatffEE6__halfffJEEvPKT0_PKT1_PT2_iii15HIP_vector_typeIjLj3EESA_SA_SA_SA_iiiiiiiiiiiDpT3_.numbered_sgpr, 31
	.set _ZL11k_bin_bcastIXadL_ZL9op_repeatffEE6__halfffJEEvPKT0_PKT1_PT2_iii15HIP_vector_typeIjLj3EESA_SA_SA_SA_iiiiiiiiiiiDpT3_.num_named_barrier, 0
	.set _ZL11k_bin_bcastIXadL_ZL9op_repeatffEE6__halfffJEEvPKT0_PKT1_PT2_iii15HIP_vector_typeIjLj3EESA_SA_SA_SA_iiiiiiiiiiiDpT3_.private_seg_size, 0
	.set _ZL11k_bin_bcastIXadL_ZL9op_repeatffEE6__halfffJEEvPKT0_PKT1_PT2_iii15HIP_vector_typeIjLj3EESA_SA_SA_SA_iiiiiiiiiiiDpT3_.uses_vcc, 1
	.set _ZL11k_bin_bcastIXadL_ZL9op_repeatffEE6__halfffJEEvPKT0_PKT1_PT2_iii15HIP_vector_typeIjLj3EESA_SA_SA_SA_iiiiiiiiiiiDpT3_.uses_flat_scratch, 0
	.set _ZL11k_bin_bcastIXadL_ZL9op_repeatffEE6__halfffJEEvPKT0_PKT1_PT2_iii15HIP_vector_typeIjLj3EESA_SA_SA_SA_iiiiiiiiiiiDpT3_.has_dyn_sized_stack, 0
	.set _ZL11k_bin_bcastIXadL_ZL9op_repeatffEE6__halfffJEEvPKT0_PKT1_PT2_iii15HIP_vector_typeIjLj3EESA_SA_SA_SA_iiiiiiiiiiiDpT3_.has_recursion, 0
	.set _ZL11k_bin_bcastIXadL_ZL9op_repeatffEE6__halfffJEEvPKT0_PKT1_PT2_iii15HIP_vector_typeIjLj3EESA_SA_SA_SA_iiiiiiiiiiiDpT3_.has_indirect_call, 0
	.section	.AMDGPU.csdata,"",@progbits
; Kernel info:
; codeLenInByte = 756
; TotalNumSgprs: 33
; NumVgprs: 9
; ScratchSize: 0
; MemoryBound: 0
; FloatMode: 240
; IeeeMode: 1
; LDSByteSize: 0 bytes/workgroup (compile time only)
; SGPRBlocks: 0
; VGPRBlocks: 0
; NumSGPRsForWavesPerEU: 33
; NumVGPRsForWavesPerEU: 9
; NamedBarCnt: 0
; Occupancy: 16
; WaveLimiterHint : 1
; COMPUTE_PGM_RSRC2:SCRATCH_EN: 0
; COMPUTE_PGM_RSRC2:USER_SGPR: 2
; COMPUTE_PGM_RSRC2:TRAP_HANDLER: 0
; COMPUTE_PGM_RSRC2:TGID_X_EN: 1
; COMPUTE_PGM_RSRC2:TGID_Y_EN: 1
; COMPUTE_PGM_RSRC2:TGID_Z_EN: 1
; COMPUTE_PGM_RSRC2:TIDIG_COMP_CNT: 2
	.section	.text._ZL19k_bin_bcast_unravelIXadL_ZL6op_addffEEfffJPKfEEvPKT0_PKT1_PT2_15HIP_vector_typeIjLj3EESB_SB_jSB_SB_SB_SB_SB_SB_iiiiiiiiiiiDpT3_,"axG",@progbits,_ZL19k_bin_bcast_unravelIXadL_ZL6op_addffEEfffJPKfEEvPKT0_PKT1_PT2_15HIP_vector_typeIjLj3EESB_SB_jSB_SB_SB_SB_SB_SB_iiiiiiiiiiiDpT3_,comdat
	.globl	_ZL19k_bin_bcast_unravelIXadL_ZL6op_addffEEfffJPKfEEvPKT0_PKT1_PT2_15HIP_vector_typeIjLj3EESB_SB_jSB_SB_SB_SB_SB_SB_iiiiiiiiiiiDpT3_ ; -- Begin function _ZL19k_bin_bcast_unravelIXadL_ZL6op_addffEEfffJPKfEEvPKT0_PKT1_PT2_15HIP_vector_typeIjLj3EESB_SB_jSB_SB_SB_SB_SB_SB_iiiiiiiiiiiDpT3_
	.p2align	8
	.type	_ZL19k_bin_bcast_unravelIXadL_ZL6op_addffEEfffJPKfEEvPKT0_PKT1_PT2_15HIP_vector_typeIjLj3EESB_SB_jSB_SB_SB_SB_SB_SB_iiiiiiiiiiiDpT3_,@function
_ZL19k_bin_bcast_unravelIXadL_ZL6op_addffEEfffJPKfEEvPKT0_PKT1_PT2_15HIP_vector_typeIjLj3EESB_SB_jSB_SB_SB_SB_SB_SB_iiiiiiiiiiiDpT3_: ; @_ZL19k_bin_bcast_unravelIXadL_ZL6op_addffEEfffJPKfEEvPKT0_PKT1_PT2_15HIP_vector_typeIjLj3EESB_SB_jSB_SB_SB_SB_SB_SB_iiiiiiiiiiiDpT3_
; %bb.0:
	s_load_b32 s2, s[0:1], 0xcc
	s_bfe_u32 s3, ttmp6, 0x4000c
	s_load_b256 s[4:11], s[0:1], 0x38
	s_add_co_i32 s3, s3, 1
	s_and_b32 s12, ttmp6, 15
	s_mul_i32 s3, ttmp9, s3
	s_getreg_b32 s13, hwreg(HW_REG_IB_STS2, 6, 4)
	s_add_co_i32 s12, s12, s3
	s_wait_kmcnt 0x0
	s_and_b32 s2, s2, 0xffff
	s_cmp_eq_u32 s13, 0
	s_cselect_b32 s3, ttmp9, s12
	s_delay_alu instid0(SALU_CYCLE_1) | instskip(SKIP_1) | instid1(VALU_DEP_1)
	v_mad_u32 v0, s3, s2, v0
	s_load_b32 s2, s[0:1], 0x2c
	v_mul_hi_u32 v1, v0, s6
	s_delay_alu instid0(VALU_DEP_1) | instskip(NEXT) | instid1(VALU_DEP_1)
	v_add_nc_u32_e32 v1, v0, v1
	v_lshrrev_b32_e32 v1, s7, v1
	s_delay_alu instid0(VALU_DEP_1) | instskip(NEXT) | instid1(VALU_DEP_1)
	v_mul_lo_u32 v2, v1, s8
	v_sub_nc_u32_e32 v0, v0, v2
	s_delay_alu instid0(VALU_DEP_1) | instskip(NEXT) | instid1(VALU_DEP_1)
	v_mul_hi_u32 v2, v0, s9
	v_add_nc_u32_e32 v2, v0, v2
	s_delay_alu instid0(VALU_DEP_1) | instskip(SKIP_1) | instid1(VALU_DEP_1)
	v_lshrrev_b32_e32 v2, s10, v2
	s_load_b96 s[8:10], s[0:1], 0x18
	v_mul_lo_u32 v3, v2, s11
	s_delay_alu instid0(VALU_DEP_1) | instskip(SKIP_3) | instid1(VALU_DEP_3)
	v_sub_nc_u32_e32 v0, v0, v3
	v_cmp_gt_u32_e64 s3, s4, v2
	v_cmp_gt_u32_e64 s4, s5, v1
	s_wait_kmcnt 0x0
	v_mul_hi_u32 v3, v0, s8
	s_delay_alu instid0(VALU_DEP_1) | instskip(NEXT) | instid1(VALU_DEP_1)
	v_add_nc_u32_e32 v3, v0, v3
	v_lshrrev_b32_e32 v4, s9, v3
	s_delay_alu instid0(VALU_DEP_1) | instskip(NEXT) | instid1(VALU_DEP_1)
	v_mul_lo_u32 v3, v4, s10
	v_sub_nc_u32_e32 v0, v0, v3
	v_cmp_gt_u32_e64 s2, s2, v4
	s_delay_alu instid0(VALU_DEP_2) | instskip(SKIP_1) | instid1(SALU_CYCLE_1)
	v_cmp_gt_u32_e32 vcc_lo, s10, v0
	s_and_b32 s2, vcc_lo, s2
	s_and_b32 s2, s2, s3
	s_delay_alu instid0(SALU_CYCLE_1) | instskip(NEXT) | instid1(SALU_CYCLE_1)
	s_and_b32 s2, s4, s2
	s_and_saveexec_b32 s3, s2
	s_cbranch_execz .LBB8_4
; %bb.1:
	s_clause 0x4
	s_load_b64 s[2:3], s[0:1], 0x0
	s_load_b96 s[24:26], s[0:1], 0xa8
	s_load_b256 s[4:11], s[0:1], 0x88
	s_load_b128 s[20:23], s[0:1], 0x78
	s_load_b256 s[12:19], s[0:1], 0x58
	v_dual_mov_b32 v3, 0 :: v_dual_mov_b32 v5, 0
	s_wait_kmcnt 0x0
	s_cmp_eq_u64 s[2:3], 0
	s_cbranch_scc1 .LBB8_3
; %bb.2:
	v_mul_lo_u32 v5, v1, s10
	v_mov_b32_e32 v7, 0
	s_delay_alu instid0(VALU_DEP_2) | instskip(NEXT) | instid1(VALU_DEP_1)
	v_mad_u32 v5, v2, s9, v5
	v_mad_u32 v6, v4, s8, v5
	s_delay_alu instid0(VALU_DEP_1) | instskip(SKIP_1) | instid1(VALU_DEP_1)
	v_lshl_add_u64 v[8:9], v[6:7], 2, s[2:3]
	v_mul_lo_u32 v6, v0, s7
	v_lshl_add_u64 v[6:7], v[6:7], 2, v[8:9]
	global_load_b32 v5, v[6:7], off
.LBB8_3:
	s_wait_xcnt 0x0
	v_mul_hi_u32 v6, s21, v1
	v_mul_hi_u32 v7, s18, v2
	;; [unrolled: 1-line block ×4, first 2 shown]
	s_load_b64 s[2:3], s[0:1], 0xb8
	s_delay_alu instid0(VALU_DEP_3) | instskip(SKIP_2) | instid1(VALU_DEP_3)
	v_dual_add_nc_u32 v6, v1, v6 :: v_dual_add_nc_u32 v7, v2, v7
	s_wait_xcnt 0x0
	s_load_b64 s[0:1], s[0:1], 0x10
	v_add_nc_u32_e32 v8, v4, v8
	s_delay_alu instid0(VALU_DEP_2) | instskip(NEXT) | instid1(VALU_DEP_2)
	v_dual_add_nc_u32 v9, v0, v9 :: v_dual_lshrrev_b32 v6, s22, v6
	v_dual_lshrrev_b32 v7, s19, v7 :: v_dual_lshrrev_b32 v8, s16, v8
	s_delay_alu instid0(VALU_DEP_2) | instskip(NEXT) | instid1(VALU_DEP_2)
	v_mul_lo_u32 v6, v6, s23
	v_mul_lo_u32 v7, v7, s20
	s_delay_alu instid0(VALU_DEP_4) | instskip(NEXT) | instid1(VALU_DEP_4)
	v_lshrrev_b32_e32 v9, s13, v9
	v_mul_lo_u32 v8, v8, s17
	s_delay_alu instid0(VALU_DEP_3) | instskip(NEXT) | instid1(VALU_DEP_3)
	v_dual_sub_nc_u32 v6, v1, v6 :: v_dual_sub_nc_u32 v7, v2, v7
	v_mul_lo_u32 v9, v9, s14
	v_mul_lo_u32 v1, v1, s6
	s_delay_alu instid0(VALU_DEP_3) | instskip(NEXT) | instid1(VALU_DEP_2)
	v_mul_lo_u32 v6, v6, s26
	v_mad_u32 v1, v2, s5, v1
	s_delay_alu instid0(VALU_DEP_2) | instskip(SKIP_2) | instid1(VALU_DEP_1)
	v_mad_u32 v6, v7, s25, v6
	v_sub_nc_u32_e32 v7, v4, v8
	v_sub_nc_u32_e32 v8, v0, v9
	v_mul_lo_u32 v8, v8, s11
	v_mad_u32 v2, v4, s4, v1
	s_delay_alu instid0(VALU_DEP_2) | instskip(SKIP_1) | instid1(VALU_DEP_1)
	v_ashrrev_i32_e32 v9, 31, v8
	v_mad_u32 v6, v7, s24, v6
	v_ashrrev_i32_e32 v7, 31, v6
	s_wait_kmcnt 0x0
	s_delay_alu instid0(VALU_DEP_1) | instskip(NEXT) | instid1(VALU_DEP_1)
	v_lshl_add_u64 v[6:7], v[6:7], 2, s[2:3]
	v_lshl_add_u64 v[6:7], v[8:9], 2, v[6:7]
	global_load_b32 v6, v[6:7], off
	v_mov_b32_e32 v1, v3
	v_lshl_add_u64 v[2:3], v[2:3], 2, s[0:1]
	s_wait_loadcnt 0x0
	v_add_f32_e32 v4, v5, v6
	s_delay_alu instid0(VALU_DEP_2)
	v_lshl_add_u64 v[0:1], v[0:1], 2, v[2:3]
	global_store_b32 v[0:1], v4, off
.LBB8_4:
	s_endpgm
	.section	.rodata,"a",@progbits
	.p2align	6, 0x0
	.amdhsa_kernel _ZL19k_bin_bcast_unravelIXadL_ZL6op_addffEEfffJPKfEEvPKT0_PKT1_PT2_15HIP_vector_typeIjLj3EESB_SB_jSB_SB_SB_SB_SB_SB_iiiiiiiiiiiDpT3_
		.amdhsa_group_segment_fixed_size 0
		.amdhsa_private_segment_fixed_size 0
		.amdhsa_kernarg_size 448
		.amdhsa_user_sgpr_count 2
		.amdhsa_user_sgpr_dispatch_ptr 0
		.amdhsa_user_sgpr_queue_ptr 0
		.amdhsa_user_sgpr_kernarg_segment_ptr 1
		.amdhsa_user_sgpr_dispatch_id 0
		.amdhsa_user_sgpr_kernarg_preload_length 0
		.amdhsa_user_sgpr_kernarg_preload_offset 0
		.amdhsa_user_sgpr_private_segment_size 0
		.amdhsa_wavefront_size32 1
		.amdhsa_uses_dynamic_stack 0
		.amdhsa_enable_private_segment 0
		.amdhsa_system_sgpr_workgroup_id_x 1
		.amdhsa_system_sgpr_workgroup_id_y 0
		.amdhsa_system_sgpr_workgroup_id_z 0
		.amdhsa_system_sgpr_workgroup_info 0
		.amdhsa_system_vgpr_workitem_id 0
		.amdhsa_next_free_vgpr 10
		.amdhsa_next_free_sgpr 27
		.amdhsa_named_barrier_count 0
		.amdhsa_reserve_vcc 1
		.amdhsa_float_round_mode_32 0
		.amdhsa_float_round_mode_16_64 0
		.amdhsa_float_denorm_mode_32 3
		.amdhsa_float_denorm_mode_16_64 3
		.amdhsa_fp16_overflow 0
		.amdhsa_memory_ordered 1
		.amdhsa_forward_progress 1
		.amdhsa_inst_pref_size 6
		.amdhsa_round_robin_scheduling 0
		.amdhsa_exception_fp_ieee_invalid_op 0
		.amdhsa_exception_fp_denorm_src 0
		.amdhsa_exception_fp_ieee_div_zero 0
		.amdhsa_exception_fp_ieee_overflow 0
		.amdhsa_exception_fp_ieee_underflow 0
		.amdhsa_exception_fp_ieee_inexact 0
		.amdhsa_exception_int_div_zero 0
	.end_amdhsa_kernel
	.section	.text._ZL19k_bin_bcast_unravelIXadL_ZL6op_addffEEfffJPKfEEvPKT0_PKT1_PT2_15HIP_vector_typeIjLj3EESB_SB_jSB_SB_SB_SB_SB_SB_iiiiiiiiiiiDpT3_,"axG",@progbits,_ZL19k_bin_bcast_unravelIXadL_ZL6op_addffEEfffJPKfEEvPKT0_PKT1_PT2_15HIP_vector_typeIjLj3EESB_SB_jSB_SB_SB_SB_SB_SB_iiiiiiiiiiiDpT3_,comdat
.Lfunc_end8:
	.size	_ZL19k_bin_bcast_unravelIXadL_ZL6op_addffEEfffJPKfEEvPKT0_PKT1_PT2_15HIP_vector_typeIjLj3EESB_SB_jSB_SB_SB_SB_SB_SB_iiiiiiiiiiiDpT3_, .Lfunc_end8-_ZL19k_bin_bcast_unravelIXadL_ZL6op_addffEEfffJPKfEEvPKT0_PKT1_PT2_15HIP_vector_typeIjLj3EESB_SB_jSB_SB_SB_SB_SB_SB_iiiiiiiiiiiDpT3_
                                        ; -- End function
	.set _ZL19k_bin_bcast_unravelIXadL_ZL6op_addffEEfffJPKfEEvPKT0_PKT1_PT2_15HIP_vector_typeIjLj3EESB_SB_jSB_SB_SB_SB_SB_SB_iiiiiiiiiiiDpT3_.num_vgpr, 10
	.set _ZL19k_bin_bcast_unravelIXadL_ZL6op_addffEEfffJPKfEEvPKT0_PKT1_PT2_15HIP_vector_typeIjLj3EESB_SB_jSB_SB_SB_SB_SB_SB_iiiiiiiiiiiDpT3_.num_agpr, 0
	.set _ZL19k_bin_bcast_unravelIXadL_ZL6op_addffEEfffJPKfEEvPKT0_PKT1_PT2_15HIP_vector_typeIjLj3EESB_SB_jSB_SB_SB_SB_SB_SB_iiiiiiiiiiiDpT3_.numbered_sgpr, 27
	.set _ZL19k_bin_bcast_unravelIXadL_ZL6op_addffEEfffJPKfEEvPKT0_PKT1_PT2_15HIP_vector_typeIjLj3EESB_SB_jSB_SB_SB_SB_SB_SB_iiiiiiiiiiiDpT3_.num_named_barrier, 0
	.set _ZL19k_bin_bcast_unravelIXadL_ZL6op_addffEEfffJPKfEEvPKT0_PKT1_PT2_15HIP_vector_typeIjLj3EESB_SB_jSB_SB_SB_SB_SB_SB_iiiiiiiiiiiDpT3_.private_seg_size, 0
	.set _ZL19k_bin_bcast_unravelIXadL_ZL6op_addffEEfffJPKfEEvPKT0_PKT1_PT2_15HIP_vector_typeIjLj3EESB_SB_jSB_SB_SB_SB_SB_SB_iiiiiiiiiiiDpT3_.uses_vcc, 1
	.set _ZL19k_bin_bcast_unravelIXadL_ZL6op_addffEEfffJPKfEEvPKT0_PKT1_PT2_15HIP_vector_typeIjLj3EESB_SB_jSB_SB_SB_SB_SB_SB_iiiiiiiiiiiDpT3_.uses_flat_scratch, 0
	.set _ZL19k_bin_bcast_unravelIXadL_ZL6op_addffEEfffJPKfEEvPKT0_PKT1_PT2_15HIP_vector_typeIjLj3EESB_SB_jSB_SB_SB_SB_SB_SB_iiiiiiiiiiiDpT3_.has_dyn_sized_stack, 0
	.set _ZL19k_bin_bcast_unravelIXadL_ZL6op_addffEEfffJPKfEEvPKT0_PKT1_PT2_15HIP_vector_typeIjLj3EESB_SB_jSB_SB_SB_SB_SB_SB_iiiiiiiiiiiDpT3_.has_recursion, 0
	.set _ZL19k_bin_bcast_unravelIXadL_ZL6op_addffEEfffJPKfEEvPKT0_PKT1_PT2_15HIP_vector_typeIjLj3EESB_SB_jSB_SB_SB_SB_SB_SB_iiiiiiiiiiiDpT3_.has_indirect_call, 0
	.section	.AMDGPU.csdata,"",@progbits
; Kernel info:
; codeLenInByte = 736
; TotalNumSgprs: 29
; NumVgprs: 10
; ScratchSize: 0
; MemoryBound: 0
; FloatMode: 240
; IeeeMode: 1
; LDSByteSize: 0 bytes/workgroup (compile time only)
; SGPRBlocks: 0
; VGPRBlocks: 0
; NumSGPRsForWavesPerEU: 29
; NumVGPRsForWavesPerEU: 10
; NamedBarCnt: 0
; Occupancy: 16
; WaveLimiterHint : 1
; COMPUTE_PGM_RSRC2:SCRATCH_EN: 0
; COMPUTE_PGM_RSRC2:USER_SGPR: 2
; COMPUTE_PGM_RSRC2:TRAP_HANDLER: 0
; COMPUTE_PGM_RSRC2:TGID_X_EN: 1
; COMPUTE_PGM_RSRC2:TGID_Y_EN: 0
; COMPUTE_PGM_RSRC2:TGID_Z_EN: 0
; COMPUTE_PGM_RSRC2:TIDIG_COMP_CNT: 0
	.section	.text._ZL11k_bin_bcastIXadL_ZL6op_addffEEfffJPKfEEvPKT0_PKT1_PT2_iii15HIP_vector_typeIjLj3EESB_SB_SB_SB_iiiiiiiiiiiDpT3_,"axG",@progbits,_ZL11k_bin_bcastIXadL_ZL6op_addffEEfffJPKfEEvPKT0_PKT1_PT2_iii15HIP_vector_typeIjLj3EESB_SB_SB_SB_iiiiiiiiiiiDpT3_,comdat
	.globl	_ZL11k_bin_bcastIXadL_ZL6op_addffEEfffJPKfEEvPKT0_PKT1_PT2_iii15HIP_vector_typeIjLj3EESB_SB_SB_SB_iiiiiiiiiiiDpT3_ ; -- Begin function _ZL11k_bin_bcastIXadL_ZL6op_addffEEfffJPKfEEvPKT0_PKT1_PT2_iii15HIP_vector_typeIjLj3EESB_SB_SB_SB_iiiiiiiiiiiDpT3_
	.p2align	8
	.type	_ZL11k_bin_bcastIXadL_ZL6op_addffEEfffJPKfEEvPKT0_PKT1_PT2_iii15HIP_vector_typeIjLj3EESB_SB_SB_SB_iiiiiiiiiiiDpT3_,@function
_ZL11k_bin_bcastIXadL_ZL6op_addffEEfffJPKfEEvPKT0_PKT1_PT2_iii15HIP_vector_typeIjLj3EESB_SB_SB_SB_iiiiiiiiiiiDpT3_: ; @_ZL11k_bin_bcastIXadL_ZL6op_addffEEfffJPKfEEvPKT0_PKT1_PT2_iii15HIP_vector_typeIjLj3EESB_SB_SB_SB_iiiiiiiiiiiDpT3_
; %bb.0:
	s_load_b64 s[2:3], s[0:1], 0xa4
	s_bfe_u32 s5, ttmp6, 0x40014
	s_bfe_u32 s16, ttmp6, 0x40010
	;; [unrolled: 1-line block ×3, first 2 shown]
	s_lshr_b32 s4, ttmp7, 16
	s_and_b32 s7, ttmp7, 0xffff
	s_add_co_i32 s5, s5, 1
	s_add_co_i32 s16, s16, 1
	s_load_b256 s[8:15], s[0:1], 0x18
	s_add_co_i32 s19, s19, 1
	s_bfe_u32 s6, ttmp6, 0x40008
	s_bfe_u32 s17, ttmp6, 0x40004
	s_mul_i32 s5, s4, s5
	s_mul_i32 s16, s7, s16
	s_and_b32 s18, ttmp6, 15
	s_mul_i32 s19, ttmp9, s19
	s_add_co_i32 s6, s6, s5
	s_add_co_i32 s17, s17, s16
	;; [unrolled: 1-line block ×3, first 2 shown]
	v_bfe_u32 v1, v0, 20, 10
	s_wait_kmcnt 0x0
	s_lshr_b32 s16, s2, 16
	s_and_b32 s5, s2, 0xffff
	s_getreg_b32 s2, hwreg(HW_REG_IB_STS2, 6, 4)
	s_and_b32 s3, s3, 0xffff
	s_cmp_eq_u32 s2, 0
	v_and_b32_e32 v3, 0x3ff, v0
	s_cselect_b32 s2, s4, s6
	v_bfe_u32 v4, v0, 10, 10
	v_mad_u32 v2, s2, s3, v1
	s_cselect_b32 s2, ttmp9, s18
	s_cselect_b32 s3, s7, s17
	v_mad_u32 v0, s2, s5, v3
	v_mad_u32 v3, s3, s16, v4
	s_delay_alu instid0(VALU_DEP_3) | instskip(NEXT) | instid1(VALU_DEP_3)
	v_mul_hi_u32 v1, v2, s11
	v_cmp_gt_u32_e32 vcc_lo, s8, v0
	s_delay_alu instid0(VALU_DEP_3) | instskip(SKIP_2) | instid1(VALU_DEP_1)
	v_cmp_gt_u32_e64 s2, s9, v3
	s_and_b32 s2, vcc_lo, s2
	v_add_nc_u32_e32 v1, v2, v1
	v_lshrrev_b32_e32 v1, s12, v1
	s_delay_alu instid0(VALU_DEP_1) | instskip(SKIP_3) | instid1(VALU_DEP_1)
	v_mul_lo_u32 v5, v1, s13
	v_cmp_gt_u32_e64 s3, s10, v1
	s_and_b32 s2, s2, s3
	v_sub_nc_u32_e32 v2, v2, v5
	v_cmp_gt_u32_e64 s4, s13, v2
	s_and_b32 s2, s2, s4
	s_delay_alu instid0(SALU_CYCLE_1)
	s_and_saveexec_b32 s3, s2
	s_cbranch_execz .LBB9_6
; %bb.1:
	v_cmp_gt_i32_e32 vcc_lo, s8, v0
	s_and_b32 exec_lo, exec_lo, vcc_lo
	s_cbranch_execz .LBB9_6
; %bb.2:
	s_clause 0x4
	s_load_b256 s[24:31], s[0:1], 0x3c
	s_load_b32 s2, s[0:1], 0x5c
	s_load_b256 s[16:23], s[0:1], 0x60
	s_load_b96 s[36:38], s[0:1], 0x80
	s_load_b64 s[6:7], s[0:1], 0x90
	s_wait_kmcnt 0x0
	v_mul_hi_u32 v4, s30, v2
	v_mul_hi_u32 v5, s27, v1
	;; [unrolled: 1-line block ×3, first 2 shown]
	v_mul_lo_u32 v7, v3, s20
	v_mul_lo_u32 v8, v3, s16
	s_delay_alu instid0(VALU_DEP_4) | instskip(NEXT) | instid1(VALU_DEP_3)
	v_dual_add_nc_u32 v4, v2, v4 :: v_dual_add_nc_u32 v5, v1, v5
	v_mad_u32 v7, v1, s21, v7
	s_delay_alu instid0(VALU_DEP_3) | instskip(NEXT) | instid1(VALU_DEP_3)
	v_mad_u32 v8, v1, s17, v8
	v_dual_lshrrev_b32 v4, s31, v4 :: v_dual_lshrrev_b32 v5, s28, v5
	s_delay_alu instid0(VALU_DEP_1) | instskip(SKIP_1) | instid1(VALU_DEP_3)
	v_mul_lo_u32 v4, v4, s2
	v_add_nc_u32_e32 v6, v3, v6
	v_mul_lo_u32 v5, v5, s29
	s_add_nc_u64 s[2:3], s[0:1], 0x98
	s_load_b64 s[10:11], s[0:1], 0x0
	s_load_b32 s4, s[2:3], 0x0
	s_clause 0x1
	s_load_b64 s[12:13], s[0:1], 0x10
	s_load_b32 s9, s[0:1], 0x38
	s_wait_xcnt 0x0
	s_mov_b32 s1, 0
	s_mov_b32 s0, s14
	v_dual_sub_nc_u32 v4, v2, v4 :: v_dual_lshrrev_b32 v6, s25, v6
	v_dual_sub_nc_u32 v5, v1, v5 :: v_dual_mov_b32 v1, 0
	s_delay_alu instid0(VALU_DEP_2) | instskip(NEXT) | instid1(VALU_DEP_3)
	v_mul_lo_u32 v4, v4, s38
	v_mul_lo_u32 v6, v6, s26
	s_delay_alu instid0(VALU_DEP_3)
	v_mov_b32_e32 v9, v1
	s_wait_kmcnt 0x0
	s_cmp_lg_u64 s[10:11], 0
	s_mul_i32 s2, s4, s5
	s_cselect_b32 s3, -1, 0
	s_mul_i32 s4, s2, s19
	s_delay_alu instid0(VALU_DEP_3) | instskip(NEXT) | instid1(VALU_DEP_3)
	v_mad_u32 v5, v5, s37, v4
	v_sub_nc_u32_e32 v3, v3, v6
	v_mad_u32 v4, v2, s22, v7
	v_mad_u32 v6, v2, s18, v8
	v_mul_lo_u32 v2, s19, v0
	s_sub_co_i32 s5, 0, s9
	v_mov_b32_e32 v7, v1
	v_mad_u32 v8, v3, s36, v5
	v_mov_b32_e32 v5, v1
	s_delay_alu instid0(VALU_DEP_3) | instskip(NEXT) | instid1(VALU_DEP_2)
	v_lshl_add_u64 v[6:7], v[6:7], 2, s[12:13]
	v_lshl_add_u64 v[4:5], v[4:5], 2, s[10:11]
	s_delay_alu instid0(VALU_DEP_4)
	v_lshl_add_u64 v[8:9], v[8:9], 2, s[6:7]
	s_mov_b32 s6, s1
	s_branch .LBB9_4
.LBB9_3:                                ;   in Loop: Header=BB9_4 Depth=1
	s_wait_xcnt 0x0
	v_mul_u64_e32 v[10:11], s[0:1], v[0:1]
	s_delay_alu instid0(VALU_DEP_1) | instskip(NEXT) | instid1(VALU_DEP_1)
	v_dual_add_nc_u32 v2, s4, v2 :: v_dual_add_nc_u32 v10, v0, v11
	v_dual_mov_b32 v11, v1 :: v_dual_lshrrev_b32 v10, s15, v10
	s_delay_alu instid0(VALU_DEP_1) | instskip(NEXT) | instid1(VALU_DEP_1)
	v_mad_u32 v10, s5, v10, v0
	v_mul_lo_u32 v10, v10, s23
	s_delay_alu instid0(VALU_DEP_1) | instskip(SKIP_4) | instid1(VALU_DEP_2)
	v_lshl_add_u64 v[10:11], v[10:11], 2, v[8:9]
	global_load_b32 v12, v[10:11], off
	s_wait_xcnt 0x0
	v_dual_mov_b32 v10, v0 :: v_dual_ashrrev_i32 v11, 31, v0
	v_add_nc_u32_e32 v0, s2, v0
	v_lshl_add_u64 v[10:11], v[10:11], 2, v[6:7]
	s_delay_alu instid0(VALU_DEP_2)
	v_cmp_le_i32_e32 vcc_lo, s8, v0
	s_or_b32 s6, vcc_lo, s6
	s_wait_loadcnt 0x0
	v_add_f32_e32 v3, v3, v12
	global_store_b32 v[10:11], v3, off
	s_wait_xcnt 0x0
	s_and_not1_b32 exec_lo, exec_lo, s6
	s_cbranch_execz .LBB9_6
.LBB9_4:                                ; =>This Inner Loop Header: Depth=1
	v_mov_b32_e32 v3, 0
	s_and_not1_b32 vcc_lo, exec_lo, s3
	s_cbranch_vccnz .LBB9_3
; %bb.5:                                ;   in Loop: Header=BB9_4 Depth=1
	v_ashrrev_i32_e32 v3, 31, v2
	s_delay_alu instid0(VALU_DEP_1)
	v_lshl_add_u64 v[10:11], v[2:3], 2, v[4:5]
	global_load_b32 v3, v[10:11], off
	s_branch .LBB9_3
.LBB9_6:
	s_endpgm
	.section	.rodata,"a",@progbits
	.p2align	6, 0x0
	.amdhsa_kernel _ZL11k_bin_bcastIXadL_ZL6op_addffEEfffJPKfEEvPKT0_PKT1_PT2_iii15HIP_vector_typeIjLj3EESB_SB_SB_SB_iiiiiiiiiiiDpT3_
		.amdhsa_group_segment_fixed_size 0
		.amdhsa_private_segment_fixed_size 0
		.amdhsa_kernarg_size 408
		.amdhsa_user_sgpr_count 2
		.amdhsa_user_sgpr_dispatch_ptr 0
		.amdhsa_user_sgpr_queue_ptr 0
		.amdhsa_user_sgpr_kernarg_segment_ptr 1
		.amdhsa_user_sgpr_dispatch_id 0
		.amdhsa_user_sgpr_kernarg_preload_length 0
		.amdhsa_user_sgpr_kernarg_preload_offset 0
		.amdhsa_user_sgpr_private_segment_size 0
		.amdhsa_wavefront_size32 1
		.amdhsa_uses_dynamic_stack 0
		.amdhsa_enable_private_segment 0
		.amdhsa_system_sgpr_workgroup_id_x 1
		.amdhsa_system_sgpr_workgroup_id_y 1
		.amdhsa_system_sgpr_workgroup_id_z 1
		.amdhsa_system_sgpr_workgroup_info 0
		.amdhsa_system_vgpr_workitem_id 2
		.amdhsa_next_free_vgpr 13
		.amdhsa_next_free_sgpr 39
		.amdhsa_named_barrier_count 0
		.amdhsa_reserve_vcc 1
		.amdhsa_float_round_mode_32 0
		.amdhsa_float_round_mode_16_64 0
		.amdhsa_float_denorm_mode_32 3
		.amdhsa_float_denorm_mode_16_64 3
		.amdhsa_fp16_overflow 0
		.amdhsa_memory_ordered 1
		.amdhsa_forward_progress 1
		.amdhsa_inst_pref_size 7
		.amdhsa_round_robin_scheduling 0
		.amdhsa_exception_fp_ieee_invalid_op 0
		.amdhsa_exception_fp_denorm_src 0
		.amdhsa_exception_fp_ieee_div_zero 0
		.amdhsa_exception_fp_ieee_overflow 0
		.amdhsa_exception_fp_ieee_underflow 0
		.amdhsa_exception_fp_ieee_inexact 0
		.amdhsa_exception_int_div_zero 0
	.end_amdhsa_kernel
	.section	.text._ZL11k_bin_bcastIXadL_ZL6op_addffEEfffJPKfEEvPKT0_PKT1_PT2_iii15HIP_vector_typeIjLj3EESB_SB_SB_SB_iiiiiiiiiiiDpT3_,"axG",@progbits,_ZL11k_bin_bcastIXadL_ZL6op_addffEEfffJPKfEEvPKT0_PKT1_PT2_iii15HIP_vector_typeIjLj3EESB_SB_SB_SB_iiiiiiiiiiiDpT3_,comdat
.Lfunc_end9:
	.size	_ZL11k_bin_bcastIXadL_ZL6op_addffEEfffJPKfEEvPKT0_PKT1_PT2_iii15HIP_vector_typeIjLj3EESB_SB_SB_SB_iiiiiiiiiiiDpT3_, .Lfunc_end9-_ZL11k_bin_bcastIXadL_ZL6op_addffEEfffJPKfEEvPKT0_PKT1_PT2_iii15HIP_vector_typeIjLj3EESB_SB_SB_SB_iiiiiiiiiiiDpT3_
                                        ; -- End function
	.set _ZL11k_bin_bcastIXadL_ZL6op_addffEEfffJPKfEEvPKT0_PKT1_PT2_iii15HIP_vector_typeIjLj3EESB_SB_SB_SB_iiiiiiiiiiiDpT3_.num_vgpr, 13
	.set _ZL11k_bin_bcastIXadL_ZL6op_addffEEfffJPKfEEvPKT0_PKT1_PT2_iii15HIP_vector_typeIjLj3EESB_SB_SB_SB_iiiiiiiiiiiDpT3_.num_agpr, 0
	.set _ZL11k_bin_bcastIXadL_ZL6op_addffEEfffJPKfEEvPKT0_PKT1_PT2_iii15HIP_vector_typeIjLj3EESB_SB_SB_SB_iiiiiiiiiiiDpT3_.numbered_sgpr, 39
	.set _ZL11k_bin_bcastIXadL_ZL6op_addffEEfffJPKfEEvPKT0_PKT1_PT2_iii15HIP_vector_typeIjLj3EESB_SB_SB_SB_iiiiiiiiiiiDpT3_.num_named_barrier, 0
	.set _ZL11k_bin_bcastIXadL_ZL6op_addffEEfffJPKfEEvPKT0_PKT1_PT2_iii15HIP_vector_typeIjLj3EESB_SB_SB_SB_iiiiiiiiiiiDpT3_.private_seg_size, 0
	.set _ZL11k_bin_bcastIXadL_ZL6op_addffEEfffJPKfEEvPKT0_PKT1_PT2_iii15HIP_vector_typeIjLj3EESB_SB_SB_SB_iiiiiiiiiiiDpT3_.uses_vcc, 1
	.set _ZL11k_bin_bcastIXadL_ZL6op_addffEEfffJPKfEEvPKT0_PKT1_PT2_iii15HIP_vector_typeIjLj3EESB_SB_SB_SB_iiiiiiiiiiiDpT3_.uses_flat_scratch, 0
	.set _ZL11k_bin_bcastIXadL_ZL6op_addffEEfffJPKfEEvPKT0_PKT1_PT2_iii15HIP_vector_typeIjLj3EESB_SB_SB_SB_iiiiiiiiiiiDpT3_.has_dyn_sized_stack, 0
	.set _ZL11k_bin_bcastIXadL_ZL6op_addffEEfffJPKfEEvPKT0_PKT1_PT2_iii15HIP_vector_typeIjLj3EESB_SB_SB_SB_iiiiiiiiiiiDpT3_.has_recursion, 0
	.set _ZL11k_bin_bcastIXadL_ZL6op_addffEEfffJPKfEEvPKT0_PKT1_PT2_iii15HIP_vector_typeIjLj3EESB_SB_SB_SB_iiiiiiiiiiiDpT3_.has_indirect_call, 0
	.section	.AMDGPU.csdata,"",@progbits
; Kernel info:
; codeLenInByte = 884
; TotalNumSgprs: 41
; NumVgprs: 13
; ScratchSize: 0
; MemoryBound: 0
; FloatMode: 240
; IeeeMode: 1
; LDSByteSize: 0 bytes/workgroup (compile time only)
; SGPRBlocks: 0
; VGPRBlocks: 0
; NumSGPRsForWavesPerEU: 41
; NumVGPRsForWavesPerEU: 13
; NamedBarCnt: 0
; Occupancy: 16
; WaveLimiterHint : 1
; COMPUTE_PGM_RSRC2:SCRATCH_EN: 0
; COMPUTE_PGM_RSRC2:USER_SGPR: 2
; COMPUTE_PGM_RSRC2:TRAP_HANDLER: 0
; COMPUTE_PGM_RSRC2:TGID_X_EN: 1
; COMPUTE_PGM_RSRC2:TGID_Y_EN: 1
; COMPUTE_PGM_RSRC2:TGID_Z_EN: 1
; COMPUTE_PGM_RSRC2:TIDIG_COMP_CNT: 2
	.section	.text._ZL19k_bin_bcast_unravelIXadL_ZL6op_addffEE6__halfS0_S0_JPKS0_EEvPKT0_PKT1_PT2_15HIP_vector_typeIjLj3EESC_SC_jSC_SC_SC_SC_SC_SC_iiiiiiiiiiiDpT3_,"axG",@progbits,_ZL19k_bin_bcast_unravelIXadL_ZL6op_addffEE6__halfS0_S0_JPKS0_EEvPKT0_PKT1_PT2_15HIP_vector_typeIjLj3EESC_SC_jSC_SC_SC_SC_SC_SC_iiiiiiiiiiiDpT3_,comdat
	.globl	_ZL19k_bin_bcast_unravelIXadL_ZL6op_addffEE6__halfS0_S0_JPKS0_EEvPKT0_PKT1_PT2_15HIP_vector_typeIjLj3EESC_SC_jSC_SC_SC_SC_SC_SC_iiiiiiiiiiiDpT3_ ; -- Begin function _ZL19k_bin_bcast_unravelIXadL_ZL6op_addffEE6__halfS0_S0_JPKS0_EEvPKT0_PKT1_PT2_15HIP_vector_typeIjLj3EESC_SC_jSC_SC_SC_SC_SC_SC_iiiiiiiiiiiDpT3_
	.p2align	8
	.type	_ZL19k_bin_bcast_unravelIXadL_ZL6op_addffEE6__halfS0_S0_JPKS0_EEvPKT0_PKT1_PT2_15HIP_vector_typeIjLj3EESC_SC_jSC_SC_SC_SC_SC_SC_iiiiiiiiiiiDpT3_,@function
_ZL19k_bin_bcast_unravelIXadL_ZL6op_addffEE6__halfS0_S0_JPKS0_EEvPKT0_PKT1_PT2_15HIP_vector_typeIjLj3EESC_SC_jSC_SC_SC_SC_SC_SC_iiiiiiiiiiiDpT3_: ; @_ZL19k_bin_bcast_unravelIXadL_ZL6op_addffEE6__halfS0_S0_JPKS0_EEvPKT0_PKT1_PT2_15HIP_vector_typeIjLj3EESC_SC_jSC_SC_SC_SC_SC_SC_iiiiiiiiiiiDpT3_
; %bb.0:
	s_load_b32 s2, s[0:1], 0xcc
	s_bfe_u32 s3, ttmp6, 0x4000c
	s_load_b256 s[4:11], s[0:1], 0x38
	s_add_co_i32 s3, s3, 1
	s_and_b32 s12, ttmp6, 15
	s_mul_i32 s3, ttmp9, s3
	s_getreg_b32 s13, hwreg(HW_REG_IB_STS2, 6, 4)
	s_add_co_i32 s12, s12, s3
	s_wait_kmcnt 0x0
	s_and_b32 s2, s2, 0xffff
	s_cmp_eq_u32 s13, 0
	s_cselect_b32 s3, ttmp9, s12
	s_delay_alu instid0(SALU_CYCLE_1) | instskip(SKIP_1) | instid1(VALU_DEP_1)
	v_mad_u32 v0, s3, s2, v0
	s_load_b32 s2, s[0:1], 0x2c
	v_mul_hi_u32 v1, v0, s6
	s_delay_alu instid0(VALU_DEP_1) | instskip(NEXT) | instid1(VALU_DEP_1)
	v_add_nc_u32_e32 v1, v0, v1
	v_lshrrev_b32_e32 v1, s7, v1
	s_delay_alu instid0(VALU_DEP_1) | instskip(NEXT) | instid1(VALU_DEP_1)
	v_mul_lo_u32 v2, v1, s8
	v_sub_nc_u32_e32 v0, v0, v2
	s_delay_alu instid0(VALU_DEP_1) | instskip(NEXT) | instid1(VALU_DEP_1)
	v_mul_hi_u32 v2, v0, s9
	v_add_nc_u32_e32 v2, v0, v2
	s_delay_alu instid0(VALU_DEP_1) | instskip(SKIP_1) | instid1(VALU_DEP_1)
	v_lshrrev_b32_e32 v2, s10, v2
	s_load_b96 s[8:10], s[0:1], 0x18
	v_mul_lo_u32 v3, v2, s11
	s_delay_alu instid0(VALU_DEP_1) | instskip(SKIP_3) | instid1(VALU_DEP_3)
	v_sub_nc_u32_e32 v0, v0, v3
	v_cmp_gt_u32_e64 s3, s4, v2
	v_cmp_gt_u32_e64 s4, s5, v1
	s_wait_kmcnt 0x0
	v_mul_hi_u32 v3, v0, s8
	s_delay_alu instid0(VALU_DEP_1) | instskip(NEXT) | instid1(VALU_DEP_1)
	v_add_nc_u32_e32 v3, v0, v3
	v_lshrrev_b32_e32 v4, s9, v3
	s_delay_alu instid0(VALU_DEP_1) | instskip(NEXT) | instid1(VALU_DEP_1)
	v_mul_lo_u32 v3, v4, s10
	v_sub_nc_u32_e32 v0, v0, v3
	v_cmp_gt_u32_e64 s2, s2, v4
	s_delay_alu instid0(VALU_DEP_2) | instskip(SKIP_1) | instid1(SALU_CYCLE_1)
	v_cmp_gt_u32_e32 vcc_lo, s10, v0
	s_and_b32 s2, vcc_lo, s2
	s_and_b32 s2, s2, s3
	s_delay_alu instid0(SALU_CYCLE_1) | instskip(NEXT) | instid1(SALU_CYCLE_1)
	s_and_b32 s2, s4, s2
	s_and_saveexec_b32 s3, s2
	s_cbranch_execz .LBB10_4
; %bb.1:
	s_clause 0x4
	s_load_b64 s[2:3], s[0:1], 0x0
	s_load_b96 s[24:26], s[0:1], 0xa8
	s_load_b256 s[4:11], s[0:1], 0x88
	s_load_b128 s[20:23], s[0:1], 0x78
	s_load_b256 s[12:19], s[0:1], 0x58
	v_dual_mov_b32 v3, 0 :: v_dual_mov_b32 v5, 0
	s_wait_kmcnt 0x0
	s_cmp_eq_u64 s[2:3], 0
	s_cbranch_scc1 .LBB10_3
; %bb.2:
	v_mul_lo_u32 v5, v1, s10
	v_mov_b32_e32 v7, 0
	s_delay_alu instid0(VALU_DEP_2) | instskip(NEXT) | instid1(VALU_DEP_1)
	v_mad_u32 v5, v2, s9, v5
	v_mad_u32 v6, v4, s8, v5
	s_delay_alu instid0(VALU_DEP_1) | instskip(SKIP_1) | instid1(VALU_DEP_1)
	v_lshl_add_u64 v[8:9], v[6:7], 1, s[2:3]
	v_mul_lo_u32 v6, v0, s7
	v_lshl_add_u64 v[6:7], v[6:7], 1, v[8:9]
	global_load_u16 v5, v[6:7], off
	s_wait_loadcnt 0x0
	v_cvt_f32_f16_e32 v5, v5
.LBB10_3:
	v_mul_hi_u32 v6, s21, v1
	v_mul_hi_u32 v7, s18, v2
	;; [unrolled: 1-line block ×4, first 2 shown]
	s_load_b64 s[2:3], s[0:1], 0xb8
	s_delay_alu instid0(VALU_DEP_3) | instskip(SKIP_2) | instid1(VALU_DEP_3)
	v_dual_add_nc_u32 v6, v1, v6 :: v_dual_add_nc_u32 v7, v2, v7
	s_wait_xcnt 0x0
	s_load_b64 s[0:1], s[0:1], 0x10
	v_add_nc_u32_e32 v8, v4, v8
	s_delay_alu instid0(VALU_DEP_2) | instskip(NEXT) | instid1(VALU_DEP_2)
	v_dual_add_nc_u32 v9, v0, v9 :: v_dual_lshrrev_b32 v6, s22, v6
	v_dual_lshrrev_b32 v7, s19, v7 :: v_dual_lshrrev_b32 v8, s16, v8
	s_delay_alu instid0(VALU_DEP_2) | instskip(NEXT) | instid1(VALU_DEP_2)
	v_mul_lo_u32 v6, v6, s23
	v_mul_lo_u32 v7, v7, s20
	s_delay_alu instid0(VALU_DEP_4) | instskip(NEXT) | instid1(VALU_DEP_4)
	v_lshrrev_b32_e32 v9, s13, v9
	v_mul_lo_u32 v8, v8, s17
	s_delay_alu instid0(VALU_DEP_3) | instskip(NEXT) | instid1(VALU_DEP_3)
	v_dual_sub_nc_u32 v6, v1, v6 :: v_dual_sub_nc_u32 v7, v2, v7
	v_mul_lo_u32 v9, v9, s14
	v_mul_lo_u32 v1, v1, s6
	s_delay_alu instid0(VALU_DEP_3) | instskip(NEXT) | instid1(VALU_DEP_2)
	v_mul_lo_u32 v6, v6, s26
	v_mad_u32 v1, v2, s5, v1
	s_delay_alu instid0(VALU_DEP_2) | instskip(SKIP_2) | instid1(VALU_DEP_1)
	v_mad_u32 v6, v7, s25, v6
	v_sub_nc_u32_e32 v7, v4, v8
	v_sub_nc_u32_e32 v8, v0, v9
	v_mul_lo_u32 v8, v8, s11
	v_mad_u32 v2, v4, s4, v1
	s_delay_alu instid0(VALU_DEP_2) | instskip(SKIP_1) | instid1(VALU_DEP_1)
	v_ashrrev_i32_e32 v9, 31, v8
	v_mad_u32 v6, v7, s24, v6
	v_ashrrev_i32_e32 v7, 31, v6
	s_wait_kmcnt 0x0
	s_delay_alu instid0(VALU_DEP_1) | instskip(NEXT) | instid1(VALU_DEP_1)
	v_lshl_add_u64 v[6:7], v[6:7], 1, s[2:3]
	v_lshl_add_u64 v[6:7], v[8:9], 1, v[6:7]
	global_load_u16 v6, v[6:7], off
	s_wait_loadcnt 0x0
	v_cvt_f32_f16_e32 v4, v6
	v_mov_b32_e32 v1, v3
	v_lshl_add_u64 v[2:3], v[2:3], 1, s[0:1]
	s_delay_alu instid0(VALU_DEP_3) | instskip(NEXT) | instid1(VALU_DEP_2)
	v_add_f32_e32 v4, v5, v4
	v_lshl_add_u64 v[0:1], v[0:1], 1, v[2:3]
	s_delay_alu instid0(VALU_DEP_2)
	v_cvt_f16_f32_e32 v4, v4
	global_store_b16 v[0:1], v4, off
.LBB10_4:
	s_endpgm
	.section	.rodata,"a",@progbits
	.p2align	6, 0x0
	.amdhsa_kernel _ZL19k_bin_bcast_unravelIXadL_ZL6op_addffEE6__halfS0_S0_JPKS0_EEvPKT0_PKT1_PT2_15HIP_vector_typeIjLj3EESC_SC_jSC_SC_SC_SC_SC_SC_iiiiiiiiiiiDpT3_
		.amdhsa_group_segment_fixed_size 0
		.amdhsa_private_segment_fixed_size 0
		.amdhsa_kernarg_size 448
		.amdhsa_user_sgpr_count 2
		.amdhsa_user_sgpr_dispatch_ptr 0
		.amdhsa_user_sgpr_queue_ptr 0
		.amdhsa_user_sgpr_kernarg_segment_ptr 1
		.amdhsa_user_sgpr_dispatch_id 0
		.amdhsa_user_sgpr_kernarg_preload_length 0
		.amdhsa_user_sgpr_kernarg_preload_offset 0
		.amdhsa_user_sgpr_private_segment_size 0
		.amdhsa_wavefront_size32 1
		.amdhsa_uses_dynamic_stack 0
		.amdhsa_enable_private_segment 0
		.amdhsa_system_sgpr_workgroup_id_x 1
		.amdhsa_system_sgpr_workgroup_id_y 0
		.amdhsa_system_sgpr_workgroup_id_z 0
		.amdhsa_system_sgpr_workgroup_info 0
		.amdhsa_system_vgpr_workitem_id 0
		.amdhsa_next_free_vgpr 10
		.amdhsa_next_free_sgpr 27
		.amdhsa_named_barrier_count 0
		.amdhsa_reserve_vcc 1
		.amdhsa_float_round_mode_32 0
		.amdhsa_float_round_mode_16_64 0
		.amdhsa_float_denorm_mode_32 3
		.amdhsa_float_denorm_mode_16_64 3
		.amdhsa_fp16_overflow 0
		.amdhsa_memory_ordered 1
		.amdhsa_forward_progress 1
		.amdhsa_inst_pref_size 6
		.amdhsa_round_robin_scheduling 0
		.amdhsa_exception_fp_ieee_invalid_op 0
		.amdhsa_exception_fp_denorm_src 0
		.amdhsa_exception_fp_ieee_div_zero 0
		.amdhsa_exception_fp_ieee_overflow 0
		.amdhsa_exception_fp_ieee_underflow 0
		.amdhsa_exception_fp_ieee_inexact 0
		.amdhsa_exception_int_div_zero 0
	.end_amdhsa_kernel
	.section	.text._ZL19k_bin_bcast_unravelIXadL_ZL6op_addffEE6__halfS0_S0_JPKS0_EEvPKT0_PKT1_PT2_15HIP_vector_typeIjLj3EESC_SC_jSC_SC_SC_SC_SC_SC_iiiiiiiiiiiDpT3_,"axG",@progbits,_ZL19k_bin_bcast_unravelIXadL_ZL6op_addffEE6__halfS0_S0_JPKS0_EEvPKT0_PKT1_PT2_15HIP_vector_typeIjLj3EESC_SC_jSC_SC_SC_SC_SC_SC_iiiiiiiiiiiDpT3_,comdat
.Lfunc_end10:
	.size	_ZL19k_bin_bcast_unravelIXadL_ZL6op_addffEE6__halfS0_S0_JPKS0_EEvPKT0_PKT1_PT2_15HIP_vector_typeIjLj3EESC_SC_jSC_SC_SC_SC_SC_SC_iiiiiiiiiiiDpT3_, .Lfunc_end10-_ZL19k_bin_bcast_unravelIXadL_ZL6op_addffEE6__halfS0_S0_JPKS0_EEvPKT0_PKT1_PT2_15HIP_vector_typeIjLj3EESC_SC_jSC_SC_SC_SC_SC_SC_iiiiiiiiiiiDpT3_
                                        ; -- End function
	.set _ZL19k_bin_bcast_unravelIXadL_ZL6op_addffEE6__halfS0_S0_JPKS0_EEvPKT0_PKT1_PT2_15HIP_vector_typeIjLj3EESC_SC_jSC_SC_SC_SC_SC_SC_iiiiiiiiiiiDpT3_.num_vgpr, 10
	.set _ZL19k_bin_bcast_unravelIXadL_ZL6op_addffEE6__halfS0_S0_JPKS0_EEvPKT0_PKT1_PT2_15HIP_vector_typeIjLj3EESC_SC_jSC_SC_SC_SC_SC_SC_iiiiiiiiiiiDpT3_.num_agpr, 0
	.set _ZL19k_bin_bcast_unravelIXadL_ZL6op_addffEE6__halfS0_S0_JPKS0_EEvPKT0_PKT1_PT2_15HIP_vector_typeIjLj3EESC_SC_jSC_SC_SC_SC_SC_SC_iiiiiiiiiiiDpT3_.numbered_sgpr, 27
	.set _ZL19k_bin_bcast_unravelIXadL_ZL6op_addffEE6__halfS0_S0_JPKS0_EEvPKT0_PKT1_PT2_15HIP_vector_typeIjLj3EESC_SC_jSC_SC_SC_SC_SC_SC_iiiiiiiiiiiDpT3_.num_named_barrier, 0
	.set _ZL19k_bin_bcast_unravelIXadL_ZL6op_addffEE6__halfS0_S0_JPKS0_EEvPKT0_PKT1_PT2_15HIP_vector_typeIjLj3EESC_SC_jSC_SC_SC_SC_SC_SC_iiiiiiiiiiiDpT3_.private_seg_size, 0
	.set _ZL19k_bin_bcast_unravelIXadL_ZL6op_addffEE6__halfS0_S0_JPKS0_EEvPKT0_PKT1_PT2_15HIP_vector_typeIjLj3EESC_SC_jSC_SC_SC_SC_SC_SC_iiiiiiiiiiiDpT3_.uses_vcc, 1
	.set _ZL19k_bin_bcast_unravelIXadL_ZL6op_addffEE6__halfS0_S0_JPKS0_EEvPKT0_PKT1_PT2_15HIP_vector_typeIjLj3EESC_SC_jSC_SC_SC_SC_SC_SC_iiiiiiiiiiiDpT3_.uses_flat_scratch, 0
	.set _ZL19k_bin_bcast_unravelIXadL_ZL6op_addffEE6__halfS0_S0_JPKS0_EEvPKT0_PKT1_PT2_15HIP_vector_typeIjLj3EESC_SC_jSC_SC_SC_SC_SC_SC_iiiiiiiiiiiDpT3_.has_dyn_sized_stack, 0
	.set _ZL19k_bin_bcast_unravelIXadL_ZL6op_addffEE6__halfS0_S0_JPKS0_EEvPKT0_PKT1_PT2_15HIP_vector_typeIjLj3EESC_SC_jSC_SC_SC_SC_SC_SC_iiiiiiiiiiiDpT3_.has_recursion, 0
	.set _ZL19k_bin_bcast_unravelIXadL_ZL6op_addffEE6__halfS0_S0_JPKS0_EEvPKT0_PKT1_PT2_15HIP_vector_typeIjLj3EESC_SC_jSC_SC_SC_SC_SC_SC_iiiiiiiiiiiDpT3_.has_indirect_call, 0
	.section	.AMDGPU.csdata,"",@progbits
; Kernel info:
; codeLenInByte = 752
; TotalNumSgprs: 29
; NumVgprs: 10
; ScratchSize: 0
; MemoryBound: 0
; FloatMode: 240
; IeeeMode: 1
; LDSByteSize: 0 bytes/workgroup (compile time only)
; SGPRBlocks: 0
; VGPRBlocks: 0
; NumSGPRsForWavesPerEU: 29
; NumVGPRsForWavesPerEU: 10
; NamedBarCnt: 0
; Occupancy: 16
; WaveLimiterHint : 1
; COMPUTE_PGM_RSRC2:SCRATCH_EN: 0
; COMPUTE_PGM_RSRC2:USER_SGPR: 2
; COMPUTE_PGM_RSRC2:TRAP_HANDLER: 0
; COMPUTE_PGM_RSRC2:TGID_X_EN: 1
; COMPUTE_PGM_RSRC2:TGID_Y_EN: 0
; COMPUTE_PGM_RSRC2:TGID_Z_EN: 0
; COMPUTE_PGM_RSRC2:TIDIG_COMP_CNT: 0
	.section	.text._ZL11k_bin_bcastIXadL_ZL6op_addffEE6__halfS0_S0_JPKS0_EEvPKT0_PKT1_PT2_iii15HIP_vector_typeIjLj3EESC_SC_SC_SC_iiiiiiiiiiiDpT3_,"axG",@progbits,_ZL11k_bin_bcastIXadL_ZL6op_addffEE6__halfS0_S0_JPKS0_EEvPKT0_PKT1_PT2_iii15HIP_vector_typeIjLj3EESC_SC_SC_SC_iiiiiiiiiiiDpT3_,comdat
	.globl	_ZL11k_bin_bcastIXadL_ZL6op_addffEE6__halfS0_S0_JPKS0_EEvPKT0_PKT1_PT2_iii15HIP_vector_typeIjLj3EESC_SC_SC_SC_iiiiiiiiiiiDpT3_ ; -- Begin function _ZL11k_bin_bcastIXadL_ZL6op_addffEE6__halfS0_S0_JPKS0_EEvPKT0_PKT1_PT2_iii15HIP_vector_typeIjLj3EESC_SC_SC_SC_iiiiiiiiiiiDpT3_
	.p2align	8
	.type	_ZL11k_bin_bcastIXadL_ZL6op_addffEE6__halfS0_S0_JPKS0_EEvPKT0_PKT1_PT2_iii15HIP_vector_typeIjLj3EESC_SC_SC_SC_iiiiiiiiiiiDpT3_,@function
_ZL11k_bin_bcastIXadL_ZL6op_addffEE6__halfS0_S0_JPKS0_EEvPKT0_PKT1_PT2_iii15HIP_vector_typeIjLj3EESC_SC_SC_SC_iiiiiiiiiiiDpT3_: ; @_ZL11k_bin_bcastIXadL_ZL6op_addffEE6__halfS0_S0_JPKS0_EEvPKT0_PKT1_PT2_iii15HIP_vector_typeIjLj3EESC_SC_SC_SC_iiiiiiiiiiiDpT3_
; %bb.0:
	s_load_b64 s[2:3], s[0:1], 0xa4
	s_bfe_u32 s5, ttmp6, 0x40014
	s_bfe_u32 s16, ttmp6, 0x40010
	;; [unrolled: 1-line block ×3, first 2 shown]
	s_lshr_b32 s4, ttmp7, 16
	s_and_b32 s7, ttmp7, 0xffff
	s_add_co_i32 s5, s5, 1
	s_add_co_i32 s16, s16, 1
	s_load_b256 s[8:15], s[0:1], 0x18
	s_add_co_i32 s19, s19, 1
	s_bfe_u32 s6, ttmp6, 0x40008
	s_bfe_u32 s17, ttmp6, 0x40004
	s_mul_i32 s5, s4, s5
	s_mul_i32 s16, s7, s16
	s_and_b32 s18, ttmp6, 15
	s_mul_i32 s19, ttmp9, s19
	s_add_co_i32 s6, s6, s5
	s_add_co_i32 s17, s17, s16
	;; [unrolled: 1-line block ×3, first 2 shown]
	v_bfe_u32 v1, v0, 20, 10
	s_wait_kmcnt 0x0
	s_lshr_b32 s16, s2, 16
	s_and_b32 s5, s2, 0xffff
	s_getreg_b32 s2, hwreg(HW_REG_IB_STS2, 6, 4)
	s_and_b32 s3, s3, 0xffff
	s_cmp_eq_u32 s2, 0
	v_and_b32_e32 v3, 0x3ff, v0
	s_cselect_b32 s2, s4, s6
	v_bfe_u32 v4, v0, 10, 10
	v_mad_u32 v2, s2, s3, v1
	s_cselect_b32 s2, ttmp9, s18
	s_cselect_b32 s3, s7, s17
	v_mad_u32 v0, s2, s5, v3
	v_mad_u32 v3, s3, s16, v4
	s_delay_alu instid0(VALU_DEP_3) | instskip(NEXT) | instid1(VALU_DEP_3)
	v_mul_hi_u32 v1, v2, s11
	v_cmp_gt_u32_e32 vcc_lo, s8, v0
	s_delay_alu instid0(VALU_DEP_3) | instskip(SKIP_2) | instid1(VALU_DEP_1)
	v_cmp_gt_u32_e64 s2, s9, v3
	s_and_b32 s2, vcc_lo, s2
	v_add_nc_u32_e32 v1, v2, v1
	v_lshrrev_b32_e32 v1, s12, v1
	s_delay_alu instid0(VALU_DEP_1) | instskip(SKIP_3) | instid1(VALU_DEP_1)
	v_mul_lo_u32 v5, v1, s13
	v_cmp_gt_u32_e64 s3, s10, v1
	s_and_b32 s2, s2, s3
	v_sub_nc_u32_e32 v2, v2, v5
	v_cmp_gt_u32_e64 s4, s13, v2
	s_and_b32 s2, s2, s4
	s_delay_alu instid0(SALU_CYCLE_1)
	s_and_saveexec_b32 s3, s2
	s_cbranch_execz .LBB11_6
; %bb.1:
	v_cmp_gt_i32_e32 vcc_lo, s8, v0
	s_and_b32 exec_lo, exec_lo, vcc_lo
	s_cbranch_execz .LBB11_6
; %bb.2:
	s_clause 0x4
	s_load_b256 s[24:31], s[0:1], 0x3c
	s_load_b32 s2, s[0:1], 0x5c
	s_load_b256 s[16:23], s[0:1], 0x60
	s_load_b96 s[36:38], s[0:1], 0x80
	s_load_b64 s[6:7], s[0:1], 0x90
	s_wait_kmcnt 0x0
	v_mul_hi_u32 v4, s30, v2
	v_mul_hi_u32 v5, s27, v1
	;; [unrolled: 1-line block ×3, first 2 shown]
	v_mul_lo_u32 v7, v3, s20
	v_mul_lo_u32 v8, v3, s16
	s_delay_alu instid0(VALU_DEP_4) | instskip(NEXT) | instid1(VALU_DEP_3)
	v_dual_add_nc_u32 v4, v2, v4 :: v_dual_add_nc_u32 v5, v1, v5
	v_mad_u32 v7, v1, s21, v7
	s_delay_alu instid0(VALU_DEP_3) | instskip(NEXT) | instid1(VALU_DEP_3)
	v_mad_u32 v8, v1, s17, v8
	v_dual_lshrrev_b32 v4, s31, v4 :: v_dual_lshrrev_b32 v5, s28, v5
	s_delay_alu instid0(VALU_DEP_1) | instskip(SKIP_1) | instid1(VALU_DEP_3)
	v_mul_lo_u32 v4, v4, s2
	v_add_nc_u32_e32 v6, v3, v6
	v_mul_lo_u32 v5, v5, s29
	s_add_nc_u64 s[2:3], s[0:1], 0x98
	s_load_b64 s[10:11], s[0:1], 0x0
	s_load_b32 s4, s[2:3], 0x0
	s_clause 0x1
	s_load_b64 s[12:13], s[0:1], 0x10
	s_load_b32 s9, s[0:1], 0x38
	s_wait_xcnt 0x0
	s_mov_b32 s1, 0
	s_mov_b32 s0, s14
	v_dual_sub_nc_u32 v4, v2, v4 :: v_dual_lshrrev_b32 v6, s25, v6
	v_dual_sub_nc_u32 v5, v1, v5 :: v_dual_mov_b32 v1, 0
	s_delay_alu instid0(VALU_DEP_2) | instskip(NEXT) | instid1(VALU_DEP_3)
	v_mul_lo_u32 v4, v4, s38
	v_mul_lo_u32 v6, v6, s26
	s_delay_alu instid0(VALU_DEP_3)
	v_mov_b32_e32 v9, v1
	s_wait_kmcnt 0x0
	s_cmp_lg_u64 s[10:11], 0
	s_mul_i32 s2, s4, s5
	s_cselect_b32 s3, -1, 0
	s_mul_i32 s4, s2, s19
	s_delay_alu instid0(VALU_DEP_3) | instskip(NEXT) | instid1(VALU_DEP_3)
	v_mad_u32 v5, v5, s37, v4
	v_sub_nc_u32_e32 v3, v3, v6
	v_mad_u32 v4, v2, s22, v7
	v_mad_u32 v6, v2, s18, v8
	v_mul_lo_u32 v2, s19, v0
	s_sub_co_i32 s5, 0, s9
	v_mov_b32_e32 v7, v1
	v_mad_u32 v8, v3, s36, v5
	v_mov_b32_e32 v5, v1
	s_delay_alu instid0(VALU_DEP_3) | instskip(NEXT) | instid1(VALU_DEP_2)
	v_lshl_add_u64 v[6:7], v[6:7], 1, s[12:13]
	v_lshl_add_u64 v[4:5], v[4:5], 1, s[10:11]
	s_delay_alu instid0(VALU_DEP_4)
	v_lshl_add_u64 v[8:9], v[8:9], 1, s[6:7]
	s_mov_b32 s6, s1
	s_branch .LBB11_4
.LBB11_3:                               ;   in Loop: Header=BB11_4 Depth=1
	s_wait_xcnt 0x0
	v_mul_u64_e32 v[10:11], s[0:1], v[0:1]
	s_delay_alu instid0(VALU_DEP_1) | instskip(NEXT) | instid1(VALU_DEP_1)
	v_dual_add_nc_u32 v2, s4, v2 :: v_dual_add_nc_u32 v10, v0, v11
	v_dual_mov_b32 v11, v1 :: v_dual_lshrrev_b32 v10, s15, v10
	s_delay_alu instid0(VALU_DEP_1) | instskip(NEXT) | instid1(VALU_DEP_1)
	v_mad_u32 v10, s5, v10, v0
	v_mul_lo_u32 v10, v10, s23
	s_delay_alu instid0(VALU_DEP_1)
	v_lshl_add_u64 v[10:11], v[10:11], 1, v[8:9]
	global_load_u16 v10, v[10:11], off
	s_wait_xcnt 0x0
	v_ashrrev_i32_e32 v11, 31, v0
	s_wait_loadcnt 0x0
	v_cvt_f32_f16_e32 v12, v10
	v_dual_mov_b32 v10, v0 :: v_dual_add_nc_u32 v0, s2, v0
	s_delay_alu instid0(VALU_DEP_2) | instskip(NEXT) | instid1(VALU_DEP_2)
	v_add_f32_e32 v3, v3, v12
	v_lshl_add_u64 v[10:11], v[10:11], 1, v[6:7]
	s_delay_alu instid0(VALU_DEP_3) | instskip(NEXT) | instid1(VALU_DEP_3)
	v_cmp_le_i32_e32 vcc_lo, s8, v0
	v_cvt_f16_f32_e32 v3, v3
	s_or_b32 s6, vcc_lo, s6
	global_store_b16 v[10:11], v3, off
	s_wait_xcnt 0x0
	s_and_not1_b32 exec_lo, exec_lo, s6
	s_cbranch_execz .LBB11_6
.LBB11_4:                               ; =>This Inner Loop Header: Depth=1
	v_mov_b32_e32 v3, 0
	s_and_not1_b32 vcc_lo, exec_lo, s3
	s_cbranch_vccnz .LBB11_3
; %bb.5:                                ;   in Loop: Header=BB11_4 Depth=1
	v_ashrrev_i32_e32 v3, 31, v2
	s_delay_alu instid0(VALU_DEP_1)
	v_lshl_add_u64 v[10:11], v[2:3], 1, v[4:5]
	global_load_u16 v3, v[10:11], off
	s_wait_loadcnt 0x0
	v_cvt_f32_f16_e32 v3, v3
	s_branch .LBB11_3
.LBB11_6:
	s_endpgm
	.section	.rodata,"a",@progbits
	.p2align	6, 0x0
	.amdhsa_kernel _ZL11k_bin_bcastIXadL_ZL6op_addffEE6__halfS0_S0_JPKS0_EEvPKT0_PKT1_PT2_iii15HIP_vector_typeIjLj3EESC_SC_SC_SC_iiiiiiiiiiiDpT3_
		.amdhsa_group_segment_fixed_size 0
		.amdhsa_private_segment_fixed_size 0
		.amdhsa_kernarg_size 408
		.amdhsa_user_sgpr_count 2
		.amdhsa_user_sgpr_dispatch_ptr 0
		.amdhsa_user_sgpr_queue_ptr 0
		.amdhsa_user_sgpr_kernarg_segment_ptr 1
		.amdhsa_user_sgpr_dispatch_id 0
		.amdhsa_user_sgpr_kernarg_preload_length 0
		.amdhsa_user_sgpr_kernarg_preload_offset 0
		.amdhsa_user_sgpr_private_segment_size 0
		.amdhsa_wavefront_size32 1
		.amdhsa_uses_dynamic_stack 0
		.amdhsa_enable_private_segment 0
		.amdhsa_system_sgpr_workgroup_id_x 1
		.amdhsa_system_sgpr_workgroup_id_y 1
		.amdhsa_system_sgpr_workgroup_id_z 1
		.amdhsa_system_sgpr_workgroup_info 0
		.amdhsa_system_vgpr_workitem_id 2
		.amdhsa_next_free_vgpr 13
		.amdhsa_next_free_sgpr 39
		.amdhsa_named_barrier_count 0
		.amdhsa_reserve_vcc 1
		.amdhsa_float_round_mode_32 0
		.amdhsa_float_round_mode_16_64 0
		.amdhsa_float_denorm_mode_32 3
		.amdhsa_float_denorm_mode_16_64 3
		.amdhsa_fp16_overflow 0
		.amdhsa_memory_ordered 1
		.amdhsa_forward_progress 1
		.amdhsa_inst_pref_size 8
		.amdhsa_round_robin_scheduling 0
		.amdhsa_exception_fp_ieee_invalid_op 0
		.amdhsa_exception_fp_denorm_src 0
		.amdhsa_exception_fp_ieee_div_zero 0
		.amdhsa_exception_fp_ieee_overflow 0
		.amdhsa_exception_fp_ieee_underflow 0
		.amdhsa_exception_fp_ieee_inexact 0
		.amdhsa_exception_int_div_zero 0
	.end_amdhsa_kernel
	.section	.text._ZL11k_bin_bcastIXadL_ZL6op_addffEE6__halfS0_S0_JPKS0_EEvPKT0_PKT1_PT2_iii15HIP_vector_typeIjLj3EESC_SC_SC_SC_iiiiiiiiiiiDpT3_,"axG",@progbits,_ZL11k_bin_bcastIXadL_ZL6op_addffEE6__halfS0_S0_JPKS0_EEvPKT0_PKT1_PT2_iii15HIP_vector_typeIjLj3EESC_SC_SC_SC_iiiiiiiiiiiDpT3_,comdat
.Lfunc_end11:
	.size	_ZL11k_bin_bcastIXadL_ZL6op_addffEE6__halfS0_S0_JPKS0_EEvPKT0_PKT1_PT2_iii15HIP_vector_typeIjLj3EESC_SC_SC_SC_iiiiiiiiiiiDpT3_, .Lfunc_end11-_ZL11k_bin_bcastIXadL_ZL6op_addffEE6__halfS0_S0_JPKS0_EEvPKT0_PKT1_PT2_iii15HIP_vector_typeIjLj3EESC_SC_SC_SC_iiiiiiiiiiiDpT3_
                                        ; -- End function
	.set _ZL11k_bin_bcastIXadL_ZL6op_addffEE6__halfS0_S0_JPKS0_EEvPKT0_PKT1_PT2_iii15HIP_vector_typeIjLj3EESC_SC_SC_SC_iiiiiiiiiiiDpT3_.num_vgpr, 13
	.set _ZL11k_bin_bcastIXadL_ZL6op_addffEE6__halfS0_S0_JPKS0_EEvPKT0_PKT1_PT2_iii15HIP_vector_typeIjLj3EESC_SC_SC_SC_iiiiiiiiiiiDpT3_.num_agpr, 0
	.set _ZL11k_bin_bcastIXadL_ZL6op_addffEE6__halfS0_S0_JPKS0_EEvPKT0_PKT1_PT2_iii15HIP_vector_typeIjLj3EESC_SC_SC_SC_iiiiiiiiiiiDpT3_.numbered_sgpr, 39
	.set _ZL11k_bin_bcastIXadL_ZL6op_addffEE6__halfS0_S0_JPKS0_EEvPKT0_PKT1_PT2_iii15HIP_vector_typeIjLj3EESC_SC_SC_SC_iiiiiiiiiiiDpT3_.num_named_barrier, 0
	.set _ZL11k_bin_bcastIXadL_ZL6op_addffEE6__halfS0_S0_JPKS0_EEvPKT0_PKT1_PT2_iii15HIP_vector_typeIjLj3EESC_SC_SC_SC_iiiiiiiiiiiDpT3_.private_seg_size, 0
	.set _ZL11k_bin_bcastIXadL_ZL6op_addffEE6__halfS0_S0_JPKS0_EEvPKT0_PKT1_PT2_iii15HIP_vector_typeIjLj3EESC_SC_SC_SC_iiiiiiiiiiiDpT3_.uses_vcc, 1
	.set _ZL11k_bin_bcastIXadL_ZL6op_addffEE6__halfS0_S0_JPKS0_EEvPKT0_PKT1_PT2_iii15HIP_vector_typeIjLj3EESC_SC_SC_SC_iiiiiiiiiiiDpT3_.uses_flat_scratch, 0
	.set _ZL11k_bin_bcastIXadL_ZL6op_addffEE6__halfS0_S0_JPKS0_EEvPKT0_PKT1_PT2_iii15HIP_vector_typeIjLj3EESC_SC_SC_SC_iiiiiiiiiiiDpT3_.has_dyn_sized_stack, 0
	.set _ZL11k_bin_bcastIXadL_ZL6op_addffEE6__halfS0_S0_JPKS0_EEvPKT0_PKT1_PT2_iii15HIP_vector_typeIjLj3EESC_SC_SC_SC_iiiiiiiiiiiDpT3_.has_recursion, 0
	.set _ZL11k_bin_bcastIXadL_ZL6op_addffEE6__halfS0_S0_JPKS0_EEvPKT0_PKT1_PT2_iii15HIP_vector_typeIjLj3EESC_SC_SC_SC_iiiiiiiiiiiDpT3_.has_indirect_call, 0
	.section	.AMDGPU.csdata,"",@progbits
; Kernel info:
; codeLenInByte = 908
; TotalNumSgprs: 41
; NumVgprs: 13
; ScratchSize: 0
; MemoryBound: 0
; FloatMode: 240
; IeeeMode: 1
; LDSByteSize: 0 bytes/workgroup (compile time only)
; SGPRBlocks: 0
; VGPRBlocks: 0
; NumSGPRsForWavesPerEU: 41
; NumVGPRsForWavesPerEU: 13
; NamedBarCnt: 0
; Occupancy: 16
; WaveLimiterHint : 1
; COMPUTE_PGM_RSRC2:SCRATCH_EN: 0
; COMPUTE_PGM_RSRC2:USER_SGPR: 2
; COMPUTE_PGM_RSRC2:TRAP_HANDLER: 0
; COMPUTE_PGM_RSRC2:TGID_X_EN: 1
; COMPUTE_PGM_RSRC2:TGID_Y_EN: 1
; COMPUTE_PGM_RSRC2:TGID_Z_EN: 1
; COMPUTE_PGM_RSRC2:TIDIG_COMP_CNT: 2
	.section	.text._ZL19k_bin_bcast_unravelIXadL_ZL6op_addffEE6__halffS0_JPKfEEvPKT0_PKT1_PT2_15HIP_vector_typeIjLj3EESC_SC_jSC_SC_SC_SC_SC_SC_iiiiiiiiiiiDpT3_,"axG",@progbits,_ZL19k_bin_bcast_unravelIXadL_ZL6op_addffEE6__halffS0_JPKfEEvPKT0_PKT1_PT2_15HIP_vector_typeIjLj3EESC_SC_jSC_SC_SC_SC_SC_SC_iiiiiiiiiiiDpT3_,comdat
	.globl	_ZL19k_bin_bcast_unravelIXadL_ZL6op_addffEE6__halffS0_JPKfEEvPKT0_PKT1_PT2_15HIP_vector_typeIjLj3EESC_SC_jSC_SC_SC_SC_SC_SC_iiiiiiiiiiiDpT3_ ; -- Begin function _ZL19k_bin_bcast_unravelIXadL_ZL6op_addffEE6__halffS0_JPKfEEvPKT0_PKT1_PT2_15HIP_vector_typeIjLj3EESC_SC_jSC_SC_SC_SC_SC_SC_iiiiiiiiiiiDpT3_
	.p2align	8
	.type	_ZL19k_bin_bcast_unravelIXadL_ZL6op_addffEE6__halffS0_JPKfEEvPKT0_PKT1_PT2_15HIP_vector_typeIjLj3EESC_SC_jSC_SC_SC_SC_SC_SC_iiiiiiiiiiiDpT3_,@function
_ZL19k_bin_bcast_unravelIXadL_ZL6op_addffEE6__halffS0_JPKfEEvPKT0_PKT1_PT2_15HIP_vector_typeIjLj3EESC_SC_jSC_SC_SC_SC_SC_SC_iiiiiiiiiiiDpT3_: ; @_ZL19k_bin_bcast_unravelIXadL_ZL6op_addffEE6__halffS0_JPKfEEvPKT0_PKT1_PT2_15HIP_vector_typeIjLj3EESC_SC_jSC_SC_SC_SC_SC_SC_iiiiiiiiiiiDpT3_
; %bb.0:
	s_load_b32 s2, s[0:1], 0xcc
	s_bfe_u32 s3, ttmp6, 0x4000c
	s_load_b256 s[4:11], s[0:1], 0x38
	s_add_co_i32 s3, s3, 1
	s_and_b32 s12, ttmp6, 15
	s_mul_i32 s3, ttmp9, s3
	s_getreg_b32 s13, hwreg(HW_REG_IB_STS2, 6, 4)
	s_add_co_i32 s12, s12, s3
	s_wait_kmcnt 0x0
	s_and_b32 s2, s2, 0xffff
	s_cmp_eq_u32 s13, 0
	s_cselect_b32 s3, ttmp9, s12
	s_delay_alu instid0(SALU_CYCLE_1) | instskip(SKIP_1) | instid1(VALU_DEP_1)
	v_mad_u32 v0, s3, s2, v0
	s_load_b32 s2, s[0:1], 0x2c
	v_mul_hi_u32 v1, v0, s6
	s_delay_alu instid0(VALU_DEP_1) | instskip(NEXT) | instid1(VALU_DEP_1)
	v_add_nc_u32_e32 v1, v0, v1
	v_lshrrev_b32_e32 v1, s7, v1
	s_delay_alu instid0(VALU_DEP_1) | instskip(NEXT) | instid1(VALU_DEP_1)
	v_mul_lo_u32 v2, v1, s8
	v_sub_nc_u32_e32 v0, v0, v2
	s_delay_alu instid0(VALU_DEP_1) | instskip(NEXT) | instid1(VALU_DEP_1)
	v_mul_hi_u32 v2, v0, s9
	v_add_nc_u32_e32 v2, v0, v2
	s_delay_alu instid0(VALU_DEP_1) | instskip(SKIP_1) | instid1(VALU_DEP_1)
	v_lshrrev_b32_e32 v2, s10, v2
	s_load_b96 s[8:10], s[0:1], 0x18
	v_mul_lo_u32 v3, v2, s11
	s_delay_alu instid0(VALU_DEP_1) | instskip(SKIP_3) | instid1(VALU_DEP_3)
	v_sub_nc_u32_e32 v0, v0, v3
	v_cmp_gt_u32_e64 s3, s4, v2
	v_cmp_gt_u32_e64 s4, s5, v1
	s_wait_kmcnt 0x0
	v_mul_hi_u32 v3, v0, s8
	s_delay_alu instid0(VALU_DEP_1) | instskip(NEXT) | instid1(VALU_DEP_1)
	v_add_nc_u32_e32 v3, v0, v3
	v_lshrrev_b32_e32 v4, s9, v3
	s_delay_alu instid0(VALU_DEP_1) | instskip(NEXT) | instid1(VALU_DEP_1)
	v_mul_lo_u32 v3, v4, s10
	v_sub_nc_u32_e32 v0, v0, v3
	v_cmp_gt_u32_e64 s2, s2, v4
	s_delay_alu instid0(VALU_DEP_2) | instskip(SKIP_1) | instid1(SALU_CYCLE_1)
	v_cmp_gt_u32_e32 vcc_lo, s10, v0
	s_and_b32 s2, vcc_lo, s2
	s_and_b32 s2, s2, s3
	s_delay_alu instid0(SALU_CYCLE_1) | instskip(NEXT) | instid1(SALU_CYCLE_1)
	s_and_b32 s2, s4, s2
	s_and_saveexec_b32 s3, s2
	s_cbranch_execz .LBB12_4
; %bb.1:
	s_clause 0x4
	s_load_b64 s[2:3], s[0:1], 0x0
	s_load_b96 s[24:26], s[0:1], 0xa8
	s_load_b256 s[4:11], s[0:1], 0x88
	s_load_b128 s[20:23], s[0:1], 0x78
	s_load_b256 s[12:19], s[0:1], 0x58
	v_dual_mov_b32 v3, 0 :: v_dual_mov_b32 v5, 0
	s_wait_kmcnt 0x0
	s_cmp_eq_u64 s[2:3], 0
	s_cbranch_scc1 .LBB12_3
; %bb.2:
	v_mul_lo_u32 v5, v1, s10
	v_mov_b32_e32 v7, 0
	s_delay_alu instid0(VALU_DEP_2) | instskip(NEXT) | instid1(VALU_DEP_1)
	v_mad_u32 v5, v2, s9, v5
	v_mad_u32 v6, v4, s8, v5
	s_delay_alu instid0(VALU_DEP_1) | instskip(SKIP_1) | instid1(VALU_DEP_1)
	v_lshl_add_u64 v[8:9], v[6:7], 1, s[2:3]
	v_mul_lo_u32 v6, v0, s7
	v_lshl_add_u64 v[6:7], v[6:7], 1, v[8:9]
	global_load_u16 v5, v[6:7], off
	s_wait_loadcnt 0x0
	v_cvt_f32_f16_e32 v5, v5
.LBB12_3:
	v_mul_hi_u32 v6, s21, v1
	v_mul_hi_u32 v7, s18, v2
	;; [unrolled: 1-line block ×4, first 2 shown]
	s_load_b64 s[2:3], s[0:1], 0xb8
	s_delay_alu instid0(VALU_DEP_3) | instskip(SKIP_2) | instid1(VALU_DEP_3)
	v_dual_add_nc_u32 v6, v1, v6 :: v_dual_add_nc_u32 v7, v2, v7
	s_wait_xcnt 0x0
	s_load_b64 s[0:1], s[0:1], 0x10
	v_add_nc_u32_e32 v8, v4, v8
	s_delay_alu instid0(VALU_DEP_2) | instskip(NEXT) | instid1(VALU_DEP_2)
	v_dual_add_nc_u32 v9, v0, v9 :: v_dual_lshrrev_b32 v6, s22, v6
	v_dual_lshrrev_b32 v7, s19, v7 :: v_dual_lshrrev_b32 v8, s16, v8
	s_delay_alu instid0(VALU_DEP_2) | instskip(NEXT) | instid1(VALU_DEP_2)
	v_mul_lo_u32 v6, v6, s23
	v_mul_lo_u32 v7, v7, s20
	s_delay_alu instid0(VALU_DEP_4) | instskip(NEXT) | instid1(VALU_DEP_4)
	v_lshrrev_b32_e32 v9, s13, v9
	v_mul_lo_u32 v8, v8, s17
	s_delay_alu instid0(VALU_DEP_3) | instskip(NEXT) | instid1(VALU_DEP_3)
	v_dual_sub_nc_u32 v6, v1, v6 :: v_dual_sub_nc_u32 v7, v2, v7
	v_mul_lo_u32 v9, v9, s14
	v_mul_lo_u32 v1, v1, s6
	s_delay_alu instid0(VALU_DEP_3) | instskip(NEXT) | instid1(VALU_DEP_2)
	v_mul_lo_u32 v6, v6, s26
	v_mad_u32 v1, v2, s5, v1
	s_delay_alu instid0(VALU_DEP_2) | instskip(SKIP_2) | instid1(VALU_DEP_1)
	v_mad_u32 v6, v7, s25, v6
	v_sub_nc_u32_e32 v7, v4, v8
	v_sub_nc_u32_e32 v8, v0, v9
	v_mul_lo_u32 v8, v8, s11
	v_mad_u32 v2, v4, s4, v1
	s_delay_alu instid0(VALU_DEP_2) | instskip(SKIP_1) | instid1(VALU_DEP_1)
	v_ashrrev_i32_e32 v9, 31, v8
	v_mad_u32 v6, v7, s24, v6
	v_ashrrev_i32_e32 v7, 31, v6
	s_wait_kmcnt 0x0
	s_delay_alu instid0(VALU_DEP_1) | instskip(NEXT) | instid1(VALU_DEP_1)
	v_lshl_add_u64 v[6:7], v[6:7], 2, s[2:3]
	v_lshl_add_u64 v[6:7], v[8:9], 2, v[6:7]
	global_load_b32 v6, v[6:7], off
	v_mov_b32_e32 v1, v3
	v_lshl_add_u64 v[2:3], v[2:3], 1, s[0:1]
	s_wait_loadcnt 0x0
	v_add_f32_e32 v4, v5, v6
	s_delay_alu instid0(VALU_DEP_2) | instskip(NEXT) | instid1(VALU_DEP_2)
	v_lshl_add_u64 v[0:1], v[0:1], 1, v[2:3]
	v_cvt_f16_f32_e32 v4, v4
	global_store_b16 v[0:1], v4, off
.LBB12_4:
	s_endpgm
	.section	.rodata,"a",@progbits
	.p2align	6, 0x0
	.amdhsa_kernel _ZL19k_bin_bcast_unravelIXadL_ZL6op_addffEE6__halffS0_JPKfEEvPKT0_PKT1_PT2_15HIP_vector_typeIjLj3EESC_SC_jSC_SC_SC_SC_SC_SC_iiiiiiiiiiiDpT3_
		.amdhsa_group_segment_fixed_size 0
		.amdhsa_private_segment_fixed_size 0
		.amdhsa_kernarg_size 448
		.amdhsa_user_sgpr_count 2
		.amdhsa_user_sgpr_dispatch_ptr 0
		.amdhsa_user_sgpr_queue_ptr 0
		.amdhsa_user_sgpr_kernarg_segment_ptr 1
		.amdhsa_user_sgpr_dispatch_id 0
		.amdhsa_user_sgpr_kernarg_preload_length 0
		.amdhsa_user_sgpr_kernarg_preload_offset 0
		.amdhsa_user_sgpr_private_segment_size 0
		.amdhsa_wavefront_size32 1
		.amdhsa_uses_dynamic_stack 0
		.amdhsa_enable_private_segment 0
		.amdhsa_system_sgpr_workgroup_id_x 1
		.amdhsa_system_sgpr_workgroup_id_y 0
		.amdhsa_system_sgpr_workgroup_id_z 0
		.amdhsa_system_sgpr_workgroup_info 0
		.amdhsa_system_vgpr_workitem_id 0
		.amdhsa_next_free_vgpr 10
		.amdhsa_next_free_sgpr 27
		.amdhsa_named_barrier_count 0
		.amdhsa_reserve_vcc 1
		.amdhsa_float_round_mode_32 0
		.amdhsa_float_round_mode_16_64 0
		.amdhsa_float_denorm_mode_32 3
		.amdhsa_float_denorm_mode_16_64 3
		.amdhsa_fp16_overflow 0
		.amdhsa_memory_ordered 1
		.amdhsa_forward_progress 1
		.amdhsa_inst_pref_size 6
		.amdhsa_round_robin_scheduling 0
		.amdhsa_exception_fp_ieee_invalid_op 0
		.amdhsa_exception_fp_denorm_src 0
		.amdhsa_exception_fp_ieee_div_zero 0
		.amdhsa_exception_fp_ieee_overflow 0
		.amdhsa_exception_fp_ieee_underflow 0
		.amdhsa_exception_fp_ieee_inexact 0
		.amdhsa_exception_int_div_zero 0
	.end_amdhsa_kernel
	.section	.text._ZL19k_bin_bcast_unravelIXadL_ZL6op_addffEE6__halffS0_JPKfEEvPKT0_PKT1_PT2_15HIP_vector_typeIjLj3EESC_SC_jSC_SC_SC_SC_SC_SC_iiiiiiiiiiiDpT3_,"axG",@progbits,_ZL19k_bin_bcast_unravelIXadL_ZL6op_addffEE6__halffS0_JPKfEEvPKT0_PKT1_PT2_15HIP_vector_typeIjLj3EESC_SC_jSC_SC_SC_SC_SC_SC_iiiiiiiiiiiDpT3_,comdat
.Lfunc_end12:
	.size	_ZL19k_bin_bcast_unravelIXadL_ZL6op_addffEE6__halffS0_JPKfEEvPKT0_PKT1_PT2_15HIP_vector_typeIjLj3EESC_SC_jSC_SC_SC_SC_SC_SC_iiiiiiiiiiiDpT3_, .Lfunc_end12-_ZL19k_bin_bcast_unravelIXadL_ZL6op_addffEE6__halffS0_JPKfEEvPKT0_PKT1_PT2_15HIP_vector_typeIjLj3EESC_SC_jSC_SC_SC_SC_SC_SC_iiiiiiiiiiiDpT3_
                                        ; -- End function
	.set _ZL19k_bin_bcast_unravelIXadL_ZL6op_addffEE6__halffS0_JPKfEEvPKT0_PKT1_PT2_15HIP_vector_typeIjLj3EESC_SC_jSC_SC_SC_SC_SC_SC_iiiiiiiiiiiDpT3_.num_vgpr, 10
	.set _ZL19k_bin_bcast_unravelIXadL_ZL6op_addffEE6__halffS0_JPKfEEvPKT0_PKT1_PT2_15HIP_vector_typeIjLj3EESC_SC_jSC_SC_SC_SC_SC_SC_iiiiiiiiiiiDpT3_.num_agpr, 0
	.set _ZL19k_bin_bcast_unravelIXadL_ZL6op_addffEE6__halffS0_JPKfEEvPKT0_PKT1_PT2_15HIP_vector_typeIjLj3EESC_SC_jSC_SC_SC_SC_SC_SC_iiiiiiiiiiiDpT3_.numbered_sgpr, 27
	.set _ZL19k_bin_bcast_unravelIXadL_ZL6op_addffEE6__halffS0_JPKfEEvPKT0_PKT1_PT2_15HIP_vector_typeIjLj3EESC_SC_jSC_SC_SC_SC_SC_SC_iiiiiiiiiiiDpT3_.num_named_barrier, 0
	.set _ZL19k_bin_bcast_unravelIXadL_ZL6op_addffEE6__halffS0_JPKfEEvPKT0_PKT1_PT2_15HIP_vector_typeIjLj3EESC_SC_jSC_SC_SC_SC_SC_SC_iiiiiiiiiiiDpT3_.private_seg_size, 0
	.set _ZL19k_bin_bcast_unravelIXadL_ZL6op_addffEE6__halffS0_JPKfEEvPKT0_PKT1_PT2_15HIP_vector_typeIjLj3EESC_SC_jSC_SC_SC_SC_SC_SC_iiiiiiiiiiiDpT3_.uses_vcc, 1
	.set _ZL19k_bin_bcast_unravelIXadL_ZL6op_addffEE6__halffS0_JPKfEEvPKT0_PKT1_PT2_15HIP_vector_typeIjLj3EESC_SC_jSC_SC_SC_SC_SC_SC_iiiiiiiiiiiDpT3_.uses_flat_scratch, 0
	.set _ZL19k_bin_bcast_unravelIXadL_ZL6op_addffEE6__halffS0_JPKfEEvPKT0_PKT1_PT2_15HIP_vector_typeIjLj3EESC_SC_jSC_SC_SC_SC_SC_SC_iiiiiiiiiiiDpT3_.has_dyn_sized_stack, 0
	.set _ZL19k_bin_bcast_unravelIXadL_ZL6op_addffEE6__halffS0_JPKfEEvPKT0_PKT1_PT2_15HIP_vector_typeIjLj3EESC_SC_jSC_SC_SC_SC_SC_SC_iiiiiiiiiiiDpT3_.has_recursion, 0
	.set _ZL19k_bin_bcast_unravelIXadL_ZL6op_addffEE6__halffS0_JPKfEEvPKT0_PKT1_PT2_15HIP_vector_typeIjLj3EESC_SC_jSC_SC_SC_SC_SC_SC_iiiiiiiiiiiDpT3_.has_indirect_call, 0
	.section	.AMDGPU.csdata,"",@progbits
; Kernel info:
; codeLenInByte = 744
; TotalNumSgprs: 29
; NumVgprs: 10
; ScratchSize: 0
; MemoryBound: 0
; FloatMode: 240
; IeeeMode: 1
; LDSByteSize: 0 bytes/workgroup (compile time only)
; SGPRBlocks: 0
; VGPRBlocks: 0
; NumSGPRsForWavesPerEU: 29
; NumVGPRsForWavesPerEU: 10
; NamedBarCnt: 0
; Occupancy: 16
; WaveLimiterHint : 1
; COMPUTE_PGM_RSRC2:SCRATCH_EN: 0
; COMPUTE_PGM_RSRC2:USER_SGPR: 2
; COMPUTE_PGM_RSRC2:TRAP_HANDLER: 0
; COMPUTE_PGM_RSRC2:TGID_X_EN: 1
; COMPUTE_PGM_RSRC2:TGID_Y_EN: 0
; COMPUTE_PGM_RSRC2:TGID_Z_EN: 0
; COMPUTE_PGM_RSRC2:TIDIG_COMP_CNT: 0
	.section	.text._ZL11k_bin_bcastIXadL_ZL6op_addffEE6__halffS0_JPKfEEvPKT0_PKT1_PT2_iii15HIP_vector_typeIjLj3EESC_SC_SC_SC_iiiiiiiiiiiDpT3_,"axG",@progbits,_ZL11k_bin_bcastIXadL_ZL6op_addffEE6__halffS0_JPKfEEvPKT0_PKT1_PT2_iii15HIP_vector_typeIjLj3EESC_SC_SC_SC_iiiiiiiiiiiDpT3_,comdat
	.globl	_ZL11k_bin_bcastIXadL_ZL6op_addffEE6__halffS0_JPKfEEvPKT0_PKT1_PT2_iii15HIP_vector_typeIjLj3EESC_SC_SC_SC_iiiiiiiiiiiDpT3_ ; -- Begin function _ZL11k_bin_bcastIXadL_ZL6op_addffEE6__halffS0_JPKfEEvPKT0_PKT1_PT2_iii15HIP_vector_typeIjLj3EESC_SC_SC_SC_iiiiiiiiiiiDpT3_
	.p2align	8
	.type	_ZL11k_bin_bcastIXadL_ZL6op_addffEE6__halffS0_JPKfEEvPKT0_PKT1_PT2_iii15HIP_vector_typeIjLj3EESC_SC_SC_SC_iiiiiiiiiiiDpT3_,@function
_ZL11k_bin_bcastIXadL_ZL6op_addffEE6__halffS0_JPKfEEvPKT0_PKT1_PT2_iii15HIP_vector_typeIjLj3EESC_SC_SC_SC_iiiiiiiiiiiDpT3_: ; @_ZL11k_bin_bcastIXadL_ZL6op_addffEE6__halffS0_JPKfEEvPKT0_PKT1_PT2_iii15HIP_vector_typeIjLj3EESC_SC_SC_SC_iiiiiiiiiiiDpT3_
; %bb.0:
	s_load_b64 s[2:3], s[0:1], 0xa4
	s_bfe_u32 s5, ttmp6, 0x40014
	s_bfe_u32 s16, ttmp6, 0x40010
	;; [unrolled: 1-line block ×3, first 2 shown]
	s_lshr_b32 s4, ttmp7, 16
	s_and_b32 s7, ttmp7, 0xffff
	s_add_co_i32 s5, s5, 1
	s_add_co_i32 s16, s16, 1
	s_load_b256 s[8:15], s[0:1], 0x18
	s_add_co_i32 s19, s19, 1
	s_bfe_u32 s6, ttmp6, 0x40008
	s_bfe_u32 s17, ttmp6, 0x40004
	s_mul_i32 s5, s4, s5
	s_mul_i32 s16, s7, s16
	s_and_b32 s18, ttmp6, 15
	s_mul_i32 s19, ttmp9, s19
	s_add_co_i32 s6, s6, s5
	s_add_co_i32 s17, s17, s16
	s_add_co_i32 s18, s18, s19
	v_bfe_u32 v1, v0, 20, 10
	s_wait_kmcnt 0x0
	s_lshr_b32 s16, s2, 16
	s_and_b32 s5, s2, 0xffff
	s_getreg_b32 s2, hwreg(HW_REG_IB_STS2, 6, 4)
	s_and_b32 s3, s3, 0xffff
	s_cmp_eq_u32 s2, 0
	v_and_b32_e32 v3, 0x3ff, v0
	s_cselect_b32 s2, s4, s6
	v_bfe_u32 v4, v0, 10, 10
	v_mad_u32 v2, s2, s3, v1
	s_cselect_b32 s2, ttmp9, s18
	s_cselect_b32 s3, s7, s17
	v_mad_u32 v0, s2, s5, v3
	v_mad_u32 v3, s3, s16, v4
	s_delay_alu instid0(VALU_DEP_3) | instskip(NEXT) | instid1(VALU_DEP_3)
	v_mul_hi_u32 v1, v2, s11
	v_cmp_gt_u32_e32 vcc_lo, s8, v0
	s_delay_alu instid0(VALU_DEP_3) | instskip(SKIP_2) | instid1(VALU_DEP_1)
	v_cmp_gt_u32_e64 s2, s9, v3
	s_and_b32 s2, vcc_lo, s2
	v_add_nc_u32_e32 v1, v2, v1
	v_lshrrev_b32_e32 v1, s12, v1
	s_delay_alu instid0(VALU_DEP_1) | instskip(SKIP_3) | instid1(VALU_DEP_1)
	v_mul_lo_u32 v5, v1, s13
	v_cmp_gt_u32_e64 s3, s10, v1
	s_and_b32 s2, s2, s3
	v_sub_nc_u32_e32 v2, v2, v5
	v_cmp_gt_u32_e64 s4, s13, v2
	s_and_b32 s2, s2, s4
	s_delay_alu instid0(SALU_CYCLE_1)
	s_and_saveexec_b32 s3, s2
	s_cbranch_execz .LBB13_6
; %bb.1:
	v_cmp_gt_i32_e32 vcc_lo, s8, v0
	s_and_b32 exec_lo, exec_lo, vcc_lo
	s_cbranch_execz .LBB13_6
; %bb.2:
	s_clause 0x4
	s_load_b256 s[24:31], s[0:1], 0x3c
	s_load_b32 s2, s[0:1], 0x5c
	s_load_b256 s[16:23], s[0:1], 0x60
	s_load_b96 s[36:38], s[0:1], 0x80
	s_load_b64 s[6:7], s[0:1], 0x90
	s_wait_kmcnt 0x0
	v_mul_hi_u32 v4, s30, v2
	v_mul_hi_u32 v5, s27, v1
	;; [unrolled: 1-line block ×3, first 2 shown]
	v_mul_lo_u32 v7, v3, s20
	v_mul_lo_u32 v8, v3, s16
	s_delay_alu instid0(VALU_DEP_4) | instskip(NEXT) | instid1(VALU_DEP_3)
	v_dual_add_nc_u32 v4, v2, v4 :: v_dual_add_nc_u32 v5, v1, v5
	v_mad_u32 v7, v1, s21, v7
	s_delay_alu instid0(VALU_DEP_3) | instskip(NEXT) | instid1(VALU_DEP_3)
	v_mad_u32 v8, v1, s17, v8
	v_dual_lshrrev_b32 v4, s31, v4 :: v_dual_lshrrev_b32 v5, s28, v5
	s_delay_alu instid0(VALU_DEP_1) | instskip(SKIP_1) | instid1(VALU_DEP_3)
	v_mul_lo_u32 v4, v4, s2
	v_add_nc_u32_e32 v6, v3, v6
	v_mul_lo_u32 v5, v5, s29
	s_add_nc_u64 s[2:3], s[0:1], 0x98
	s_load_b64 s[10:11], s[0:1], 0x0
	s_load_b32 s4, s[2:3], 0x0
	s_clause 0x1
	s_load_b64 s[12:13], s[0:1], 0x10
	s_load_b32 s9, s[0:1], 0x38
	s_wait_xcnt 0x0
	s_mov_b32 s1, 0
	s_mov_b32 s0, s14
	v_dual_sub_nc_u32 v4, v2, v4 :: v_dual_lshrrev_b32 v6, s25, v6
	v_dual_sub_nc_u32 v5, v1, v5 :: v_dual_mov_b32 v1, 0
	s_delay_alu instid0(VALU_DEP_2) | instskip(NEXT) | instid1(VALU_DEP_3)
	v_mul_lo_u32 v4, v4, s38
	v_mul_lo_u32 v6, v6, s26
	s_delay_alu instid0(VALU_DEP_3)
	v_mov_b32_e32 v9, v1
	s_wait_kmcnt 0x0
	s_cmp_lg_u64 s[10:11], 0
	s_mul_i32 s2, s4, s5
	s_cselect_b32 s3, -1, 0
	s_mul_i32 s4, s2, s19
	s_delay_alu instid0(VALU_DEP_3) | instskip(NEXT) | instid1(VALU_DEP_3)
	v_mad_u32 v5, v5, s37, v4
	v_sub_nc_u32_e32 v3, v3, v6
	v_mad_u32 v4, v2, s22, v7
	v_mad_u32 v6, v2, s18, v8
	v_mul_lo_u32 v2, s19, v0
	s_sub_co_i32 s5, 0, s9
	v_mov_b32_e32 v7, v1
	v_mad_u32 v8, v3, s36, v5
	v_mov_b32_e32 v5, v1
	s_delay_alu instid0(VALU_DEP_3) | instskip(NEXT) | instid1(VALU_DEP_2)
	v_lshl_add_u64 v[6:7], v[6:7], 1, s[12:13]
	v_lshl_add_u64 v[4:5], v[4:5], 1, s[10:11]
	s_delay_alu instid0(VALU_DEP_4)
	v_lshl_add_u64 v[8:9], v[8:9], 2, s[6:7]
	s_mov_b32 s6, s1
	s_branch .LBB13_4
.LBB13_3:                               ;   in Loop: Header=BB13_4 Depth=1
	s_wait_xcnt 0x0
	v_mul_u64_e32 v[10:11], s[0:1], v[0:1]
	s_delay_alu instid0(VALU_DEP_1) | instskip(NEXT) | instid1(VALU_DEP_1)
	v_dual_add_nc_u32 v2, s4, v2 :: v_dual_add_nc_u32 v10, v0, v11
	v_dual_mov_b32 v11, v1 :: v_dual_lshrrev_b32 v10, s15, v10
	s_delay_alu instid0(VALU_DEP_1) | instskip(NEXT) | instid1(VALU_DEP_1)
	v_mad_u32 v10, s5, v10, v0
	v_mul_lo_u32 v10, v10, s23
	s_delay_alu instid0(VALU_DEP_1) | instskip(SKIP_4) | instid1(VALU_DEP_2)
	v_lshl_add_u64 v[10:11], v[10:11], 2, v[8:9]
	global_load_b32 v12, v[10:11], off
	s_wait_xcnt 0x0
	v_dual_mov_b32 v10, v0 :: v_dual_ashrrev_i32 v11, 31, v0
	v_add_nc_u32_e32 v0, s2, v0
	v_lshl_add_u64 v[10:11], v[10:11], 1, v[6:7]
	s_delay_alu instid0(VALU_DEP_2) | instskip(SKIP_3) | instid1(VALU_DEP_1)
	v_cmp_le_i32_e32 vcc_lo, s8, v0
	s_or_b32 s6, vcc_lo, s6
	s_wait_loadcnt 0x0
	v_add_f32_e32 v3, v3, v12
	v_cvt_f16_f32_e32 v3, v3
	global_store_b16 v[10:11], v3, off
	s_wait_xcnt 0x0
	s_and_not1_b32 exec_lo, exec_lo, s6
	s_cbranch_execz .LBB13_6
.LBB13_4:                               ; =>This Inner Loop Header: Depth=1
	v_mov_b32_e32 v3, 0
	s_and_not1_b32 vcc_lo, exec_lo, s3
	s_cbranch_vccnz .LBB13_3
; %bb.5:                                ;   in Loop: Header=BB13_4 Depth=1
	v_ashrrev_i32_e32 v3, 31, v2
	s_delay_alu instid0(VALU_DEP_1)
	v_lshl_add_u64 v[10:11], v[2:3], 1, v[4:5]
	global_load_u16 v3, v[10:11], off
	s_wait_loadcnt 0x0
	v_cvt_f32_f16_e32 v3, v3
	s_branch .LBB13_3
.LBB13_6:
	s_endpgm
	.section	.rodata,"a",@progbits
	.p2align	6, 0x0
	.amdhsa_kernel _ZL11k_bin_bcastIXadL_ZL6op_addffEE6__halffS0_JPKfEEvPKT0_PKT1_PT2_iii15HIP_vector_typeIjLj3EESC_SC_SC_SC_iiiiiiiiiiiDpT3_
		.amdhsa_group_segment_fixed_size 0
		.amdhsa_private_segment_fixed_size 0
		.amdhsa_kernarg_size 408
		.amdhsa_user_sgpr_count 2
		.amdhsa_user_sgpr_dispatch_ptr 0
		.amdhsa_user_sgpr_queue_ptr 0
		.amdhsa_user_sgpr_kernarg_segment_ptr 1
		.amdhsa_user_sgpr_dispatch_id 0
		.amdhsa_user_sgpr_kernarg_preload_length 0
		.amdhsa_user_sgpr_kernarg_preload_offset 0
		.amdhsa_user_sgpr_private_segment_size 0
		.amdhsa_wavefront_size32 1
		.amdhsa_uses_dynamic_stack 0
		.amdhsa_enable_private_segment 0
		.amdhsa_system_sgpr_workgroup_id_x 1
		.amdhsa_system_sgpr_workgroup_id_y 1
		.amdhsa_system_sgpr_workgroup_id_z 1
		.amdhsa_system_sgpr_workgroup_info 0
		.amdhsa_system_vgpr_workitem_id 2
		.amdhsa_next_free_vgpr 13
		.amdhsa_next_free_sgpr 39
		.amdhsa_named_barrier_count 0
		.amdhsa_reserve_vcc 1
		.amdhsa_float_round_mode_32 0
		.amdhsa_float_round_mode_16_64 0
		.amdhsa_float_denorm_mode_32 3
		.amdhsa_float_denorm_mode_16_64 3
		.amdhsa_fp16_overflow 0
		.amdhsa_memory_ordered 1
		.amdhsa_forward_progress 1
		.amdhsa_inst_pref_size 7
		.amdhsa_round_robin_scheduling 0
		.amdhsa_exception_fp_ieee_invalid_op 0
		.amdhsa_exception_fp_denorm_src 0
		.amdhsa_exception_fp_ieee_div_zero 0
		.amdhsa_exception_fp_ieee_overflow 0
		.amdhsa_exception_fp_ieee_underflow 0
		.amdhsa_exception_fp_ieee_inexact 0
		.amdhsa_exception_int_div_zero 0
	.end_amdhsa_kernel
	.section	.text._ZL11k_bin_bcastIXadL_ZL6op_addffEE6__halffS0_JPKfEEvPKT0_PKT1_PT2_iii15HIP_vector_typeIjLj3EESC_SC_SC_SC_iiiiiiiiiiiDpT3_,"axG",@progbits,_ZL11k_bin_bcastIXadL_ZL6op_addffEE6__halffS0_JPKfEEvPKT0_PKT1_PT2_iii15HIP_vector_typeIjLj3EESC_SC_SC_SC_iiiiiiiiiiiDpT3_,comdat
.Lfunc_end13:
	.size	_ZL11k_bin_bcastIXadL_ZL6op_addffEE6__halffS0_JPKfEEvPKT0_PKT1_PT2_iii15HIP_vector_typeIjLj3EESC_SC_SC_SC_iiiiiiiiiiiDpT3_, .Lfunc_end13-_ZL11k_bin_bcastIXadL_ZL6op_addffEE6__halffS0_JPKfEEvPKT0_PKT1_PT2_iii15HIP_vector_typeIjLj3EESC_SC_SC_SC_iiiiiiiiiiiDpT3_
                                        ; -- End function
	.set _ZL11k_bin_bcastIXadL_ZL6op_addffEE6__halffS0_JPKfEEvPKT0_PKT1_PT2_iii15HIP_vector_typeIjLj3EESC_SC_SC_SC_iiiiiiiiiiiDpT3_.num_vgpr, 13
	.set _ZL11k_bin_bcastIXadL_ZL6op_addffEE6__halffS0_JPKfEEvPKT0_PKT1_PT2_iii15HIP_vector_typeIjLj3EESC_SC_SC_SC_iiiiiiiiiiiDpT3_.num_agpr, 0
	.set _ZL11k_bin_bcastIXadL_ZL6op_addffEE6__halffS0_JPKfEEvPKT0_PKT1_PT2_iii15HIP_vector_typeIjLj3EESC_SC_SC_SC_iiiiiiiiiiiDpT3_.numbered_sgpr, 39
	.set _ZL11k_bin_bcastIXadL_ZL6op_addffEE6__halffS0_JPKfEEvPKT0_PKT1_PT2_iii15HIP_vector_typeIjLj3EESC_SC_SC_SC_iiiiiiiiiiiDpT3_.num_named_barrier, 0
	.set _ZL11k_bin_bcastIXadL_ZL6op_addffEE6__halffS0_JPKfEEvPKT0_PKT1_PT2_iii15HIP_vector_typeIjLj3EESC_SC_SC_SC_iiiiiiiiiiiDpT3_.private_seg_size, 0
	.set _ZL11k_bin_bcastIXadL_ZL6op_addffEE6__halffS0_JPKfEEvPKT0_PKT1_PT2_iii15HIP_vector_typeIjLj3EESC_SC_SC_SC_iiiiiiiiiiiDpT3_.uses_vcc, 1
	.set _ZL11k_bin_bcastIXadL_ZL6op_addffEE6__halffS0_JPKfEEvPKT0_PKT1_PT2_iii15HIP_vector_typeIjLj3EESC_SC_SC_SC_iiiiiiiiiiiDpT3_.uses_flat_scratch, 0
	.set _ZL11k_bin_bcastIXadL_ZL6op_addffEE6__halffS0_JPKfEEvPKT0_PKT1_PT2_iii15HIP_vector_typeIjLj3EESC_SC_SC_SC_iiiiiiiiiiiDpT3_.has_dyn_sized_stack, 0
	.set _ZL11k_bin_bcastIXadL_ZL6op_addffEE6__halffS0_JPKfEEvPKT0_PKT1_PT2_iii15HIP_vector_typeIjLj3EESC_SC_SC_SC_iiiiiiiiiiiDpT3_.has_recursion, 0
	.set _ZL11k_bin_bcastIXadL_ZL6op_addffEE6__halffS0_JPKfEEvPKT0_PKT1_PT2_iii15HIP_vector_typeIjLj3EESC_SC_SC_SC_iiiiiiiiiiiDpT3_.has_indirect_call, 0
	.section	.AMDGPU.csdata,"",@progbits
; Kernel info:
; codeLenInByte = 896
; TotalNumSgprs: 41
; NumVgprs: 13
; ScratchSize: 0
; MemoryBound: 0
; FloatMode: 240
; IeeeMode: 1
; LDSByteSize: 0 bytes/workgroup (compile time only)
; SGPRBlocks: 0
; VGPRBlocks: 0
; NumSGPRsForWavesPerEU: 41
; NumVGPRsForWavesPerEU: 13
; NamedBarCnt: 0
; Occupancy: 16
; WaveLimiterHint : 1
; COMPUTE_PGM_RSRC2:SCRATCH_EN: 0
; COMPUTE_PGM_RSRC2:USER_SGPR: 2
; COMPUTE_PGM_RSRC2:TRAP_HANDLER: 0
; COMPUTE_PGM_RSRC2:TGID_X_EN: 1
; COMPUTE_PGM_RSRC2:TGID_Y_EN: 1
; COMPUTE_PGM_RSRC2:TGID_Z_EN: 1
; COMPUTE_PGM_RSRC2:TIDIG_COMP_CNT: 2
	.section	.text._ZL19k_bin_bcast_unravelIXadL_ZL6op_addffEE6__halfffJPKfEEvPKT0_PKT1_PT2_15HIP_vector_typeIjLj3EESC_SC_jSC_SC_SC_SC_SC_SC_iiiiiiiiiiiDpT3_,"axG",@progbits,_ZL19k_bin_bcast_unravelIXadL_ZL6op_addffEE6__halfffJPKfEEvPKT0_PKT1_PT2_15HIP_vector_typeIjLj3EESC_SC_jSC_SC_SC_SC_SC_SC_iiiiiiiiiiiDpT3_,comdat
	.globl	_ZL19k_bin_bcast_unravelIXadL_ZL6op_addffEE6__halfffJPKfEEvPKT0_PKT1_PT2_15HIP_vector_typeIjLj3EESC_SC_jSC_SC_SC_SC_SC_SC_iiiiiiiiiiiDpT3_ ; -- Begin function _ZL19k_bin_bcast_unravelIXadL_ZL6op_addffEE6__halfffJPKfEEvPKT0_PKT1_PT2_15HIP_vector_typeIjLj3EESC_SC_jSC_SC_SC_SC_SC_SC_iiiiiiiiiiiDpT3_
	.p2align	8
	.type	_ZL19k_bin_bcast_unravelIXadL_ZL6op_addffEE6__halfffJPKfEEvPKT0_PKT1_PT2_15HIP_vector_typeIjLj3EESC_SC_jSC_SC_SC_SC_SC_SC_iiiiiiiiiiiDpT3_,@function
_ZL19k_bin_bcast_unravelIXadL_ZL6op_addffEE6__halfffJPKfEEvPKT0_PKT1_PT2_15HIP_vector_typeIjLj3EESC_SC_jSC_SC_SC_SC_SC_SC_iiiiiiiiiiiDpT3_: ; @_ZL19k_bin_bcast_unravelIXadL_ZL6op_addffEE6__halfffJPKfEEvPKT0_PKT1_PT2_15HIP_vector_typeIjLj3EESC_SC_jSC_SC_SC_SC_SC_SC_iiiiiiiiiiiDpT3_
; %bb.0:
	s_load_b32 s2, s[0:1], 0xcc
	s_bfe_u32 s3, ttmp6, 0x4000c
	s_load_b256 s[4:11], s[0:1], 0x38
	s_add_co_i32 s3, s3, 1
	s_and_b32 s12, ttmp6, 15
	s_mul_i32 s3, ttmp9, s3
	s_getreg_b32 s13, hwreg(HW_REG_IB_STS2, 6, 4)
	s_add_co_i32 s12, s12, s3
	s_wait_kmcnt 0x0
	s_and_b32 s2, s2, 0xffff
	s_cmp_eq_u32 s13, 0
	s_cselect_b32 s3, ttmp9, s12
	s_delay_alu instid0(SALU_CYCLE_1) | instskip(SKIP_1) | instid1(VALU_DEP_1)
	v_mad_u32 v0, s3, s2, v0
	s_load_b32 s2, s[0:1], 0x2c
	v_mul_hi_u32 v1, v0, s6
	s_delay_alu instid0(VALU_DEP_1) | instskip(NEXT) | instid1(VALU_DEP_1)
	v_add_nc_u32_e32 v1, v0, v1
	v_lshrrev_b32_e32 v1, s7, v1
	s_delay_alu instid0(VALU_DEP_1) | instskip(NEXT) | instid1(VALU_DEP_1)
	v_mul_lo_u32 v2, v1, s8
	v_sub_nc_u32_e32 v0, v0, v2
	s_delay_alu instid0(VALU_DEP_1) | instskip(NEXT) | instid1(VALU_DEP_1)
	v_mul_hi_u32 v2, v0, s9
	v_add_nc_u32_e32 v2, v0, v2
	s_delay_alu instid0(VALU_DEP_1) | instskip(SKIP_1) | instid1(VALU_DEP_1)
	v_lshrrev_b32_e32 v2, s10, v2
	s_load_b96 s[8:10], s[0:1], 0x18
	v_mul_lo_u32 v3, v2, s11
	s_delay_alu instid0(VALU_DEP_1) | instskip(SKIP_3) | instid1(VALU_DEP_3)
	v_sub_nc_u32_e32 v0, v0, v3
	v_cmp_gt_u32_e64 s3, s4, v2
	v_cmp_gt_u32_e64 s4, s5, v1
	s_wait_kmcnt 0x0
	v_mul_hi_u32 v3, v0, s8
	s_delay_alu instid0(VALU_DEP_1) | instskip(NEXT) | instid1(VALU_DEP_1)
	v_add_nc_u32_e32 v3, v0, v3
	v_lshrrev_b32_e32 v4, s9, v3
	s_delay_alu instid0(VALU_DEP_1) | instskip(NEXT) | instid1(VALU_DEP_1)
	v_mul_lo_u32 v3, v4, s10
	v_sub_nc_u32_e32 v0, v0, v3
	v_cmp_gt_u32_e64 s2, s2, v4
	s_delay_alu instid0(VALU_DEP_2) | instskip(SKIP_1) | instid1(SALU_CYCLE_1)
	v_cmp_gt_u32_e32 vcc_lo, s10, v0
	s_and_b32 s2, vcc_lo, s2
	s_and_b32 s2, s2, s3
	s_delay_alu instid0(SALU_CYCLE_1) | instskip(NEXT) | instid1(SALU_CYCLE_1)
	s_and_b32 s2, s4, s2
	s_and_saveexec_b32 s3, s2
	s_cbranch_execz .LBB14_4
; %bb.1:
	s_clause 0x4
	s_load_b64 s[2:3], s[0:1], 0x0
	s_load_b96 s[24:26], s[0:1], 0xa8
	s_load_b256 s[4:11], s[0:1], 0x88
	s_load_b128 s[20:23], s[0:1], 0x78
	s_load_b256 s[12:19], s[0:1], 0x58
	v_dual_mov_b32 v3, 0 :: v_dual_mov_b32 v5, 0
	s_wait_kmcnt 0x0
	s_cmp_eq_u64 s[2:3], 0
	s_cbranch_scc1 .LBB14_3
; %bb.2:
	v_mul_lo_u32 v5, v1, s10
	v_mov_b32_e32 v7, 0
	s_delay_alu instid0(VALU_DEP_2) | instskip(NEXT) | instid1(VALU_DEP_1)
	v_mad_u32 v5, v2, s9, v5
	v_mad_u32 v6, v4, s8, v5
	s_delay_alu instid0(VALU_DEP_1) | instskip(SKIP_1) | instid1(VALU_DEP_1)
	v_lshl_add_u64 v[8:9], v[6:7], 1, s[2:3]
	v_mul_lo_u32 v6, v0, s7
	v_lshl_add_u64 v[6:7], v[6:7], 1, v[8:9]
	global_load_u16 v5, v[6:7], off
	s_wait_loadcnt 0x0
	v_cvt_f32_f16_e32 v5, v5
.LBB14_3:
	v_mul_hi_u32 v6, s21, v1
	v_mul_hi_u32 v7, s18, v2
	;; [unrolled: 1-line block ×4, first 2 shown]
	s_load_b64 s[2:3], s[0:1], 0xb8
	s_delay_alu instid0(VALU_DEP_3) | instskip(SKIP_2) | instid1(VALU_DEP_3)
	v_dual_add_nc_u32 v6, v1, v6 :: v_dual_add_nc_u32 v7, v2, v7
	s_wait_xcnt 0x0
	s_load_b64 s[0:1], s[0:1], 0x10
	v_add_nc_u32_e32 v8, v4, v8
	s_delay_alu instid0(VALU_DEP_2) | instskip(NEXT) | instid1(VALU_DEP_2)
	v_dual_add_nc_u32 v9, v0, v9 :: v_dual_lshrrev_b32 v6, s22, v6
	v_dual_lshrrev_b32 v7, s19, v7 :: v_dual_lshrrev_b32 v8, s16, v8
	s_delay_alu instid0(VALU_DEP_2) | instskip(NEXT) | instid1(VALU_DEP_2)
	v_mul_lo_u32 v6, v6, s23
	v_mul_lo_u32 v7, v7, s20
	s_delay_alu instid0(VALU_DEP_4) | instskip(NEXT) | instid1(VALU_DEP_4)
	v_lshrrev_b32_e32 v9, s13, v9
	v_mul_lo_u32 v8, v8, s17
	s_delay_alu instid0(VALU_DEP_3) | instskip(NEXT) | instid1(VALU_DEP_3)
	v_dual_sub_nc_u32 v6, v1, v6 :: v_dual_sub_nc_u32 v7, v2, v7
	v_mul_lo_u32 v9, v9, s14
	v_mul_lo_u32 v1, v1, s6
	s_delay_alu instid0(VALU_DEP_3) | instskip(NEXT) | instid1(VALU_DEP_2)
	v_mul_lo_u32 v6, v6, s26
	v_mad_u32 v1, v2, s5, v1
	s_delay_alu instid0(VALU_DEP_2) | instskip(SKIP_2) | instid1(VALU_DEP_1)
	v_mad_u32 v6, v7, s25, v6
	v_sub_nc_u32_e32 v7, v4, v8
	v_sub_nc_u32_e32 v8, v0, v9
	v_mul_lo_u32 v8, v8, s11
	v_mad_u32 v2, v4, s4, v1
	s_delay_alu instid0(VALU_DEP_2) | instskip(SKIP_1) | instid1(VALU_DEP_1)
	v_ashrrev_i32_e32 v9, 31, v8
	v_mad_u32 v6, v7, s24, v6
	v_ashrrev_i32_e32 v7, 31, v6
	s_wait_kmcnt 0x0
	s_delay_alu instid0(VALU_DEP_1) | instskip(NEXT) | instid1(VALU_DEP_1)
	v_lshl_add_u64 v[6:7], v[6:7], 2, s[2:3]
	v_lshl_add_u64 v[6:7], v[8:9], 2, v[6:7]
	global_load_b32 v6, v[6:7], off
	v_mov_b32_e32 v1, v3
	v_lshl_add_u64 v[2:3], v[2:3], 2, s[0:1]
	s_wait_loadcnt 0x0
	v_add_f32_e32 v4, v5, v6
	s_delay_alu instid0(VALU_DEP_2)
	v_lshl_add_u64 v[0:1], v[0:1], 2, v[2:3]
	global_store_b32 v[0:1], v4, off
.LBB14_4:
	s_endpgm
	.section	.rodata,"a",@progbits
	.p2align	6, 0x0
	.amdhsa_kernel _ZL19k_bin_bcast_unravelIXadL_ZL6op_addffEE6__halfffJPKfEEvPKT0_PKT1_PT2_15HIP_vector_typeIjLj3EESC_SC_jSC_SC_SC_SC_SC_SC_iiiiiiiiiiiDpT3_
		.amdhsa_group_segment_fixed_size 0
		.amdhsa_private_segment_fixed_size 0
		.amdhsa_kernarg_size 448
		.amdhsa_user_sgpr_count 2
		.amdhsa_user_sgpr_dispatch_ptr 0
		.amdhsa_user_sgpr_queue_ptr 0
		.amdhsa_user_sgpr_kernarg_segment_ptr 1
		.amdhsa_user_sgpr_dispatch_id 0
		.amdhsa_user_sgpr_kernarg_preload_length 0
		.amdhsa_user_sgpr_kernarg_preload_offset 0
		.amdhsa_user_sgpr_private_segment_size 0
		.amdhsa_wavefront_size32 1
		.amdhsa_uses_dynamic_stack 0
		.amdhsa_enable_private_segment 0
		.amdhsa_system_sgpr_workgroup_id_x 1
		.amdhsa_system_sgpr_workgroup_id_y 0
		.amdhsa_system_sgpr_workgroup_id_z 0
		.amdhsa_system_sgpr_workgroup_info 0
		.amdhsa_system_vgpr_workitem_id 0
		.amdhsa_next_free_vgpr 10
		.amdhsa_next_free_sgpr 27
		.amdhsa_named_barrier_count 0
		.amdhsa_reserve_vcc 1
		.amdhsa_float_round_mode_32 0
		.amdhsa_float_round_mode_16_64 0
		.amdhsa_float_denorm_mode_32 3
		.amdhsa_float_denorm_mode_16_64 3
		.amdhsa_fp16_overflow 0
		.amdhsa_memory_ordered 1
		.amdhsa_forward_progress 1
		.amdhsa_inst_pref_size 6
		.amdhsa_round_robin_scheduling 0
		.amdhsa_exception_fp_ieee_invalid_op 0
		.amdhsa_exception_fp_denorm_src 0
		.amdhsa_exception_fp_ieee_div_zero 0
		.amdhsa_exception_fp_ieee_overflow 0
		.amdhsa_exception_fp_ieee_underflow 0
		.amdhsa_exception_fp_ieee_inexact 0
		.amdhsa_exception_int_div_zero 0
	.end_amdhsa_kernel
	.section	.text._ZL19k_bin_bcast_unravelIXadL_ZL6op_addffEE6__halfffJPKfEEvPKT0_PKT1_PT2_15HIP_vector_typeIjLj3EESC_SC_jSC_SC_SC_SC_SC_SC_iiiiiiiiiiiDpT3_,"axG",@progbits,_ZL19k_bin_bcast_unravelIXadL_ZL6op_addffEE6__halfffJPKfEEvPKT0_PKT1_PT2_15HIP_vector_typeIjLj3EESC_SC_jSC_SC_SC_SC_SC_SC_iiiiiiiiiiiDpT3_,comdat
.Lfunc_end14:
	.size	_ZL19k_bin_bcast_unravelIXadL_ZL6op_addffEE6__halfffJPKfEEvPKT0_PKT1_PT2_15HIP_vector_typeIjLj3EESC_SC_jSC_SC_SC_SC_SC_SC_iiiiiiiiiiiDpT3_, .Lfunc_end14-_ZL19k_bin_bcast_unravelIXadL_ZL6op_addffEE6__halfffJPKfEEvPKT0_PKT1_PT2_15HIP_vector_typeIjLj3EESC_SC_jSC_SC_SC_SC_SC_SC_iiiiiiiiiiiDpT3_
                                        ; -- End function
	.set _ZL19k_bin_bcast_unravelIXadL_ZL6op_addffEE6__halfffJPKfEEvPKT0_PKT1_PT2_15HIP_vector_typeIjLj3EESC_SC_jSC_SC_SC_SC_SC_SC_iiiiiiiiiiiDpT3_.num_vgpr, 10
	.set _ZL19k_bin_bcast_unravelIXadL_ZL6op_addffEE6__halfffJPKfEEvPKT0_PKT1_PT2_15HIP_vector_typeIjLj3EESC_SC_jSC_SC_SC_SC_SC_SC_iiiiiiiiiiiDpT3_.num_agpr, 0
	.set _ZL19k_bin_bcast_unravelIXadL_ZL6op_addffEE6__halfffJPKfEEvPKT0_PKT1_PT2_15HIP_vector_typeIjLj3EESC_SC_jSC_SC_SC_SC_SC_SC_iiiiiiiiiiiDpT3_.numbered_sgpr, 27
	.set _ZL19k_bin_bcast_unravelIXadL_ZL6op_addffEE6__halfffJPKfEEvPKT0_PKT1_PT2_15HIP_vector_typeIjLj3EESC_SC_jSC_SC_SC_SC_SC_SC_iiiiiiiiiiiDpT3_.num_named_barrier, 0
	.set _ZL19k_bin_bcast_unravelIXadL_ZL6op_addffEE6__halfffJPKfEEvPKT0_PKT1_PT2_15HIP_vector_typeIjLj3EESC_SC_jSC_SC_SC_SC_SC_SC_iiiiiiiiiiiDpT3_.private_seg_size, 0
	.set _ZL19k_bin_bcast_unravelIXadL_ZL6op_addffEE6__halfffJPKfEEvPKT0_PKT1_PT2_15HIP_vector_typeIjLj3EESC_SC_jSC_SC_SC_SC_SC_SC_iiiiiiiiiiiDpT3_.uses_vcc, 1
	.set _ZL19k_bin_bcast_unravelIXadL_ZL6op_addffEE6__halfffJPKfEEvPKT0_PKT1_PT2_15HIP_vector_typeIjLj3EESC_SC_jSC_SC_SC_SC_SC_SC_iiiiiiiiiiiDpT3_.uses_flat_scratch, 0
	.set _ZL19k_bin_bcast_unravelIXadL_ZL6op_addffEE6__halfffJPKfEEvPKT0_PKT1_PT2_15HIP_vector_typeIjLj3EESC_SC_jSC_SC_SC_SC_SC_SC_iiiiiiiiiiiDpT3_.has_dyn_sized_stack, 0
	.set _ZL19k_bin_bcast_unravelIXadL_ZL6op_addffEE6__halfffJPKfEEvPKT0_PKT1_PT2_15HIP_vector_typeIjLj3EESC_SC_jSC_SC_SC_SC_SC_SC_iiiiiiiiiiiDpT3_.has_recursion, 0
	.set _ZL19k_bin_bcast_unravelIXadL_ZL6op_addffEE6__halfffJPKfEEvPKT0_PKT1_PT2_15HIP_vector_typeIjLj3EESC_SC_jSC_SC_SC_SC_SC_SC_iiiiiiiiiiiDpT3_.has_indirect_call, 0
	.section	.AMDGPU.csdata,"",@progbits
; Kernel info:
; codeLenInByte = 740
; TotalNumSgprs: 29
; NumVgprs: 10
; ScratchSize: 0
; MemoryBound: 0
; FloatMode: 240
; IeeeMode: 1
; LDSByteSize: 0 bytes/workgroup (compile time only)
; SGPRBlocks: 0
; VGPRBlocks: 0
; NumSGPRsForWavesPerEU: 29
; NumVGPRsForWavesPerEU: 10
; NamedBarCnt: 0
; Occupancy: 16
; WaveLimiterHint : 1
; COMPUTE_PGM_RSRC2:SCRATCH_EN: 0
; COMPUTE_PGM_RSRC2:USER_SGPR: 2
; COMPUTE_PGM_RSRC2:TRAP_HANDLER: 0
; COMPUTE_PGM_RSRC2:TGID_X_EN: 1
; COMPUTE_PGM_RSRC2:TGID_Y_EN: 0
; COMPUTE_PGM_RSRC2:TGID_Z_EN: 0
; COMPUTE_PGM_RSRC2:TIDIG_COMP_CNT: 0
	.section	.text._ZL11k_bin_bcastIXadL_ZL6op_addffEE6__halfffJPKfEEvPKT0_PKT1_PT2_iii15HIP_vector_typeIjLj3EESC_SC_SC_SC_iiiiiiiiiiiDpT3_,"axG",@progbits,_ZL11k_bin_bcastIXadL_ZL6op_addffEE6__halfffJPKfEEvPKT0_PKT1_PT2_iii15HIP_vector_typeIjLj3EESC_SC_SC_SC_iiiiiiiiiiiDpT3_,comdat
	.globl	_ZL11k_bin_bcastIXadL_ZL6op_addffEE6__halfffJPKfEEvPKT0_PKT1_PT2_iii15HIP_vector_typeIjLj3EESC_SC_SC_SC_iiiiiiiiiiiDpT3_ ; -- Begin function _ZL11k_bin_bcastIXadL_ZL6op_addffEE6__halfffJPKfEEvPKT0_PKT1_PT2_iii15HIP_vector_typeIjLj3EESC_SC_SC_SC_iiiiiiiiiiiDpT3_
	.p2align	8
	.type	_ZL11k_bin_bcastIXadL_ZL6op_addffEE6__halfffJPKfEEvPKT0_PKT1_PT2_iii15HIP_vector_typeIjLj3EESC_SC_SC_SC_iiiiiiiiiiiDpT3_,@function
_ZL11k_bin_bcastIXadL_ZL6op_addffEE6__halfffJPKfEEvPKT0_PKT1_PT2_iii15HIP_vector_typeIjLj3EESC_SC_SC_SC_iiiiiiiiiiiDpT3_: ; @_ZL11k_bin_bcastIXadL_ZL6op_addffEE6__halfffJPKfEEvPKT0_PKT1_PT2_iii15HIP_vector_typeIjLj3EESC_SC_SC_SC_iiiiiiiiiiiDpT3_
; %bb.0:
	s_load_b64 s[2:3], s[0:1], 0xa4
	s_bfe_u32 s5, ttmp6, 0x40014
	s_bfe_u32 s16, ttmp6, 0x40010
	;; [unrolled: 1-line block ×3, first 2 shown]
	s_lshr_b32 s4, ttmp7, 16
	s_and_b32 s7, ttmp7, 0xffff
	s_add_co_i32 s5, s5, 1
	s_add_co_i32 s16, s16, 1
	s_load_b256 s[8:15], s[0:1], 0x18
	s_add_co_i32 s19, s19, 1
	s_bfe_u32 s6, ttmp6, 0x40008
	s_bfe_u32 s17, ttmp6, 0x40004
	s_mul_i32 s5, s4, s5
	s_mul_i32 s16, s7, s16
	s_and_b32 s18, ttmp6, 15
	s_mul_i32 s19, ttmp9, s19
	s_add_co_i32 s6, s6, s5
	s_add_co_i32 s17, s17, s16
	;; [unrolled: 1-line block ×3, first 2 shown]
	v_bfe_u32 v1, v0, 20, 10
	s_wait_kmcnt 0x0
	s_lshr_b32 s16, s2, 16
	s_and_b32 s5, s2, 0xffff
	s_getreg_b32 s2, hwreg(HW_REG_IB_STS2, 6, 4)
	s_and_b32 s3, s3, 0xffff
	s_cmp_eq_u32 s2, 0
	v_and_b32_e32 v3, 0x3ff, v0
	s_cselect_b32 s2, s4, s6
	v_bfe_u32 v4, v0, 10, 10
	v_mad_u32 v2, s2, s3, v1
	s_cselect_b32 s2, ttmp9, s18
	s_cselect_b32 s3, s7, s17
	v_mad_u32 v0, s2, s5, v3
	v_mad_u32 v3, s3, s16, v4
	s_delay_alu instid0(VALU_DEP_3) | instskip(NEXT) | instid1(VALU_DEP_3)
	v_mul_hi_u32 v1, v2, s11
	v_cmp_gt_u32_e32 vcc_lo, s8, v0
	s_delay_alu instid0(VALU_DEP_3) | instskip(SKIP_2) | instid1(VALU_DEP_1)
	v_cmp_gt_u32_e64 s2, s9, v3
	s_and_b32 s2, vcc_lo, s2
	v_add_nc_u32_e32 v1, v2, v1
	v_lshrrev_b32_e32 v1, s12, v1
	s_delay_alu instid0(VALU_DEP_1) | instskip(SKIP_3) | instid1(VALU_DEP_1)
	v_mul_lo_u32 v5, v1, s13
	v_cmp_gt_u32_e64 s3, s10, v1
	s_and_b32 s2, s2, s3
	v_sub_nc_u32_e32 v2, v2, v5
	v_cmp_gt_u32_e64 s4, s13, v2
	s_and_b32 s2, s2, s4
	s_delay_alu instid0(SALU_CYCLE_1)
	s_and_saveexec_b32 s3, s2
	s_cbranch_execz .LBB15_6
; %bb.1:
	v_cmp_gt_i32_e32 vcc_lo, s8, v0
	s_and_b32 exec_lo, exec_lo, vcc_lo
	s_cbranch_execz .LBB15_6
; %bb.2:
	s_clause 0x4
	s_load_b256 s[24:31], s[0:1], 0x3c
	s_load_b32 s2, s[0:1], 0x5c
	s_load_b256 s[16:23], s[0:1], 0x60
	s_load_b96 s[36:38], s[0:1], 0x80
	s_load_b64 s[6:7], s[0:1], 0x90
	s_wait_kmcnt 0x0
	v_mul_hi_u32 v4, s30, v2
	v_mul_hi_u32 v5, s27, v1
	;; [unrolled: 1-line block ×3, first 2 shown]
	v_mul_lo_u32 v7, v3, s20
	v_mul_lo_u32 v8, v3, s16
	s_delay_alu instid0(VALU_DEP_4) | instskip(NEXT) | instid1(VALU_DEP_3)
	v_dual_add_nc_u32 v4, v2, v4 :: v_dual_add_nc_u32 v5, v1, v5
	v_mad_u32 v7, v1, s21, v7
	s_delay_alu instid0(VALU_DEP_3) | instskip(NEXT) | instid1(VALU_DEP_3)
	v_mad_u32 v8, v1, s17, v8
	v_dual_lshrrev_b32 v4, s31, v4 :: v_dual_lshrrev_b32 v5, s28, v5
	s_delay_alu instid0(VALU_DEP_1) | instskip(SKIP_1) | instid1(VALU_DEP_3)
	v_mul_lo_u32 v4, v4, s2
	v_add_nc_u32_e32 v6, v3, v6
	v_mul_lo_u32 v5, v5, s29
	s_add_nc_u64 s[2:3], s[0:1], 0x98
	s_load_b64 s[10:11], s[0:1], 0x0
	s_load_b32 s4, s[2:3], 0x0
	s_clause 0x1
	s_load_b64 s[12:13], s[0:1], 0x10
	s_load_b32 s9, s[0:1], 0x38
	s_wait_xcnt 0x0
	s_mov_b32 s1, 0
	s_mov_b32 s0, s14
	v_dual_sub_nc_u32 v4, v2, v4 :: v_dual_lshrrev_b32 v6, s25, v6
	v_dual_sub_nc_u32 v5, v1, v5 :: v_dual_mov_b32 v1, 0
	s_delay_alu instid0(VALU_DEP_2) | instskip(NEXT) | instid1(VALU_DEP_3)
	v_mul_lo_u32 v4, v4, s38
	v_mul_lo_u32 v6, v6, s26
	s_delay_alu instid0(VALU_DEP_3)
	v_mov_b32_e32 v9, v1
	s_wait_kmcnt 0x0
	s_cmp_lg_u64 s[10:11], 0
	s_mul_i32 s2, s4, s5
	s_cselect_b32 s3, -1, 0
	s_mul_i32 s4, s2, s19
	s_delay_alu instid0(VALU_DEP_3) | instskip(NEXT) | instid1(VALU_DEP_3)
	v_mad_u32 v5, v5, s37, v4
	v_sub_nc_u32_e32 v3, v3, v6
	v_mad_u32 v4, v2, s22, v7
	v_mad_u32 v6, v2, s18, v8
	v_mul_lo_u32 v2, s19, v0
	s_sub_co_i32 s5, 0, s9
	v_mov_b32_e32 v7, v1
	v_mad_u32 v8, v3, s36, v5
	v_mov_b32_e32 v5, v1
	s_delay_alu instid0(VALU_DEP_3) | instskip(NEXT) | instid1(VALU_DEP_2)
	v_lshl_add_u64 v[6:7], v[6:7], 2, s[12:13]
	v_lshl_add_u64 v[4:5], v[4:5], 1, s[10:11]
	s_delay_alu instid0(VALU_DEP_4)
	v_lshl_add_u64 v[8:9], v[8:9], 2, s[6:7]
	s_mov_b32 s6, s1
	s_branch .LBB15_4
.LBB15_3:                               ;   in Loop: Header=BB15_4 Depth=1
	s_wait_xcnt 0x0
	v_mul_u64_e32 v[10:11], s[0:1], v[0:1]
	s_delay_alu instid0(VALU_DEP_1) | instskip(NEXT) | instid1(VALU_DEP_1)
	v_dual_add_nc_u32 v2, s4, v2 :: v_dual_add_nc_u32 v10, v0, v11
	v_dual_mov_b32 v11, v1 :: v_dual_lshrrev_b32 v10, s15, v10
	s_delay_alu instid0(VALU_DEP_1) | instskip(NEXT) | instid1(VALU_DEP_1)
	v_mad_u32 v10, s5, v10, v0
	v_mul_lo_u32 v10, v10, s23
	s_delay_alu instid0(VALU_DEP_1) | instskip(SKIP_4) | instid1(VALU_DEP_2)
	v_lshl_add_u64 v[10:11], v[10:11], 2, v[8:9]
	global_load_b32 v12, v[10:11], off
	s_wait_xcnt 0x0
	v_dual_mov_b32 v10, v0 :: v_dual_ashrrev_i32 v11, 31, v0
	v_add_nc_u32_e32 v0, s2, v0
	v_lshl_add_u64 v[10:11], v[10:11], 2, v[6:7]
	s_delay_alu instid0(VALU_DEP_2)
	v_cmp_le_i32_e32 vcc_lo, s8, v0
	s_or_b32 s6, vcc_lo, s6
	s_wait_loadcnt 0x0
	v_add_f32_e32 v3, v3, v12
	global_store_b32 v[10:11], v3, off
	s_wait_xcnt 0x0
	s_and_not1_b32 exec_lo, exec_lo, s6
	s_cbranch_execz .LBB15_6
.LBB15_4:                               ; =>This Inner Loop Header: Depth=1
	v_mov_b32_e32 v3, 0
	s_and_not1_b32 vcc_lo, exec_lo, s3
	s_cbranch_vccnz .LBB15_3
; %bb.5:                                ;   in Loop: Header=BB15_4 Depth=1
	v_ashrrev_i32_e32 v3, 31, v2
	s_delay_alu instid0(VALU_DEP_1)
	v_lshl_add_u64 v[10:11], v[2:3], 1, v[4:5]
	global_load_u16 v3, v[10:11], off
	s_wait_loadcnt 0x0
	v_cvt_f32_f16_e32 v3, v3
	s_branch .LBB15_3
.LBB15_6:
	s_endpgm
	.section	.rodata,"a",@progbits
	.p2align	6, 0x0
	.amdhsa_kernel _ZL11k_bin_bcastIXadL_ZL6op_addffEE6__halfffJPKfEEvPKT0_PKT1_PT2_iii15HIP_vector_typeIjLj3EESC_SC_SC_SC_iiiiiiiiiiiDpT3_
		.amdhsa_group_segment_fixed_size 0
		.amdhsa_private_segment_fixed_size 0
		.amdhsa_kernarg_size 408
		.amdhsa_user_sgpr_count 2
		.amdhsa_user_sgpr_dispatch_ptr 0
		.amdhsa_user_sgpr_queue_ptr 0
		.amdhsa_user_sgpr_kernarg_segment_ptr 1
		.amdhsa_user_sgpr_dispatch_id 0
		.amdhsa_user_sgpr_kernarg_preload_length 0
		.amdhsa_user_sgpr_kernarg_preload_offset 0
		.amdhsa_user_sgpr_private_segment_size 0
		.amdhsa_wavefront_size32 1
		.amdhsa_uses_dynamic_stack 0
		.amdhsa_enable_private_segment 0
		.amdhsa_system_sgpr_workgroup_id_x 1
		.amdhsa_system_sgpr_workgroup_id_y 1
		.amdhsa_system_sgpr_workgroup_id_z 1
		.amdhsa_system_sgpr_workgroup_info 0
		.amdhsa_system_vgpr_workitem_id 2
		.amdhsa_next_free_vgpr 13
		.amdhsa_next_free_sgpr 39
		.amdhsa_named_barrier_count 0
		.amdhsa_reserve_vcc 1
		.amdhsa_float_round_mode_32 0
		.amdhsa_float_round_mode_16_64 0
		.amdhsa_float_denorm_mode_32 3
		.amdhsa_float_denorm_mode_16_64 3
		.amdhsa_fp16_overflow 0
		.amdhsa_memory_ordered 1
		.amdhsa_forward_progress 1
		.amdhsa_inst_pref_size 7
		.amdhsa_round_robin_scheduling 0
		.amdhsa_exception_fp_ieee_invalid_op 0
		.amdhsa_exception_fp_denorm_src 0
		.amdhsa_exception_fp_ieee_div_zero 0
		.amdhsa_exception_fp_ieee_overflow 0
		.amdhsa_exception_fp_ieee_underflow 0
		.amdhsa_exception_fp_ieee_inexact 0
		.amdhsa_exception_int_div_zero 0
	.end_amdhsa_kernel
	.section	.text._ZL11k_bin_bcastIXadL_ZL6op_addffEE6__halfffJPKfEEvPKT0_PKT1_PT2_iii15HIP_vector_typeIjLj3EESC_SC_SC_SC_iiiiiiiiiiiDpT3_,"axG",@progbits,_ZL11k_bin_bcastIXadL_ZL6op_addffEE6__halfffJPKfEEvPKT0_PKT1_PT2_iii15HIP_vector_typeIjLj3EESC_SC_SC_SC_iiiiiiiiiiiDpT3_,comdat
.Lfunc_end15:
	.size	_ZL11k_bin_bcastIXadL_ZL6op_addffEE6__halfffJPKfEEvPKT0_PKT1_PT2_iii15HIP_vector_typeIjLj3EESC_SC_SC_SC_iiiiiiiiiiiDpT3_, .Lfunc_end15-_ZL11k_bin_bcastIXadL_ZL6op_addffEE6__halfffJPKfEEvPKT0_PKT1_PT2_iii15HIP_vector_typeIjLj3EESC_SC_SC_SC_iiiiiiiiiiiDpT3_
                                        ; -- End function
	.set _ZL11k_bin_bcastIXadL_ZL6op_addffEE6__halfffJPKfEEvPKT0_PKT1_PT2_iii15HIP_vector_typeIjLj3EESC_SC_SC_SC_iiiiiiiiiiiDpT3_.num_vgpr, 13
	.set _ZL11k_bin_bcastIXadL_ZL6op_addffEE6__halfffJPKfEEvPKT0_PKT1_PT2_iii15HIP_vector_typeIjLj3EESC_SC_SC_SC_iiiiiiiiiiiDpT3_.num_agpr, 0
	.set _ZL11k_bin_bcastIXadL_ZL6op_addffEE6__halfffJPKfEEvPKT0_PKT1_PT2_iii15HIP_vector_typeIjLj3EESC_SC_SC_SC_iiiiiiiiiiiDpT3_.numbered_sgpr, 39
	.set _ZL11k_bin_bcastIXadL_ZL6op_addffEE6__halfffJPKfEEvPKT0_PKT1_PT2_iii15HIP_vector_typeIjLj3EESC_SC_SC_SC_iiiiiiiiiiiDpT3_.num_named_barrier, 0
	.set _ZL11k_bin_bcastIXadL_ZL6op_addffEE6__halfffJPKfEEvPKT0_PKT1_PT2_iii15HIP_vector_typeIjLj3EESC_SC_SC_SC_iiiiiiiiiiiDpT3_.private_seg_size, 0
	.set _ZL11k_bin_bcastIXadL_ZL6op_addffEE6__halfffJPKfEEvPKT0_PKT1_PT2_iii15HIP_vector_typeIjLj3EESC_SC_SC_SC_iiiiiiiiiiiDpT3_.uses_vcc, 1
	.set _ZL11k_bin_bcastIXadL_ZL6op_addffEE6__halfffJPKfEEvPKT0_PKT1_PT2_iii15HIP_vector_typeIjLj3EESC_SC_SC_SC_iiiiiiiiiiiDpT3_.uses_flat_scratch, 0
	.set _ZL11k_bin_bcastIXadL_ZL6op_addffEE6__halfffJPKfEEvPKT0_PKT1_PT2_iii15HIP_vector_typeIjLj3EESC_SC_SC_SC_iiiiiiiiiiiDpT3_.has_dyn_sized_stack, 0
	.set _ZL11k_bin_bcastIXadL_ZL6op_addffEE6__halfffJPKfEEvPKT0_PKT1_PT2_iii15HIP_vector_typeIjLj3EESC_SC_SC_SC_iiiiiiiiiiiDpT3_.has_recursion, 0
	.set _ZL11k_bin_bcastIXadL_ZL6op_addffEE6__halfffJPKfEEvPKT0_PKT1_PT2_iii15HIP_vector_typeIjLj3EESC_SC_SC_SC_iiiiiiiiiiiDpT3_.has_indirect_call, 0
	.section	.AMDGPU.csdata,"",@progbits
; Kernel info:
; codeLenInByte = 892
; TotalNumSgprs: 41
; NumVgprs: 13
; ScratchSize: 0
; MemoryBound: 0
; FloatMode: 240
; IeeeMode: 1
; LDSByteSize: 0 bytes/workgroup (compile time only)
; SGPRBlocks: 0
; VGPRBlocks: 0
; NumSGPRsForWavesPerEU: 41
; NumVGPRsForWavesPerEU: 13
; NamedBarCnt: 0
; Occupancy: 16
; WaveLimiterHint : 1
; COMPUTE_PGM_RSRC2:SCRATCH_EN: 0
; COMPUTE_PGM_RSRC2:USER_SGPR: 2
; COMPUTE_PGM_RSRC2:TRAP_HANDLER: 0
; COMPUTE_PGM_RSRC2:TGID_X_EN: 1
; COMPUTE_PGM_RSRC2:TGID_Y_EN: 1
; COMPUTE_PGM_RSRC2:TGID_Z_EN: 1
; COMPUTE_PGM_RSRC2:TIDIG_COMP_CNT: 2
	.section	.text._ZL19k_bin_bcast_unravelIXadL_ZL6op_subffEEfffJPKfEEvPKT0_PKT1_PT2_15HIP_vector_typeIjLj3EESB_SB_jSB_SB_SB_SB_SB_SB_iiiiiiiiiiiDpT3_,"axG",@progbits,_ZL19k_bin_bcast_unravelIXadL_ZL6op_subffEEfffJPKfEEvPKT0_PKT1_PT2_15HIP_vector_typeIjLj3EESB_SB_jSB_SB_SB_SB_SB_SB_iiiiiiiiiiiDpT3_,comdat
	.globl	_ZL19k_bin_bcast_unravelIXadL_ZL6op_subffEEfffJPKfEEvPKT0_PKT1_PT2_15HIP_vector_typeIjLj3EESB_SB_jSB_SB_SB_SB_SB_SB_iiiiiiiiiiiDpT3_ ; -- Begin function _ZL19k_bin_bcast_unravelIXadL_ZL6op_subffEEfffJPKfEEvPKT0_PKT1_PT2_15HIP_vector_typeIjLj3EESB_SB_jSB_SB_SB_SB_SB_SB_iiiiiiiiiiiDpT3_
	.p2align	8
	.type	_ZL19k_bin_bcast_unravelIXadL_ZL6op_subffEEfffJPKfEEvPKT0_PKT1_PT2_15HIP_vector_typeIjLj3EESB_SB_jSB_SB_SB_SB_SB_SB_iiiiiiiiiiiDpT3_,@function
_ZL19k_bin_bcast_unravelIXadL_ZL6op_subffEEfffJPKfEEvPKT0_PKT1_PT2_15HIP_vector_typeIjLj3EESB_SB_jSB_SB_SB_SB_SB_SB_iiiiiiiiiiiDpT3_: ; @_ZL19k_bin_bcast_unravelIXadL_ZL6op_subffEEfffJPKfEEvPKT0_PKT1_PT2_15HIP_vector_typeIjLj3EESB_SB_jSB_SB_SB_SB_SB_SB_iiiiiiiiiiiDpT3_
; %bb.0:
	s_load_b32 s2, s[0:1], 0xcc
	s_bfe_u32 s3, ttmp6, 0x4000c
	s_load_b256 s[4:11], s[0:1], 0x38
	s_add_co_i32 s3, s3, 1
	s_and_b32 s12, ttmp6, 15
	s_mul_i32 s3, ttmp9, s3
	s_getreg_b32 s13, hwreg(HW_REG_IB_STS2, 6, 4)
	s_add_co_i32 s12, s12, s3
	s_wait_kmcnt 0x0
	s_and_b32 s2, s2, 0xffff
	s_cmp_eq_u32 s13, 0
	s_cselect_b32 s3, ttmp9, s12
	s_delay_alu instid0(SALU_CYCLE_1) | instskip(SKIP_1) | instid1(VALU_DEP_1)
	v_mad_u32 v0, s3, s2, v0
	s_load_b32 s2, s[0:1], 0x2c
	v_mul_hi_u32 v1, v0, s6
	s_delay_alu instid0(VALU_DEP_1) | instskip(NEXT) | instid1(VALU_DEP_1)
	v_add_nc_u32_e32 v1, v0, v1
	v_lshrrev_b32_e32 v1, s7, v1
	s_delay_alu instid0(VALU_DEP_1) | instskip(NEXT) | instid1(VALU_DEP_1)
	v_mul_lo_u32 v2, v1, s8
	v_sub_nc_u32_e32 v0, v0, v2
	s_delay_alu instid0(VALU_DEP_1) | instskip(NEXT) | instid1(VALU_DEP_1)
	v_mul_hi_u32 v2, v0, s9
	v_add_nc_u32_e32 v2, v0, v2
	s_delay_alu instid0(VALU_DEP_1) | instskip(SKIP_1) | instid1(VALU_DEP_1)
	v_lshrrev_b32_e32 v2, s10, v2
	s_load_b96 s[8:10], s[0:1], 0x18
	v_mul_lo_u32 v3, v2, s11
	s_delay_alu instid0(VALU_DEP_1) | instskip(SKIP_3) | instid1(VALU_DEP_3)
	v_sub_nc_u32_e32 v0, v0, v3
	v_cmp_gt_u32_e64 s3, s4, v2
	v_cmp_gt_u32_e64 s4, s5, v1
	s_wait_kmcnt 0x0
	v_mul_hi_u32 v3, v0, s8
	s_delay_alu instid0(VALU_DEP_1) | instskip(NEXT) | instid1(VALU_DEP_1)
	v_add_nc_u32_e32 v3, v0, v3
	v_lshrrev_b32_e32 v4, s9, v3
	s_delay_alu instid0(VALU_DEP_1) | instskip(NEXT) | instid1(VALU_DEP_1)
	v_mul_lo_u32 v3, v4, s10
	v_sub_nc_u32_e32 v0, v0, v3
	v_cmp_gt_u32_e64 s2, s2, v4
	s_delay_alu instid0(VALU_DEP_2) | instskip(SKIP_1) | instid1(SALU_CYCLE_1)
	v_cmp_gt_u32_e32 vcc_lo, s10, v0
	s_and_b32 s2, vcc_lo, s2
	s_and_b32 s2, s2, s3
	s_delay_alu instid0(SALU_CYCLE_1) | instskip(NEXT) | instid1(SALU_CYCLE_1)
	s_and_b32 s2, s4, s2
	s_and_saveexec_b32 s3, s2
	s_cbranch_execz .LBB16_4
; %bb.1:
	s_clause 0x4
	s_load_b64 s[2:3], s[0:1], 0x0
	s_load_b96 s[24:26], s[0:1], 0xa8
	s_load_b256 s[4:11], s[0:1], 0x88
	s_load_b128 s[20:23], s[0:1], 0x78
	s_load_b256 s[12:19], s[0:1], 0x58
	v_dual_mov_b32 v3, 0 :: v_dual_mov_b32 v5, 0
	s_wait_kmcnt 0x0
	s_cmp_eq_u64 s[2:3], 0
	s_cbranch_scc1 .LBB16_3
; %bb.2:
	v_mul_lo_u32 v5, v1, s10
	v_mov_b32_e32 v7, 0
	s_delay_alu instid0(VALU_DEP_2) | instskip(NEXT) | instid1(VALU_DEP_1)
	v_mad_u32 v5, v2, s9, v5
	v_mad_u32 v6, v4, s8, v5
	s_delay_alu instid0(VALU_DEP_1) | instskip(SKIP_1) | instid1(VALU_DEP_1)
	v_lshl_add_u64 v[8:9], v[6:7], 2, s[2:3]
	v_mul_lo_u32 v6, v0, s7
	v_lshl_add_u64 v[6:7], v[6:7], 2, v[8:9]
	global_load_b32 v5, v[6:7], off
.LBB16_3:
	s_wait_xcnt 0x0
	v_mul_hi_u32 v6, s21, v1
	v_mul_hi_u32 v7, s18, v2
	;; [unrolled: 1-line block ×4, first 2 shown]
	s_load_b64 s[2:3], s[0:1], 0xb8
	s_delay_alu instid0(VALU_DEP_3) | instskip(SKIP_2) | instid1(VALU_DEP_3)
	v_dual_add_nc_u32 v6, v1, v6 :: v_dual_add_nc_u32 v7, v2, v7
	s_wait_xcnt 0x0
	s_load_b64 s[0:1], s[0:1], 0x10
	v_add_nc_u32_e32 v8, v4, v8
	s_delay_alu instid0(VALU_DEP_2) | instskip(NEXT) | instid1(VALU_DEP_2)
	v_dual_add_nc_u32 v9, v0, v9 :: v_dual_lshrrev_b32 v6, s22, v6
	v_dual_lshrrev_b32 v7, s19, v7 :: v_dual_lshrrev_b32 v8, s16, v8
	s_delay_alu instid0(VALU_DEP_2) | instskip(NEXT) | instid1(VALU_DEP_2)
	v_mul_lo_u32 v6, v6, s23
	v_mul_lo_u32 v7, v7, s20
	s_delay_alu instid0(VALU_DEP_4) | instskip(NEXT) | instid1(VALU_DEP_4)
	v_lshrrev_b32_e32 v9, s13, v9
	v_mul_lo_u32 v8, v8, s17
	s_delay_alu instid0(VALU_DEP_3) | instskip(NEXT) | instid1(VALU_DEP_3)
	v_dual_sub_nc_u32 v6, v1, v6 :: v_dual_sub_nc_u32 v7, v2, v7
	v_mul_lo_u32 v9, v9, s14
	v_mul_lo_u32 v1, v1, s6
	s_delay_alu instid0(VALU_DEP_3) | instskip(NEXT) | instid1(VALU_DEP_2)
	v_mul_lo_u32 v6, v6, s26
	v_mad_u32 v1, v2, s5, v1
	s_delay_alu instid0(VALU_DEP_2) | instskip(SKIP_2) | instid1(VALU_DEP_1)
	v_mad_u32 v6, v7, s25, v6
	v_sub_nc_u32_e32 v7, v4, v8
	v_sub_nc_u32_e32 v8, v0, v9
	v_mul_lo_u32 v8, v8, s11
	v_mad_u32 v2, v4, s4, v1
	s_delay_alu instid0(VALU_DEP_2) | instskip(SKIP_1) | instid1(VALU_DEP_1)
	v_ashrrev_i32_e32 v9, 31, v8
	v_mad_u32 v6, v7, s24, v6
	v_ashrrev_i32_e32 v7, 31, v6
	s_wait_kmcnt 0x0
	s_delay_alu instid0(VALU_DEP_1) | instskip(NEXT) | instid1(VALU_DEP_1)
	v_lshl_add_u64 v[6:7], v[6:7], 2, s[2:3]
	v_lshl_add_u64 v[6:7], v[8:9], 2, v[6:7]
	global_load_b32 v6, v[6:7], off
	v_mov_b32_e32 v1, v3
	v_lshl_add_u64 v[2:3], v[2:3], 2, s[0:1]
	s_wait_loadcnt 0x0
	v_sub_f32_e32 v4, v5, v6
	s_delay_alu instid0(VALU_DEP_2)
	v_lshl_add_u64 v[0:1], v[0:1], 2, v[2:3]
	global_store_b32 v[0:1], v4, off
.LBB16_4:
	s_endpgm
	.section	.rodata,"a",@progbits
	.p2align	6, 0x0
	.amdhsa_kernel _ZL19k_bin_bcast_unravelIXadL_ZL6op_subffEEfffJPKfEEvPKT0_PKT1_PT2_15HIP_vector_typeIjLj3EESB_SB_jSB_SB_SB_SB_SB_SB_iiiiiiiiiiiDpT3_
		.amdhsa_group_segment_fixed_size 0
		.amdhsa_private_segment_fixed_size 0
		.amdhsa_kernarg_size 448
		.amdhsa_user_sgpr_count 2
		.amdhsa_user_sgpr_dispatch_ptr 0
		.amdhsa_user_sgpr_queue_ptr 0
		.amdhsa_user_sgpr_kernarg_segment_ptr 1
		.amdhsa_user_sgpr_dispatch_id 0
		.amdhsa_user_sgpr_kernarg_preload_length 0
		.amdhsa_user_sgpr_kernarg_preload_offset 0
		.amdhsa_user_sgpr_private_segment_size 0
		.amdhsa_wavefront_size32 1
		.amdhsa_uses_dynamic_stack 0
		.amdhsa_enable_private_segment 0
		.amdhsa_system_sgpr_workgroup_id_x 1
		.amdhsa_system_sgpr_workgroup_id_y 0
		.amdhsa_system_sgpr_workgroup_id_z 0
		.amdhsa_system_sgpr_workgroup_info 0
		.amdhsa_system_vgpr_workitem_id 0
		.amdhsa_next_free_vgpr 10
		.amdhsa_next_free_sgpr 27
		.amdhsa_named_barrier_count 0
		.amdhsa_reserve_vcc 1
		.amdhsa_float_round_mode_32 0
		.amdhsa_float_round_mode_16_64 0
		.amdhsa_float_denorm_mode_32 3
		.amdhsa_float_denorm_mode_16_64 3
		.amdhsa_fp16_overflow 0
		.amdhsa_memory_ordered 1
		.amdhsa_forward_progress 1
		.amdhsa_inst_pref_size 6
		.amdhsa_round_robin_scheduling 0
		.amdhsa_exception_fp_ieee_invalid_op 0
		.amdhsa_exception_fp_denorm_src 0
		.amdhsa_exception_fp_ieee_div_zero 0
		.amdhsa_exception_fp_ieee_overflow 0
		.amdhsa_exception_fp_ieee_underflow 0
		.amdhsa_exception_fp_ieee_inexact 0
		.amdhsa_exception_int_div_zero 0
	.end_amdhsa_kernel
	.section	.text._ZL19k_bin_bcast_unravelIXadL_ZL6op_subffEEfffJPKfEEvPKT0_PKT1_PT2_15HIP_vector_typeIjLj3EESB_SB_jSB_SB_SB_SB_SB_SB_iiiiiiiiiiiDpT3_,"axG",@progbits,_ZL19k_bin_bcast_unravelIXadL_ZL6op_subffEEfffJPKfEEvPKT0_PKT1_PT2_15HIP_vector_typeIjLj3EESB_SB_jSB_SB_SB_SB_SB_SB_iiiiiiiiiiiDpT3_,comdat
.Lfunc_end16:
	.size	_ZL19k_bin_bcast_unravelIXadL_ZL6op_subffEEfffJPKfEEvPKT0_PKT1_PT2_15HIP_vector_typeIjLj3EESB_SB_jSB_SB_SB_SB_SB_SB_iiiiiiiiiiiDpT3_, .Lfunc_end16-_ZL19k_bin_bcast_unravelIXadL_ZL6op_subffEEfffJPKfEEvPKT0_PKT1_PT2_15HIP_vector_typeIjLj3EESB_SB_jSB_SB_SB_SB_SB_SB_iiiiiiiiiiiDpT3_
                                        ; -- End function
	.set _ZL19k_bin_bcast_unravelIXadL_ZL6op_subffEEfffJPKfEEvPKT0_PKT1_PT2_15HIP_vector_typeIjLj3EESB_SB_jSB_SB_SB_SB_SB_SB_iiiiiiiiiiiDpT3_.num_vgpr, 10
	.set _ZL19k_bin_bcast_unravelIXadL_ZL6op_subffEEfffJPKfEEvPKT0_PKT1_PT2_15HIP_vector_typeIjLj3EESB_SB_jSB_SB_SB_SB_SB_SB_iiiiiiiiiiiDpT3_.num_agpr, 0
	.set _ZL19k_bin_bcast_unravelIXadL_ZL6op_subffEEfffJPKfEEvPKT0_PKT1_PT2_15HIP_vector_typeIjLj3EESB_SB_jSB_SB_SB_SB_SB_SB_iiiiiiiiiiiDpT3_.numbered_sgpr, 27
	.set _ZL19k_bin_bcast_unravelIXadL_ZL6op_subffEEfffJPKfEEvPKT0_PKT1_PT2_15HIP_vector_typeIjLj3EESB_SB_jSB_SB_SB_SB_SB_SB_iiiiiiiiiiiDpT3_.num_named_barrier, 0
	.set _ZL19k_bin_bcast_unravelIXadL_ZL6op_subffEEfffJPKfEEvPKT0_PKT1_PT2_15HIP_vector_typeIjLj3EESB_SB_jSB_SB_SB_SB_SB_SB_iiiiiiiiiiiDpT3_.private_seg_size, 0
	.set _ZL19k_bin_bcast_unravelIXadL_ZL6op_subffEEfffJPKfEEvPKT0_PKT1_PT2_15HIP_vector_typeIjLj3EESB_SB_jSB_SB_SB_SB_SB_SB_iiiiiiiiiiiDpT3_.uses_vcc, 1
	.set _ZL19k_bin_bcast_unravelIXadL_ZL6op_subffEEfffJPKfEEvPKT0_PKT1_PT2_15HIP_vector_typeIjLj3EESB_SB_jSB_SB_SB_SB_SB_SB_iiiiiiiiiiiDpT3_.uses_flat_scratch, 0
	.set _ZL19k_bin_bcast_unravelIXadL_ZL6op_subffEEfffJPKfEEvPKT0_PKT1_PT2_15HIP_vector_typeIjLj3EESB_SB_jSB_SB_SB_SB_SB_SB_iiiiiiiiiiiDpT3_.has_dyn_sized_stack, 0
	.set _ZL19k_bin_bcast_unravelIXadL_ZL6op_subffEEfffJPKfEEvPKT0_PKT1_PT2_15HIP_vector_typeIjLj3EESB_SB_jSB_SB_SB_SB_SB_SB_iiiiiiiiiiiDpT3_.has_recursion, 0
	.set _ZL19k_bin_bcast_unravelIXadL_ZL6op_subffEEfffJPKfEEvPKT0_PKT1_PT2_15HIP_vector_typeIjLj3EESB_SB_jSB_SB_SB_SB_SB_SB_iiiiiiiiiiiDpT3_.has_indirect_call, 0
	.section	.AMDGPU.csdata,"",@progbits
; Kernel info:
; codeLenInByte = 736
; TotalNumSgprs: 29
; NumVgprs: 10
; ScratchSize: 0
; MemoryBound: 0
; FloatMode: 240
; IeeeMode: 1
; LDSByteSize: 0 bytes/workgroup (compile time only)
; SGPRBlocks: 0
; VGPRBlocks: 0
; NumSGPRsForWavesPerEU: 29
; NumVGPRsForWavesPerEU: 10
; NamedBarCnt: 0
; Occupancy: 16
; WaveLimiterHint : 1
; COMPUTE_PGM_RSRC2:SCRATCH_EN: 0
; COMPUTE_PGM_RSRC2:USER_SGPR: 2
; COMPUTE_PGM_RSRC2:TRAP_HANDLER: 0
; COMPUTE_PGM_RSRC2:TGID_X_EN: 1
; COMPUTE_PGM_RSRC2:TGID_Y_EN: 0
; COMPUTE_PGM_RSRC2:TGID_Z_EN: 0
; COMPUTE_PGM_RSRC2:TIDIG_COMP_CNT: 0
	.section	.text._ZL11k_bin_bcastIXadL_ZL6op_subffEEfffJPKfEEvPKT0_PKT1_PT2_iii15HIP_vector_typeIjLj3EESB_SB_SB_SB_iiiiiiiiiiiDpT3_,"axG",@progbits,_ZL11k_bin_bcastIXadL_ZL6op_subffEEfffJPKfEEvPKT0_PKT1_PT2_iii15HIP_vector_typeIjLj3EESB_SB_SB_SB_iiiiiiiiiiiDpT3_,comdat
	.globl	_ZL11k_bin_bcastIXadL_ZL6op_subffEEfffJPKfEEvPKT0_PKT1_PT2_iii15HIP_vector_typeIjLj3EESB_SB_SB_SB_iiiiiiiiiiiDpT3_ ; -- Begin function _ZL11k_bin_bcastIXadL_ZL6op_subffEEfffJPKfEEvPKT0_PKT1_PT2_iii15HIP_vector_typeIjLj3EESB_SB_SB_SB_iiiiiiiiiiiDpT3_
	.p2align	8
	.type	_ZL11k_bin_bcastIXadL_ZL6op_subffEEfffJPKfEEvPKT0_PKT1_PT2_iii15HIP_vector_typeIjLj3EESB_SB_SB_SB_iiiiiiiiiiiDpT3_,@function
_ZL11k_bin_bcastIXadL_ZL6op_subffEEfffJPKfEEvPKT0_PKT1_PT2_iii15HIP_vector_typeIjLj3EESB_SB_SB_SB_iiiiiiiiiiiDpT3_: ; @_ZL11k_bin_bcastIXadL_ZL6op_subffEEfffJPKfEEvPKT0_PKT1_PT2_iii15HIP_vector_typeIjLj3EESB_SB_SB_SB_iiiiiiiiiiiDpT3_
; %bb.0:
	s_load_b64 s[2:3], s[0:1], 0xa4
	s_bfe_u32 s5, ttmp6, 0x40014
	s_bfe_u32 s16, ttmp6, 0x40010
	;; [unrolled: 1-line block ×3, first 2 shown]
	s_lshr_b32 s4, ttmp7, 16
	s_and_b32 s7, ttmp7, 0xffff
	s_add_co_i32 s5, s5, 1
	s_add_co_i32 s16, s16, 1
	s_load_b256 s[8:15], s[0:1], 0x18
	s_add_co_i32 s19, s19, 1
	s_bfe_u32 s6, ttmp6, 0x40008
	s_bfe_u32 s17, ttmp6, 0x40004
	s_mul_i32 s5, s4, s5
	s_mul_i32 s16, s7, s16
	s_and_b32 s18, ttmp6, 15
	s_mul_i32 s19, ttmp9, s19
	s_add_co_i32 s6, s6, s5
	s_add_co_i32 s17, s17, s16
	;; [unrolled: 1-line block ×3, first 2 shown]
	v_bfe_u32 v1, v0, 20, 10
	s_wait_kmcnt 0x0
	s_lshr_b32 s16, s2, 16
	s_and_b32 s5, s2, 0xffff
	s_getreg_b32 s2, hwreg(HW_REG_IB_STS2, 6, 4)
	s_and_b32 s3, s3, 0xffff
	s_cmp_eq_u32 s2, 0
	v_and_b32_e32 v3, 0x3ff, v0
	s_cselect_b32 s2, s4, s6
	v_bfe_u32 v4, v0, 10, 10
	v_mad_u32 v2, s2, s3, v1
	s_cselect_b32 s2, ttmp9, s18
	s_cselect_b32 s3, s7, s17
	v_mad_u32 v0, s2, s5, v3
	v_mad_u32 v3, s3, s16, v4
	s_delay_alu instid0(VALU_DEP_3) | instskip(NEXT) | instid1(VALU_DEP_3)
	v_mul_hi_u32 v1, v2, s11
	v_cmp_gt_u32_e32 vcc_lo, s8, v0
	s_delay_alu instid0(VALU_DEP_3) | instskip(SKIP_2) | instid1(VALU_DEP_1)
	v_cmp_gt_u32_e64 s2, s9, v3
	s_and_b32 s2, vcc_lo, s2
	v_add_nc_u32_e32 v1, v2, v1
	v_lshrrev_b32_e32 v1, s12, v1
	s_delay_alu instid0(VALU_DEP_1) | instskip(SKIP_3) | instid1(VALU_DEP_1)
	v_mul_lo_u32 v5, v1, s13
	v_cmp_gt_u32_e64 s3, s10, v1
	s_and_b32 s2, s2, s3
	v_sub_nc_u32_e32 v2, v2, v5
	v_cmp_gt_u32_e64 s4, s13, v2
	s_and_b32 s2, s2, s4
	s_delay_alu instid0(SALU_CYCLE_1)
	s_and_saveexec_b32 s3, s2
	s_cbranch_execz .LBB17_6
; %bb.1:
	v_cmp_gt_i32_e32 vcc_lo, s8, v0
	s_and_b32 exec_lo, exec_lo, vcc_lo
	s_cbranch_execz .LBB17_6
; %bb.2:
	s_clause 0x4
	s_load_b256 s[24:31], s[0:1], 0x3c
	s_load_b32 s2, s[0:1], 0x5c
	s_load_b256 s[16:23], s[0:1], 0x60
	s_load_b96 s[36:38], s[0:1], 0x80
	s_load_b64 s[6:7], s[0:1], 0x90
	s_wait_kmcnt 0x0
	v_mul_hi_u32 v4, s30, v2
	v_mul_hi_u32 v5, s27, v1
	;; [unrolled: 1-line block ×3, first 2 shown]
	v_mul_lo_u32 v7, v3, s20
	v_mul_lo_u32 v8, v3, s16
	s_delay_alu instid0(VALU_DEP_4) | instskip(NEXT) | instid1(VALU_DEP_3)
	v_dual_add_nc_u32 v4, v2, v4 :: v_dual_add_nc_u32 v5, v1, v5
	v_mad_u32 v7, v1, s21, v7
	s_delay_alu instid0(VALU_DEP_3) | instskip(NEXT) | instid1(VALU_DEP_3)
	v_mad_u32 v8, v1, s17, v8
	v_dual_lshrrev_b32 v4, s31, v4 :: v_dual_lshrrev_b32 v5, s28, v5
	s_delay_alu instid0(VALU_DEP_1) | instskip(SKIP_1) | instid1(VALU_DEP_3)
	v_mul_lo_u32 v4, v4, s2
	v_add_nc_u32_e32 v6, v3, v6
	v_mul_lo_u32 v5, v5, s29
	s_add_nc_u64 s[2:3], s[0:1], 0x98
	s_load_b64 s[10:11], s[0:1], 0x0
	s_load_b32 s4, s[2:3], 0x0
	s_clause 0x1
	s_load_b64 s[12:13], s[0:1], 0x10
	s_load_b32 s9, s[0:1], 0x38
	s_wait_xcnt 0x0
	s_mov_b32 s1, 0
	s_mov_b32 s0, s14
	v_dual_sub_nc_u32 v4, v2, v4 :: v_dual_lshrrev_b32 v6, s25, v6
	v_dual_sub_nc_u32 v5, v1, v5 :: v_dual_mov_b32 v1, 0
	s_delay_alu instid0(VALU_DEP_2) | instskip(NEXT) | instid1(VALU_DEP_3)
	v_mul_lo_u32 v4, v4, s38
	v_mul_lo_u32 v6, v6, s26
	s_delay_alu instid0(VALU_DEP_3)
	v_mov_b32_e32 v9, v1
	s_wait_kmcnt 0x0
	s_cmp_lg_u64 s[10:11], 0
	s_mul_i32 s2, s4, s5
	s_cselect_b32 s3, -1, 0
	s_mul_i32 s4, s2, s19
	s_delay_alu instid0(VALU_DEP_3) | instskip(NEXT) | instid1(VALU_DEP_3)
	v_mad_u32 v5, v5, s37, v4
	v_sub_nc_u32_e32 v3, v3, v6
	v_mad_u32 v4, v2, s22, v7
	v_mad_u32 v6, v2, s18, v8
	v_mul_lo_u32 v2, s19, v0
	s_sub_co_i32 s5, 0, s9
	v_mov_b32_e32 v7, v1
	v_mad_u32 v8, v3, s36, v5
	v_mov_b32_e32 v5, v1
	s_delay_alu instid0(VALU_DEP_3) | instskip(NEXT) | instid1(VALU_DEP_2)
	v_lshl_add_u64 v[6:7], v[6:7], 2, s[12:13]
	v_lshl_add_u64 v[4:5], v[4:5], 2, s[10:11]
	s_delay_alu instid0(VALU_DEP_4)
	v_lshl_add_u64 v[8:9], v[8:9], 2, s[6:7]
	s_mov_b32 s6, s1
	s_branch .LBB17_4
.LBB17_3:                               ;   in Loop: Header=BB17_4 Depth=1
	s_wait_xcnt 0x0
	v_mul_u64_e32 v[10:11], s[0:1], v[0:1]
	s_delay_alu instid0(VALU_DEP_1) | instskip(NEXT) | instid1(VALU_DEP_1)
	v_dual_add_nc_u32 v2, s4, v2 :: v_dual_add_nc_u32 v10, v0, v11
	v_dual_mov_b32 v11, v1 :: v_dual_lshrrev_b32 v10, s15, v10
	s_delay_alu instid0(VALU_DEP_1) | instskip(NEXT) | instid1(VALU_DEP_1)
	v_mad_u32 v10, s5, v10, v0
	v_mul_lo_u32 v10, v10, s23
	s_delay_alu instid0(VALU_DEP_1) | instskip(SKIP_4) | instid1(VALU_DEP_2)
	v_lshl_add_u64 v[10:11], v[10:11], 2, v[8:9]
	global_load_b32 v12, v[10:11], off
	s_wait_xcnt 0x0
	v_dual_mov_b32 v10, v0 :: v_dual_ashrrev_i32 v11, 31, v0
	v_add_nc_u32_e32 v0, s2, v0
	v_lshl_add_u64 v[10:11], v[10:11], 2, v[6:7]
	s_delay_alu instid0(VALU_DEP_2)
	v_cmp_le_i32_e32 vcc_lo, s8, v0
	s_or_b32 s6, vcc_lo, s6
	s_wait_loadcnt 0x0
	v_sub_f32_e32 v3, v3, v12
	global_store_b32 v[10:11], v3, off
	s_wait_xcnt 0x0
	s_and_not1_b32 exec_lo, exec_lo, s6
	s_cbranch_execz .LBB17_6
.LBB17_4:                               ; =>This Inner Loop Header: Depth=1
	v_mov_b32_e32 v3, 0
	s_and_not1_b32 vcc_lo, exec_lo, s3
	s_cbranch_vccnz .LBB17_3
; %bb.5:                                ;   in Loop: Header=BB17_4 Depth=1
	v_ashrrev_i32_e32 v3, 31, v2
	s_delay_alu instid0(VALU_DEP_1)
	v_lshl_add_u64 v[10:11], v[2:3], 2, v[4:5]
	global_load_b32 v3, v[10:11], off
	s_branch .LBB17_3
.LBB17_6:
	s_endpgm
	.section	.rodata,"a",@progbits
	.p2align	6, 0x0
	.amdhsa_kernel _ZL11k_bin_bcastIXadL_ZL6op_subffEEfffJPKfEEvPKT0_PKT1_PT2_iii15HIP_vector_typeIjLj3EESB_SB_SB_SB_iiiiiiiiiiiDpT3_
		.amdhsa_group_segment_fixed_size 0
		.amdhsa_private_segment_fixed_size 0
		.amdhsa_kernarg_size 408
		.amdhsa_user_sgpr_count 2
		.amdhsa_user_sgpr_dispatch_ptr 0
		.amdhsa_user_sgpr_queue_ptr 0
		.amdhsa_user_sgpr_kernarg_segment_ptr 1
		.amdhsa_user_sgpr_dispatch_id 0
		.amdhsa_user_sgpr_kernarg_preload_length 0
		.amdhsa_user_sgpr_kernarg_preload_offset 0
		.amdhsa_user_sgpr_private_segment_size 0
		.amdhsa_wavefront_size32 1
		.amdhsa_uses_dynamic_stack 0
		.amdhsa_enable_private_segment 0
		.amdhsa_system_sgpr_workgroup_id_x 1
		.amdhsa_system_sgpr_workgroup_id_y 1
		.amdhsa_system_sgpr_workgroup_id_z 1
		.amdhsa_system_sgpr_workgroup_info 0
		.amdhsa_system_vgpr_workitem_id 2
		.amdhsa_next_free_vgpr 13
		.amdhsa_next_free_sgpr 39
		.amdhsa_named_barrier_count 0
		.amdhsa_reserve_vcc 1
		.amdhsa_float_round_mode_32 0
		.amdhsa_float_round_mode_16_64 0
		.amdhsa_float_denorm_mode_32 3
		.amdhsa_float_denorm_mode_16_64 3
		.amdhsa_fp16_overflow 0
		.amdhsa_memory_ordered 1
		.amdhsa_forward_progress 1
		.amdhsa_inst_pref_size 7
		.amdhsa_round_robin_scheduling 0
		.amdhsa_exception_fp_ieee_invalid_op 0
		.amdhsa_exception_fp_denorm_src 0
		.amdhsa_exception_fp_ieee_div_zero 0
		.amdhsa_exception_fp_ieee_overflow 0
		.amdhsa_exception_fp_ieee_underflow 0
		.amdhsa_exception_fp_ieee_inexact 0
		.amdhsa_exception_int_div_zero 0
	.end_amdhsa_kernel
	.section	.text._ZL11k_bin_bcastIXadL_ZL6op_subffEEfffJPKfEEvPKT0_PKT1_PT2_iii15HIP_vector_typeIjLj3EESB_SB_SB_SB_iiiiiiiiiiiDpT3_,"axG",@progbits,_ZL11k_bin_bcastIXadL_ZL6op_subffEEfffJPKfEEvPKT0_PKT1_PT2_iii15HIP_vector_typeIjLj3EESB_SB_SB_SB_iiiiiiiiiiiDpT3_,comdat
.Lfunc_end17:
	.size	_ZL11k_bin_bcastIXadL_ZL6op_subffEEfffJPKfEEvPKT0_PKT1_PT2_iii15HIP_vector_typeIjLj3EESB_SB_SB_SB_iiiiiiiiiiiDpT3_, .Lfunc_end17-_ZL11k_bin_bcastIXadL_ZL6op_subffEEfffJPKfEEvPKT0_PKT1_PT2_iii15HIP_vector_typeIjLj3EESB_SB_SB_SB_iiiiiiiiiiiDpT3_
                                        ; -- End function
	.set _ZL11k_bin_bcastIXadL_ZL6op_subffEEfffJPKfEEvPKT0_PKT1_PT2_iii15HIP_vector_typeIjLj3EESB_SB_SB_SB_iiiiiiiiiiiDpT3_.num_vgpr, 13
	.set _ZL11k_bin_bcastIXadL_ZL6op_subffEEfffJPKfEEvPKT0_PKT1_PT2_iii15HIP_vector_typeIjLj3EESB_SB_SB_SB_iiiiiiiiiiiDpT3_.num_agpr, 0
	.set _ZL11k_bin_bcastIXadL_ZL6op_subffEEfffJPKfEEvPKT0_PKT1_PT2_iii15HIP_vector_typeIjLj3EESB_SB_SB_SB_iiiiiiiiiiiDpT3_.numbered_sgpr, 39
	.set _ZL11k_bin_bcastIXadL_ZL6op_subffEEfffJPKfEEvPKT0_PKT1_PT2_iii15HIP_vector_typeIjLj3EESB_SB_SB_SB_iiiiiiiiiiiDpT3_.num_named_barrier, 0
	.set _ZL11k_bin_bcastIXadL_ZL6op_subffEEfffJPKfEEvPKT0_PKT1_PT2_iii15HIP_vector_typeIjLj3EESB_SB_SB_SB_iiiiiiiiiiiDpT3_.private_seg_size, 0
	.set _ZL11k_bin_bcastIXadL_ZL6op_subffEEfffJPKfEEvPKT0_PKT1_PT2_iii15HIP_vector_typeIjLj3EESB_SB_SB_SB_iiiiiiiiiiiDpT3_.uses_vcc, 1
	.set _ZL11k_bin_bcastIXadL_ZL6op_subffEEfffJPKfEEvPKT0_PKT1_PT2_iii15HIP_vector_typeIjLj3EESB_SB_SB_SB_iiiiiiiiiiiDpT3_.uses_flat_scratch, 0
	.set _ZL11k_bin_bcastIXadL_ZL6op_subffEEfffJPKfEEvPKT0_PKT1_PT2_iii15HIP_vector_typeIjLj3EESB_SB_SB_SB_iiiiiiiiiiiDpT3_.has_dyn_sized_stack, 0
	.set _ZL11k_bin_bcastIXadL_ZL6op_subffEEfffJPKfEEvPKT0_PKT1_PT2_iii15HIP_vector_typeIjLj3EESB_SB_SB_SB_iiiiiiiiiiiDpT3_.has_recursion, 0
	.set _ZL11k_bin_bcastIXadL_ZL6op_subffEEfffJPKfEEvPKT0_PKT1_PT2_iii15HIP_vector_typeIjLj3EESB_SB_SB_SB_iiiiiiiiiiiDpT3_.has_indirect_call, 0
	.section	.AMDGPU.csdata,"",@progbits
; Kernel info:
; codeLenInByte = 884
; TotalNumSgprs: 41
; NumVgprs: 13
; ScratchSize: 0
; MemoryBound: 0
; FloatMode: 240
; IeeeMode: 1
; LDSByteSize: 0 bytes/workgroup (compile time only)
; SGPRBlocks: 0
; VGPRBlocks: 0
; NumSGPRsForWavesPerEU: 41
; NumVGPRsForWavesPerEU: 13
; NamedBarCnt: 0
; Occupancy: 16
; WaveLimiterHint : 1
; COMPUTE_PGM_RSRC2:SCRATCH_EN: 0
; COMPUTE_PGM_RSRC2:USER_SGPR: 2
; COMPUTE_PGM_RSRC2:TRAP_HANDLER: 0
; COMPUTE_PGM_RSRC2:TGID_X_EN: 1
; COMPUTE_PGM_RSRC2:TGID_Y_EN: 1
; COMPUTE_PGM_RSRC2:TGID_Z_EN: 1
; COMPUTE_PGM_RSRC2:TIDIG_COMP_CNT: 2
	.section	.text._ZL19k_bin_bcast_unravelIXadL_ZL6op_subffEE6__halfS0_S0_JPKS0_EEvPKT0_PKT1_PT2_15HIP_vector_typeIjLj3EESC_SC_jSC_SC_SC_SC_SC_SC_iiiiiiiiiiiDpT3_,"axG",@progbits,_ZL19k_bin_bcast_unravelIXadL_ZL6op_subffEE6__halfS0_S0_JPKS0_EEvPKT0_PKT1_PT2_15HIP_vector_typeIjLj3EESC_SC_jSC_SC_SC_SC_SC_SC_iiiiiiiiiiiDpT3_,comdat
	.globl	_ZL19k_bin_bcast_unravelIXadL_ZL6op_subffEE6__halfS0_S0_JPKS0_EEvPKT0_PKT1_PT2_15HIP_vector_typeIjLj3EESC_SC_jSC_SC_SC_SC_SC_SC_iiiiiiiiiiiDpT3_ ; -- Begin function _ZL19k_bin_bcast_unravelIXadL_ZL6op_subffEE6__halfS0_S0_JPKS0_EEvPKT0_PKT1_PT2_15HIP_vector_typeIjLj3EESC_SC_jSC_SC_SC_SC_SC_SC_iiiiiiiiiiiDpT3_
	.p2align	8
	.type	_ZL19k_bin_bcast_unravelIXadL_ZL6op_subffEE6__halfS0_S0_JPKS0_EEvPKT0_PKT1_PT2_15HIP_vector_typeIjLj3EESC_SC_jSC_SC_SC_SC_SC_SC_iiiiiiiiiiiDpT3_,@function
_ZL19k_bin_bcast_unravelIXadL_ZL6op_subffEE6__halfS0_S0_JPKS0_EEvPKT0_PKT1_PT2_15HIP_vector_typeIjLj3EESC_SC_jSC_SC_SC_SC_SC_SC_iiiiiiiiiiiDpT3_: ; @_ZL19k_bin_bcast_unravelIXadL_ZL6op_subffEE6__halfS0_S0_JPKS0_EEvPKT0_PKT1_PT2_15HIP_vector_typeIjLj3EESC_SC_jSC_SC_SC_SC_SC_SC_iiiiiiiiiiiDpT3_
; %bb.0:
	s_load_b32 s2, s[0:1], 0xcc
	s_bfe_u32 s3, ttmp6, 0x4000c
	s_load_b256 s[4:11], s[0:1], 0x38
	s_add_co_i32 s3, s3, 1
	s_and_b32 s12, ttmp6, 15
	s_mul_i32 s3, ttmp9, s3
	s_getreg_b32 s13, hwreg(HW_REG_IB_STS2, 6, 4)
	s_add_co_i32 s12, s12, s3
	s_wait_kmcnt 0x0
	s_and_b32 s2, s2, 0xffff
	s_cmp_eq_u32 s13, 0
	s_cselect_b32 s3, ttmp9, s12
	s_delay_alu instid0(SALU_CYCLE_1) | instskip(SKIP_1) | instid1(VALU_DEP_1)
	v_mad_u32 v0, s3, s2, v0
	s_load_b32 s2, s[0:1], 0x2c
	v_mul_hi_u32 v1, v0, s6
	s_delay_alu instid0(VALU_DEP_1) | instskip(NEXT) | instid1(VALU_DEP_1)
	v_add_nc_u32_e32 v1, v0, v1
	v_lshrrev_b32_e32 v1, s7, v1
	s_delay_alu instid0(VALU_DEP_1) | instskip(NEXT) | instid1(VALU_DEP_1)
	v_mul_lo_u32 v2, v1, s8
	v_sub_nc_u32_e32 v0, v0, v2
	s_delay_alu instid0(VALU_DEP_1) | instskip(NEXT) | instid1(VALU_DEP_1)
	v_mul_hi_u32 v2, v0, s9
	v_add_nc_u32_e32 v2, v0, v2
	s_delay_alu instid0(VALU_DEP_1) | instskip(SKIP_1) | instid1(VALU_DEP_1)
	v_lshrrev_b32_e32 v2, s10, v2
	s_load_b96 s[8:10], s[0:1], 0x18
	v_mul_lo_u32 v3, v2, s11
	s_delay_alu instid0(VALU_DEP_1) | instskip(SKIP_3) | instid1(VALU_DEP_3)
	v_sub_nc_u32_e32 v0, v0, v3
	v_cmp_gt_u32_e64 s3, s4, v2
	v_cmp_gt_u32_e64 s4, s5, v1
	s_wait_kmcnt 0x0
	v_mul_hi_u32 v3, v0, s8
	s_delay_alu instid0(VALU_DEP_1) | instskip(NEXT) | instid1(VALU_DEP_1)
	v_add_nc_u32_e32 v3, v0, v3
	v_lshrrev_b32_e32 v4, s9, v3
	s_delay_alu instid0(VALU_DEP_1) | instskip(NEXT) | instid1(VALU_DEP_1)
	v_mul_lo_u32 v3, v4, s10
	v_sub_nc_u32_e32 v0, v0, v3
	v_cmp_gt_u32_e64 s2, s2, v4
	s_delay_alu instid0(VALU_DEP_2) | instskip(SKIP_1) | instid1(SALU_CYCLE_1)
	v_cmp_gt_u32_e32 vcc_lo, s10, v0
	s_and_b32 s2, vcc_lo, s2
	s_and_b32 s2, s2, s3
	s_delay_alu instid0(SALU_CYCLE_1) | instskip(NEXT) | instid1(SALU_CYCLE_1)
	s_and_b32 s2, s4, s2
	s_and_saveexec_b32 s3, s2
	s_cbranch_execz .LBB18_4
; %bb.1:
	s_clause 0x4
	s_load_b64 s[2:3], s[0:1], 0x0
	s_load_b96 s[24:26], s[0:1], 0xa8
	s_load_b256 s[4:11], s[0:1], 0x88
	s_load_b128 s[20:23], s[0:1], 0x78
	s_load_b256 s[12:19], s[0:1], 0x58
	v_dual_mov_b32 v3, 0 :: v_dual_mov_b32 v5, 0
	s_wait_kmcnt 0x0
	s_cmp_eq_u64 s[2:3], 0
	s_cbranch_scc1 .LBB18_3
; %bb.2:
	v_mul_lo_u32 v5, v1, s10
	v_mov_b32_e32 v7, 0
	s_delay_alu instid0(VALU_DEP_2) | instskip(NEXT) | instid1(VALU_DEP_1)
	v_mad_u32 v5, v2, s9, v5
	v_mad_u32 v6, v4, s8, v5
	s_delay_alu instid0(VALU_DEP_1) | instskip(SKIP_1) | instid1(VALU_DEP_1)
	v_lshl_add_u64 v[8:9], v[6:7], 1, s[2:3]
	v_mul_lo_u32 v6, v0, s7
	v_lshl_add_u64 v[6:7], v[6:7], 1, v[8:9]
	global_load_u16 v5, v[6:7], off
	s_wait_loadcnt 0x0
	v_cvt_f32_f16_e32 v5, v5
.LBB18_3:
	v_mul_hi_u32 v6, s21, v1
	v_mul_hi_u32 v7, s18, v2
	;; [unrolled: 1-line block ×4, first 2 shown]
	s_load_b64 s[2:3], s[0:1], 0xb8
	s_delay_alu instid0(VALU_DEP_3) | instskip(SKIP_2) | instid1(VALU_DEP_3)
	v_dual_add_nc_u32 v6, v1, v6 :: v_dual_add_nc_u32 v7, v2, v7
	s_wait_xcnt 0x0
	s_load_b64 s[0:1], s[0:1], 0x10
	v_add_nc_u32_e32 v8, v4, v8
	s_delay_alu instid0(VALU_DEP_2) | instskip(NEXT) | instid1(VALU_DEP_2)
	v_dual_add_nc_u32 v9, v0, v9 :: v_dual_lshrrev_b32 v6, s22, v6
	v_dual_lshrrev_b32 v7, s19, v7 :: v_dual_lshrrev_b32 v8, s16, v8
	s_delay_alu instid0(VALU_DEP_2) | instskip(NEXT) | instid1(VALU_DEP_2)
	v_mul_lo_u32 v6, v6, s23
	v_mul_lo_u32 v7, v7, s20
	s_delay_alu instid0(VALU_DEP_4) | instskip(NEXT) | instid1(VALU_DEP_4)
	v_lshrrev_b32_e32 v9, s13, v9
	v_mul_lo_u32 v8, v8, s17
	s_delay_alu instid0(VALU_DEP_3) | instskip(NEXT) | instid1(VALU_DEP_3)
	v_dual_sub_nc_u32 v6, v1, v6 :: v_dual_sub_nc_u32 v7, v2, v7
	v_mul_lo_u32 v9, v9, s14
	v_mul_lo_u32 v1, v1, s6
	s_delay_alu instid0(VALU_DEP_3) | instskip(NEXT) | instid1(VALU_DEP_2)
	v_mul_lo_u32 v6, v6, s26
	v_mad_u32 v1, v2, s5, v1
	s_delay_alu instid0(VALU_DEP_2) | instskip(SKIP_2) | instid1(VALU_DEP_1)
	v_mad_u32 v6, v7, s25, v6
	v_sub_nc_u32_e32 v7, v4, v8
	v_sub_nc_u32_e32 v8, v0, v9
	v_mul_lo_u32 v8, v8, s11
	v_mad_u32 v2, v4, s4, v1
	s_delay_alu instid0(VALU_DEP_2) | instskip(SKIP_1) | instid1(VALU_DEP_1)
	v_ashrrev_i32_e32 v9, 31, v8
	v_mad_u32 v6, v7, s24, v6
	v_ashrrev_i32_e32 v7, 31, v6
	s_wait_kmcnt 0x0
	s_delay_alu instid0(VALU_DEP_1) | instskip(NEXT) | instid1(VALU_DEP_1)
	v_lshl_add_u64 v[6:7], v[6:7], 1, s[2:3]
	v_lshl_add_u64 v[6:7], v[8:9], 1, v[6:7]
	global_load_u16 v6, v[6:7], off
	s_wait_loadcnt 0x0
	v_cvt_f32_f16_e32 v4, v6
	v_mov_b32_e32 v1, v3
	v_lshl_add_u64 v[2:3], v[2:3], 1, s[0:1]
	s_delay_alu instid0(VALU_DEP_3) | instskip(NEXT) | instid1(VALU_DEP_2)
	v_sub_f32_e32 v4, v5, v4
	v_lshl_add_u64 v[0:1], v[0:1], 1, v[2:3]
	s_delay_alu instid0(VALU_DEP_2)
	v_cvt_f16_f32_e32 v4, v4
	global_store_b16 v[0:1], v4, off
.LBB18_4:
	s_endpgm
	.section	.rodata,"a",@progbits
	.p2align	6, 0x0
	.amdhsa_kernel _ZL19k_bin_bcast_unravelIXadL_ZL6op_subffEE6__halfS0_S0_JPKS0_EEvPKT0_PKT1_PT2_15HIP_vector_typeIjLj3EESC_SC_jSC_SC_SC_SC_SC_SC_iiiiiiiiiiiDpT3_
		.amdhsa_group_segment_fixed_size 0
		.amdhsa_private_segment_fixed_size 0
		.amdhsa_kernarg_size 448
		.amdhsa_user_sgpr_count 2
		.amdhsa_user_sgpr_dispatch_ptr 0
		.amdhsa_user_sgpr_queue_ptr 0
		.amdhsa_user_sgpr_kernarg_segment_ptr 1
		.amdhsa_user_sgpr_dispatch_id 0
		.amdhsa_user_sgpr_kernarg_preload_length 0
		.amdhsa_user_sgpr_kernarg_preload_offset 0
		.amdhsa_user_sgpr_private_segment_size 0
		.amdhsa_wavefront_size32 1
		.amdhsa_uses_dynamic_stack 0
		.amdhsa_enable_private_segment 0
		.amdhsa_system_sgpr_workgroup_id_x 1
		.amdhsa_system_sgpr_workgroup_id_y 0
		.amdhsa_system_sgpr_workgroup_id_z 0
		.amdhsa_system_sgpr_workgroup_info 0
		.amdhsa_system_vgpr_workitem_id 0
		.amdhsa_next_free_vgpr 10
		.amdhsa_next_free_sgpr 27
		.amdhsa_named_barrier_count 0
		.amdhsa_reserve_vcc 1
		.amdhsa_float_round_mode_32 0
		.amdhsa_float_round_mode_16_64 0
		.amdhsa_float_denorm_mode_32 3
		.amdhsa_float_denorm_mode_16_64 3
		.amdhsa_fp16_overflow 0
		.amdhsa_memory_ordered 1
		.amdhsa_forward_progress 1
		.amdhsa_inst_pref_size 6
		.amdhsa_round_robin_scheduling 0
		.amdhsa_exception_fp_ieee_invalid_op 0
		.amdhsa_exception_fp_denorm_src 0
		.amdhsa_exception_fp_ieee_div_zero 0
		.amdhsa_exception_fp_ieee_overflow 0
		.amdhsa_exception_fp_ieee_underflow 0
		.amdhsa_exception_fp_ieee_inexact 0
		.amdhsa_exception_int_div_zero 0
	.end_amdhsa_kernel
	.section	.text._ZL19k_bin_bcast_unravelIXadL_ZL6op_subffEE6__halfS0_S0_JPKS0_EEvPKT0_PKT1_PT2_15HIP_vector_typeIjLj3EESC_SC_jSC_SC_SC_SC_SC_SC_iiiiiiiiiiiDpT3_,"axG",@progbits,_ZL19k_bin_bcast_unravelIXadL_ZL6op_subffEE6__halfS0_S0_JPKS0_EEvPKT0_PKT1_PT2_15HIP_vector_typeIjLj3EESC_SC_jSC_SC_SC_SC_SC_SC_iiiiiiiiiiiDpT3_,comdat
.Lfunc_end18:
	.size	_ZL19k_bin_bcast_unravelIXadL_ZL6op_subffEE6__halfS0_S0_JPKS0_EEvPKT0_PKT1_PT2_15HIP_vector_typeIjLj3EESC_SC_jSC_SC_SC_SC_SC_SC_iiiiiiiiiiiDpT3_, .Lfunc_end18-_ZL19k_bin_bcast_unravelIXadL_ZL6op_subffEE6__halfS0_S0_JPKS0_EEvPKT0_PKT1_PT2_15HIP_vector_typeIjLj3EESC_SC_jSC_SC_SC_SC_SC_SC_iiiiiiiiiiiDpT3_
                                        ; -- End function
	.set _ZL19k_bin_bcast_unravelIXadL_ZL6op_subffEE6__halfS0_S0_JPKS0_EEvPKT0_PKT1_PT2_15HIP_vector_typeIjLj3EESC_SC_jSC_SC_SC_SC_SC_SC_iiiiiiiiiiiDpT3_.num_vgpr, 10
	.set _ZL19k_bin_bcast_unravelIXadL_ZL6op_subffEE6__halfS0_S0_JPKS0_EEvPKT0_PKT1_PT2_15HIP_vector_typeIjLj3EESC_SC_jSC_SC_SC_SC_SC_SC_iiiiiiiiiiiDpT3_.num_agpr, 0
	.set _ZL19k_bin_bcast_unravelIXadL_ZL6op_subffEE6__halfS0_S0_JPKS0_EEvPKT0_PKT1_PT2_15HIP_vector_typeIjLj3EESC_SC_jSC_SC_SC_SC_SC_SC_iiiiiiiiiiiDpT3_.numbered_sgpr, 27
	.set _ZL19k_bin_bcast_unravelIXadL_ZL6op_subffEE6__halfS0_S0_JPKS0_EEvPKT0_PKT1_PT2_15HIP_vector_typeIjLj3EESC_SC_jSC_SC_SC_SC_SC_SC_iiiiiiiiiiiDpT3_.num_named_barrier, 0
	.set _ZL19k_bin_bcast_unravelIXadL_ZL6op_subffEE6__halfS0_S0_JPKS0_EEvPKT0_PKT1_PT2_15HIP_vector_typeIjLj3EESC_SC_jSC_SC_SC_SC_SC_SC_iiiiiiiiiiiDpT3_.private_seg_size, 0
	.set _ZL19k_bin_bcast_unravelIXadL_ZL6op_subffEE6__halfS0_S0_JPKS0_EEvPKT0_PKT1_PT2_15HIP_vector_typeIjLj3EESC_SC_jSC_SC_SC_SC_SC_SC_iiiiiiiiiiiDpT3_.uses_vcc, 1
	.set _ZL19k_bin_bcast_unravelIXadL_ZL6op_subffEE6__halfS0_S0_JPKS0_EEvPKT0_PKT1_PT2_15HIP_vector_typeIjLj3EESC_SC_jSC_SC_SC_SC_SC_SC_iiiiiiiiiiiDpT3_.uses_flat_scratch, 0
	.set _ZL19k_bin_bcast_unravelIXadL_ZL6op_subffEE6__halfS0_S0_JPKS0_EEvPKT0_PKT1_PT2_15HIP_vector_typeIjLj3EESC_SC_jSC_SC_SC_SC_SC_SC_iiiiiiiiiiiDpT3_.has_dyn_sized_stack, 0
	.set _ZL19k_bin_bcast_unravelIXadL_ZL6op_subffEE6__halfS0_S0_JPKS0_EEvPKT0_PKT1_PT2_15HIP_vector_typeIjLj3EESC_SC_jSC_SC_SC_SC_SC_SC_iiiiiiiiiiiDpT3_.has_recursion, 0
	.set _ZL19k_bin_bcast_unravelIXadL_ZL6op_subffEE6__halfS0_S0_JPKS0_EEvPKT0_PKT1_PT2_15HIP_vector_typeIjLj3EESC_SC_jSC_SC_SC_SC_SC_SC_iiiiiiiiiiiDpT3_.has_indirect_call, 0
	.section	.AMDGPU.csdata,"",@progbits
; Kernel info:
; codeLenInByte = 752
; TotalNumSgprs: 29
; NumVgprs: 10
; ScratchSize: 0
; MemoryBound: 0
; FloatMode: 240
; IeeeMode: 1
; LDSByteSize: 0 bytes/workgroup (compile time only)
; SGPRBlocks: 0
; VGPRBlocks: 0
; NumSGPRsForWavesPerEU: 29
; NumVGPRsForWavesPerEU: 10
; NamedBarCnt: 0
; Occupancy: 16
; WaveLimiterHint : 1
; COMPUTE_PGM_RSRC2:SCRATCH_EN: 0
; COMPUTE_PGM_RSRC2:USER_SGPR: 2
; COMPUTE_PGM_RSRC2:TRAP_HANDLER: 0
; COMPUTE_PGM_RSRC2:TGID_X_EN: 1
; COMPUTE_PGM_RSRC2:TGID_Y_EN: 0
; COMPUTE_PGM_RSRC2:TGID_Z_EN: 0
; COMPUTE_PGM_RSRC2:TIDIG_COMP_CNT: 0
	.section	.text._ZL11k_bin_bcastIXadL_ZL6op_subffEE6__halfS0_S0_JPKS0_EEvPKT0_PKT1_PT2_iii15HIP_vector_typeIjLj3EESC_SC_SC_SC_iiiiiiiiiiiDpT3_,"axG",@progbits,_ZL11k_bin_bcastIXadL_ZL6op_subffEE6__halfS0_S0_JPKS0_EEvPKT0_PKT1_PT2_iii15HIP_vector_typeIjLj3EESC_SC_SC_SC_iiiiiiiiiiiDpT3_,comdat
	.globl	_ZL11k_bin_bcastIXadL_ZL6op_subffEE6__halfS0_S0_JPKS0_EEvPKT0_PKT1_PT2_iii15HIP_vector_typeIjLj3EESC_SC_SC_SC_iiiiiiiiiiiDpT3_ ; -- Begin function _ZL11k_bin_bcastIXadL_ZL6op_subffEE6__halfS0_S0_JPKS0_EEvPKT0_PKT1_PT2_iii15HIP_vector_typeIjLj3EESC_SC_SC_SC_iiiiiiiiiiiDpT3_
	.p2align	8
	.type	_ZL11k_bin_bcastIXadL_ZL6op_subffEE6__halfS0_S0_JPKS0_EEvPKT0_PKT1_PT2_iii15HIP_vector_typeIjLj3EESC_SC_SC_SC_iiiiiiiiiiiDpT3_,@function
_ZL11k_bin_bcastIXadL_ZL6op_subffEE6__halfS0_S0_JPKS0_EEvPKT0_PKT1_PT2_iii15HIP_vector_typeIjLj3EESC_SC_SC_SC_iiiiiiiiiiiDpT3_: ; @_ZL11k_bin_bcastIXadL_ZL6op_subffEE6__halfS0_S0_JPKS0_EEvPKT0_PKT1_PT2_iii15HIP_vector_typeIjLj3EESC_SC_SC_SC_iiiiiiiiiiiDpT3_
; %bb.0:
	s_load_b64 s[2:3], s[0:1], 0xa4
	s_bfe_u32 s5, ttmp6, 0x40014
	s_bfe_u32 s16, ttmp6, 0x40010
	;; [unrolled: 1-line block ×3, first 2 shown]
	s_lshr_b32 s4, ttmp7, 16
	s_and_b32 s7, ttmp7, 0xffff
	s_add_co_i32 s5, s5, 1
	s_add_co_i32 s16, s16, 1
	s_load_b256 s[8:15], s[0:1], 0x18
	s_add_co_i32 s19, s19, 1
	s_bfe_u32 s6, ttmp6, 0x40008
	s_bfe_u32 s17, ttmp6, 0x40004
	s_mul_i32 s5, s4, s5
	s_mul_i32 s16, s7, s16
	s_and_b32 s18, ttmp6, 15
	s_mul_i32 s19, ttmp9, s19
	s_add_co_i32 s6, s6, s5
	s_add_co_i32 s17, s17, s16
	;; [unrolled: 1-line block ×3, first 2 shown]
	v_bfe_u32 v1, v0, 20, 10
	s_wait_kmcnt 0x0
	s_lshr_b32 s16, s2, 16
	s_and_b32 s5, s2, 0xffff
	s_getreg_b32 s2, hwreg(HW_REG_IB_STS2, 6, 4)
	s_and_b32 s3, s3, 0xffff
	s_cmp_eq_u32 s2, 0
	v_and_b32_e32 v3, 0x3ff, v0
	s_cselect_b32 s2, s4, s6
	v_bfe_u32 v4, v0, 10, 10
	v_mad_u32 v2, s2, s3, v1
	s_cselect_b32 s2, ttmp9, s18
	s_cselect_b32 s3, s7, s17
	v_mad_u32 v0, s2, s5, v3
	v_mad_u32 v3, s3, s16, v4
	s_delay_alu instid0(VALU_DEP_3) | instskip(NEXT) | instid1(VALU_DEP_3)
	v_mul_hi_u32 v1, v2, s11
	v_cmp_gt_u32_e32 vcc_lo, s8, v0
	s_delay_alu instid0(VALU_DEP_3) | instskip(SKIP_2) | instid1(VALU_DEP_1)
	v_cmp_gt_u32_e64 s2, s9, v3
	s_and_b32 s2, vcc_lo, s2
	v_add_nc_u32_e32 v1, v2, v1
	v_lshrrev_b32_e32 v1, s12, v1
	s_delay_alu instid0(VALU_DEP_1) | instskip(SKIP_3) | instid1(VALU_DEP_1)
	v_mul_lo_u32 v5, v1, s13
	v_cmp_gt_u32_e64 s3, s10, v1
	s_and_b32 s2, s2, s3
	v_sub_nc_u32_e32 v2, v2, v5
	v_cmp_gt_u32_e64 s4, s13, v2
	s_and_b32 s2, s2, s4
	s_delay_alu instid0(SALU_CYCLE_1)
	s_and_saveexec_b32 s3, s2
	s_cbranch_execz .LBB19_6
; %bb.1:
	v_cmp_gt_i32_e32 vcc_lo, s8, v0
	s_and_b32 exec_lo, exec_lo, vcc_lo
	s_cbranch_execz .LBB19_6
; %bb.2:
	s_clause 0x4
	s_load_b256 s[24:31], s[0:1], 0x3c
	s_load_b32 s2, s[0:1], 0x5c
	s_load_b256 s[16:23], s[0:1], 0x60
	s_load_b96 s[36:38], s[0:1], 0x80
	s_load_b64 s[6:7], s[0:1], 0x90
	s_wait_kmcnt 0x0
	v_mul_hi_u32 v4, s30, v2
	v_mul_hi_u32 v5, s27, v1
	;; [unrolled: 1-line block ×3, first 2 shown]
	v_mul_lo_u32 v7, v3, s20
	v_mul_lo_u32 v8, v3, s16
	s_delay_alu instid0(VALU_DEP_4) | instskip(NEXT) | instid1(VALU_DEP_3)
	v_dual_add_nc_u32 v4, v2, v4 :: v_dual_add_nc_u32 v5, v1, v5
	v_mad_u32 v7, v1, s21, v7
	s_delay_alu instid0(VALU_DEP_3) | instskip(NEXT) | instid1(VALU_DEP_3)
	v_mad_u32 v8, v1, s17, v8
	v_dual_lshrrev_b32 v4, s31, v4 :: v_dual_lshrrev_b32 v5, s28, v5
	s_delay_alu instid0(VALU_DEP_1) | instskip(SKIP_1) | instid1(VALU_DEP_3)
	v_mul_lo_u32 v4, v4, s2
	v_add_nc_u32_e32 v6, v3, v6
	v_mul_lo_u32 v5, v5, s29
	s_add_nc_u64 s[2:3], s[0:1], 0x98
	s_load_b64 s[10:11], s[0:1], 0x0
	s_load_b32 s4, s[2:3], 0x0
	s_clause 0x1
	s_load_b64 s[12:13], s[0:1], 0x10
	s_load_b32 s9, s[0:1], 0x38
	s_wait_xcnt 0x0
	s_mov_b32 s1, 0
	s_mov_b32 s0, s14
	v_dual_sub_nc_u32 v4, v2, v4 :: v_dual_lshrrev_b32 v6, s25, v6
	v_dual_sub_nc_u32 v5, v1, v5 :: v_dual_mov_b32 v1, 0
	s_delay_alu instid0(VALU_DEP_2) | instskip(NEXT) | instid1(VALU_DEP_3)
	v_mul_lo_u32 v4, v4, s38
	v_mul_lo_u32 v6, v6, s26
	s_delay_alu instid0(VALU_DEP_3)
	v_mov_b32_e32 v9, v1
	s_wait_kmcnt 0x0
	s_cmp_lg_u64 s[10:11], 0
	s_mul_i32 s2, s4, s5
	s_cselect_b32 s3, -1, 0
	s_mul_i32 s4, s2, s19
	s_delay_alu instid0(VALU_DEP_3) | instskip(NEXT) | instid1(VALU_DEP_3)
	v_mad_u32 v5, v5, s37, v4
	v_sub_nc_u32_e32 v3, v3, v6
	v_mad_u32 v4, v2, s22, v7
	v_mad_u32 v6, v2, s18, v8
	v_mul_lo_u32 v2, s19, v0
	s_sub_co_i32 s5, 0, s9
	v_mov_b32_e32 v7, v1
	v_mad_u32 v8, v3, s36, v5
	v_mov_b32_e32 v5, v1
	s_delay_alu instid0(VALU_DEP_3) | instskip(NEXT) | instid1(VALU_DEP_2)
	v_lshl_add_u64 v[6:7], v[6:7], 1, s[12:13]
	v_lshl_add_u64 v[4:5], v[4:5], 1, s[10:11]
	s_delay_alu instid0(VALU_DEP_4)
	v_lshl_add_u64 v[8:9], v[8:9], 1, s[6:7]
	s_mov_b32 s6, s1
	s_branch .LBB19_4
.LBB19_3:                               ;   in Loop: Header=BB19_4 Depth=1
	s_wait_xcnt 0x0
	v_mul_u64_e32 v[10:11], s[0:1], v[0:1]
	s_delay_alu instid0(VALU_DEP_1) | instskip(NEXT) | instid1(VALU_DEP_1)
	v_dual_add_nc_u32 v2, s4, v2 :: v_dual_add_nc_u32 v10, v0, v11
	v_dual_mov_b32 v11, v1 :: v_dual_lshrrev_b32 v10, s15, v10
	s_delay_alu instid0(VALU_DEP_1) | instskip(NEXT) | instid1(VALU_DEP_1)
	v_mad_u32 v10, s5, v10, v0
	v_mul_lo_u32 v10, v10, s23
	s_delay_alu instid0(VALU_DEP_1)
	v_lshl_add_u64 v[10:11], v[10:11], 1, v[8:9]
	global_load_u16 v10, v[10:11], off
	s_wait_xcnt 0x0
	v_ashrrev_i32_e32 v11, 31, v0
	s_wait_loadcnt 0x0
	v_cvt_f32_f16_e32 v12, v10
	v_dual_mov_b32 v10, v0 :: v_dual_add_nc_u32 v0, s2, v0
	s_delay_alu instid0(VALU_DEP_2) | instskip(NEXT) | instid1(VALU_DEP_2)
	v_sub_f32_e32 v3, v3, v12
	v_lshl_add_u64 v[10:11], v[10:11], 1, v[6:7]
	s_delay_alu instid0(VALU_DEP_3) | instskip(NEXT) | instid1(VALU_DEP_3)
	v_cmp_le_i32_e32 vcc_lo, s8, v0
	v_cvt_f16_f32_e32 v3, v3
	s_or_b32 s6, vcc_lo, s6
	global_store_b16 v[10:11], v3, off
	s_wait_xcnt 0x0
	s_and_not1_b32 exec_lo, exec_lo, s6
	s_cbranch_execz .LBB19_6
.LBB19_4:                               ; =>This Inner Loop Header: Depth=1
	v_mov_b32_e32 v3, 0
	s_and_not1_b32 vcc_lo, exec_lo, s3
	s_cbranch_vccnz .LBB19_3
; %bb.5:                                ;   in Loop: Header=BB19_4 Depth=1
	v_ashrrev_i32_e32 v3, 31, v2
	s_delay_alu instid0(VALU_DEP_1)
	v_lshl_add_u64 v[10:11], v[2:3], 1, v[4:5]
	global_load_u16 v3, v[10:11], off
	s_wait_loadcnt 0x0
	v_cvt_f32_f16_e32 v3, v3
	s_branch .LBB19_3
.LBB19_6:
	s_endpgm
	.section	.rodata,"a",@progbits
	.p2align	6, 0x0
	.amdhsa_kernel _ZL11k_bin_bcastIXadL_ZL6op_subffEE6__halfS0_S0_JPKS0_EEvPKT0_PKT1_PT2_iii15HIP_vector_typeIjLj3EESC_SC_SC_SC_iiiiiiiiiiiDpT3_
		.amdhsa_group_segment_fixed_size 0
		.amdhsa_private_segment_fixed_size 0
		.amdhsa_kernarg_size 408
		.amdhsa_user_sgpr_count 2
		.amdhsa_user_sgpr_dispatch_ptr 0
		.amdhsa_user_sgpr_queue_ptr 0
		.amdhsa_user_sgpr_kernarg_segment_ptr 1
		.amdhsa_user_sgpr_dispatch_id 0
		.amdhsa_user_sgpr_kernarg_preload_length 0
		.amdhsa_user_sgpr_kernarg_preload_offset 0
		.amdhsa_user_sgpr_private_segment_size 0
		.amdhsa_wavefront_size32 1
		.amdhsa_uses_dynamic_stack 0
		.amdhsa_enable_private_segment 0
		.amdhsa_system_sgpr_workgroup_id_x 1
		.amdhsa_system_sgpr_workgroup_id_y 1
		.amdhsa_system_sgpr_workgroup_id_z 1
		.amdhsa_system_sgpr_workgroup_info 0
		.amdhsa_system_vgpr_workitem_id 2
		.amdhsa_next_free_vgpr 13
		.amdhsa_next_free_sgpr 39
		.amdhsa_named_barrier_count 0
		.amdhsa_reserve_vcc 1
		.amdhsa_float_round_mode_32 0
		.amdhsa_float_round_mode_16_64 0
		.amdhsa_float_denorm_mode_32 3
		.amdhsa_float_denorm_mode_16_64 3
		.amdhsa_fp16_overflow 0
		.amdhsa_memory_ordered 1
		.amdhsa_forward_progress 1
		.amdhsa_inst_pref_size 8
		.amdhsa_round_robin_scheduling 0
		.amdhsa_exception_fp_ieee_invalid_op 0
		.amdhsa_exception_fp_denorm_src 0
		.amdhsa_exception_fp_ieee_div_zero 0
		.amdhsa_exception_fp_ieee_overflow 0
		.amdhsa_exception_fp_ieee_underflow 0
		.amdhsa_exception_fp_ieee_inexact 0
		.amdhsa_exception_int_div_zero 0
	.end_amdhsa_kernel
	.section	.text._ZL11k_bin_bcastIXadL_ZL6op_subffEE6__halfS0_S0_JPKS0_EEvPKT0_PKT1_PT2_iii15HIP_vector_typeIjLj3EESC_SC_SC_SC_iiiiiiiiiiiDpT3_,"axG",@progbits,_ZL11k_bin_bcastIXadL_ZL6op_subffEE6__halfS0_S0_JPKS0_EEvPKT0_PKT1_PT2_iii15HIP_vector_typeIjLj3EESC_SC_SC_SC_iiiiiiiiiiiDpT3_,comdat
.Lfunc_end19:
	.size	_ZL11k_bin_bcastIXadL_ZL6op_subffEE6__halfS0_S0_JPKS0_EEvPKT0_PKT1_PT2_iii15HIP_vector_typeIjLj3EESC_SC_SC_SC_iiiiiiiiiiiDpT3_, .Lfunc_end19-_ZL11k_bin_bcastIXadL_ZL6op_subffEE6__halfS0_S0_JPKS0_EEvPKT0_PKT1_PT2_iii15HIP_vector_typeIjLj3EESC_SC_SC_SC_iiiiiiiiiiiDpT3_
                                        ; -- End function
	.set _ZL11k_bin_bcastIXadL_ZL6op_subffEE6__halfS0_S0_JPKS0_EEvPKT0_PKT1_PT2_iii15HIP_vector_typeIjLj3EESC_SC_SC_SC_iiiiiiiiiiiDpT3_.num_vgpr, 13
	.set _ZL11k_bin_bcastIXadL_ZL6op_subffEE6__halfS0_S0_JPKS0_EEvPKT0_PKT1_PT2_iii15HIP_vector_typeIjLj3EESC_SC_SC_SC_iiiiiiiiiiiDpT3_.num_agpr, 0
	.set _ZL11k_bin_bcastIXadL_ZL6op_subffEE6__halfS0_S0_JPKS0_EEvPKT0_PKT1_PT2_iii15HIP_vector_typeIjLj3EESC_SC_SC_SC_iiiiiiiiiiiDpT3_.numbered_sgpr, 39
	.set _ZL11k_bin_bcastIXadL_ZL6op_subffEE6__halfS0_S0_JPKS0_EEvPKT0_PKT1_PT2_iii15HIP_vector_typeIjLj3EESC_SC_SC_SC_iiiiiiiiiiiDpT3_.num_named_barrier, 0
	.set _ZL11k_bin_bcastIXadL_ZL6op_subffEE6__halfS0_S0_JPKS0_EEvPKT0_PKT1_PT2_iii15HIP_vector_typeIjLj3EESC_SC_SC_SC_iiiiiiiiiiiDpT3_.private_seg_size, 0
	.set _ZL11k_bin_bcastIXadL_ZL6op_subffEE6__halfS0_S0_JPKS0_EEvPKT0_PKT1_PT2_iii15HIP_vector_typeIjLj3EESC_SC_SC_SC_iiiiiiiiiiiDpT3_.uses_vcc, 1
	.set _ZL11k_bin_bcastIXadL_ZL6op_subffEE6__halfS0_S0_JPKS0_EEvPKT0_PKT1_PT2_iii15HIP_vector_typeIjLj3EESC_SC_SC_SC_iiiiiiiiiiiDpT3_.uses_flat_scratch, 0
	.set _ZL11k_bin_bcastIXadL_ZL6op_subffEE6__halfS0_S0_JPKS0_EEvPKT0_PKT1_PT2_iii15HIP_vector_typeIjLj3EESC_SC_SC_SC_iiiiiiiiiiiDpT3_.has_dyn_sized_stack, 0
	.set _ZL11k_bin_bcastIXadL_ZL6op_subffEE6__halfS0_S0_JPKS0_EEvPKT0_PKT1_PT2_iii15HIP_vector_typeIjLj3EESC_SC_SC_SC_iiiiiiiiiiiDpT3_.has_recursion, 0
	.set _ZL11k_bin_bcastIXadL_ZL6op_subffEE6__halfS0_S0_JPKS0_EEvPKT0_PKT1_PT2_iii15HIP_vector_typeIjLj3EESC_SC_SC_SC_iiiiiiiiiiiDpT3_.has_indirect_call, 0
	.section	.AMDGPU.csdata,"",@progbits
; Kernel info:
; codeLenInByte = 908
; TotalNumSgprs: 41
; NumVgprs: 13
; ScratchSize: 0
; MemoryBound: 0
; FloatMode: 240
; IeeeMode: 1
; LDSByteSize: 0 bytes/workgroup (compile time only)
; SGPRBlocks: 0
; VGPRBlocks: 0
; NumSGPRsForWavesPerEU: 41
; NumVGPRsForWavesPerEU: 13
; NamedBarCnt: 0
; Occupancy: 16
; WaveLimiterHint : 1
; COMPUTE_PGM_RSRC2:SCRATCH_EN: 0
; COMPUTE_PGM_RSRC2:USER_SGPR: 2
; COMPUTE_PGM_RSRC2:TRAP_HANDLER: 0
; COMPUTE_PGM_RSRC2:TGID_X_EN: 1
; COMPUTE_PGM_RSRC2:TGID_Y_EN: 1
; COMPUTE_PGM_RSRC2:TGID_Z_EN: 1
; COMPUTE_PGM_RSRC2:TIDIG_COMP_CNT: 2
	.section	.text._ZL19k_bin_bcast_unravelIXadL_ZL6op_subffEE6__halffS0_JPKfEEvPKT0_PKT1_PT2_15HIP_vector_typeIjLj3EESC_SC_jSC_SC_SC_SC_SC_SC_iiiiiiiiiiiDpT3_,"axG",@progbits,_ZL19k_bin_bcast_unravelIXadL_ZL6op_subffEE6__halffS0_JPKfEEvPKT0_PKT1_PT2_15HIP_vector_typeIjLj3EESC_SC_jSC_SC_SC_SC_SC_SC_iiiiiiiiiiiDpT3_,comdat
	.globl	_ZL19k_bin_bcast_unravelIXadL_ZL6op_subffEE6__halffS0_JPKfEEvPKT0_PKT1_PT2_15HIP_vector_typeIjLj3EESC_SC_jSC_SC_SC_SC_SC_SC_iiiiiiiiiiiDpT3_ ; -- Begin function _ZL19k_bin_bcast_unravelIXadL_ZL6op_subffEE6__halffS0_JPKfEEvPKT0_PKT1_PT2_15HIP_vector_typeIjLj3EESC_SC_jSC_SC_SC_SC_SC_SC_iiiiiiiiiiiDpT3_
	.p2align	8
	.type	_ZL19k_bin_bcast_unravelIXadL_ZL6op_subffEE6__halffS0_JPKfEEvPKT0_PKT1_PT2_15HIP_vector_typeIjLj3EESC_SC_jSC_SC_SC_SC_SC_SC_iiiiiiiiiiiDpT3_,@function
_ZL19k_bin_bcast_unravelIXadL_ZL6op_subffEE6__halffS0_JPKfEEvPKT0_PKT1_PT2_15HIP_vector_typeIjLj3EESC_SC_jSC_SC_SC_SC_SC_SC_iiiiiiiiiiiDpT3_: ; @_ZL19k_bin_bcast_unravelIXadL_ZL6op_subffEE6__halffS0_JPKfEEvPKT0_PKT1_PT2_15HIP_vector_typeIjLj3EESC_SC_jSC_SC_SC_SC_SC_SC_iiiiiiiiiiiDpT3_
; %bb.0:
	s_load_b32 s2, s[0:1], 0xcc
	s_bfe_u32 s3, ttmp6, 0x4000c
	s_load_b256 s[4:11], s[0:1], 0x38
	s_add_co_i32 s3, s3, 1
	s_and_b32 s12, ttmp6, 15
	s_mul_i32 s3, ttmp9, s3
	s_getreg_b32 s13, hwreg(HW_REG_IB_STS2, 6, 4)
	s_add_co_i32 s12, s12, s3
	s_wait_kmcnt 0x0
	s_and_b32 s2, s2, 0xffff
	s_cmp_eq_u32 s13, 0
	s_cselect_b32 s3, ttmp9, s12
	s_delay_alu instid0(SALU_CYCLE_1) | instskip(SKIP_1) | instid1(VALU_DEP_1)
	v_mad_u32 v0, s3, s2, v0
	s_load_b32 s2, s[0:1], 0x2c
	v_mul_hi_u32 v1, v0, s6
	s_delay_alu instid0(VALU_DEP_1) | instskip(NEXT) | instid1(VALU_DEP_1)
	v_add_nc_u32_e32 v1, v0, v1
	v_lshrrev_b32_e32 v1, s7, v1
	s_delay_alu instid0(VALU_DEP_1) | instskip(NEXT) | instid1(VALU_DEP_1)
	v_mul_lo_u32 v2, v1, s8
	v_sub_nc_u32_e32 v0, v0, v2
	s_delay_alu instid0(VALU_DEP_1) | instskip(NEXT) | instid1(VALU_DEP_1)
	v_mul_hi_u32 v2, v0, s9
	v_add_nc_u32_e32 v2, v0, v2
	s_delay_alu instid0(VALU_DEP_1) | instskip(SKIP_1) | instid1(VALU_DEP_1)
	v_lshrrev_b32_e32 v2, s10, v2
	s_load_b96 s[8:10], s[0:1], 0x18
	v_mul_lo_u32 v3, v2, s11
	s_delay_alu instid0(VALU_DEP_1) | instskip(SKIP_3) | instid1(VALU_DEP_3)
	v_sub_nc_u32_e32 v0, v0, v3
	v_cmp_gt_u32_e64 s3, s4, v2
	v_cmp_gt_u32_e64 s4, s5, v1
	s_wait_kmcnt 0x0
	v_mul_hi_u32 v3, v0, s8
	s_delay_alu instid0(VALU_DEP_1) | instskip(NEXT) | instid1(VALU_DEP_1)
	v_add_nc_u32_e32 v3, v0, v3
	v_lshrrev_b32_e32 v4, s9, v3
	s_delay_alu instid0(VALU_DEP_1) | instskip(NEXT) | instid1(VALU_DEP_1)
	v_mul_lo_u32 v3, v4, s10
	v_sub_nc_u32_e32 v0, v0, v3
	v_cmp_gt_u32_e64 s2, s2, v4
	s_delay_alu instid0(VALU_DEP_2) | instskip(SKIP_1) | instid1(SALU_CYCLE_1)
	v_cmp_gt_u32_e32 vcc_lo, s10, v0
	s_and_b32 s2, vcc_lo, s2
	s_and_b32 s2, s2, s3
	s_delay_alu instid0(SALU_CYCLE_1) | instskip(NEXT) | instid1(SALU_CYCLE_1)
	s_and_b32 s2, s4, s2
	s_and_saveexec_b32 s3, s2
	s_cbranch_execz .LBB20_4
; %bb.1:
	s_clause 0x4
	s_load_b64 s[2:3], s[0:1], 0x0
	s_load_b96 s[24:26], s[0:1], 0xa8
	s_load_b256 s[4:11], s[0:1], 0x88
	s_load_b128 s[20:23], s[0:1], 0x78
	s_load_b256 s[12:19], s[0:1], 0x58
	v_dual_mov_b32 v3, 0 :: v_dual_mov_b32 v5, 0
	s_wait_kmcnt 0x0
	s_cmp_eq_u64 s[2:3], 0
	s_cbranch_scc1 .LBB20_3
; %bb.2:
	v_mul_lo_u32 v5, v1, s10
	v_mov_b32_e32 v7, 0
	s_delay_alu instid0(VALU_DEP_2) | instskip(NEXT) | instid1(VALU_DEP_1)
	v_mad_u32 v5, v2, s9, v5
	v_mad_u32 v6, v4, s8, v5
	s_delay_alu instid0(VALU_DEP_1) | instskip(SKIP_1) | instid1(VALU_DEP_1)
	v_lshl_add_u64 v[8:9], v[6:7], 1, s[2:3]
	v_mul_lo_u32 v6, v0, s7
	v_lshl_add_u64 v[6:7], v[6:7], 1, v[8:9]
	global_load_u16 v5, v[6:7], off
	s_wait_loadcnt 0x0
	v_cvt_f32_f16_e32 v5, v5
.LBB20_3:
	v_mul_hi_u32 v6, s21, v1
	v_mul_hi_u32 v7, s18, v2
	;; [unrolled: 1-line block ×4, first 2 shown]
	s_load_b64 s[2:3], s[0:1], 0xb8
	s_delay_alu instid0(VALU_DEP_3) | instskip(SKIP_2) | instid1(VALU_DEP_3)
	v_dual_add_nc_u32 v6, v1, v6 :: v_dual_add_nc_u32 v7, v2, v7
	s_wait_xcnt 0x0
	s_load_b64 s[0:1], s[0:1], 0x10
	v_add_nc_u32_e32 v8, v4, v8
	s_delay_alu instid0(VALU_DEP_2) | instskip(NEXT) | instid1(VALU_DEP_2)
	v_dual_add_nc_u32 v9, v0, v9 :: v_dual_lshrrev_b32 v6, s22, v6
	v_dual_lshrrev_b32 v7, s19, v7 :: v_dual_lshrrev_b32 v8, s16, v8
	s_delay_alu instid0(VALU_DEP_2) | instskip(NEXT) | instid1(VALU_DEP_2)
	v_mul_lo_u32 v6, v6, s23
	v_mul_lo_u32 v7, v7, s20
	s_delay_alu instid0(VALU_DEP_4) | instskip(NEXT) | instid1(VALU_DEP_4)
	v_lshrrev_b32_e32 v9, s13, v9
	v_mul_lo_u32 v8, v8, s17
	s_delay_alu instid0(VALU_DEP_3) | instskip(NEXT) | instid1(VALU_DEP_3)
	v_dual_sub_nc_u32 v6, v1, v6 :: v_dual_sub_nc_u32 v7, v2, v7
	v_mul_lo_u32 v9, v9, s14
	v_mul_lo_u32 v1, v1, s6
	s_delay_alu instid0(VALU_DEP_3) | instskip(NEXT) | instid1(VALU_DEP_2)
	v_mul_lo_u32 v6, v6, s26
	v_mad_u32 v1, v2, s5, v1
	s_delay_alu instid0(VALU_DEP_2) | instskip(SKIP_2) | instid1(VALU_DEP_1)
	v_mad_u32 v6, v7, s25, v6
	v_sub_nc_u32_e32 v7, v4, v8
	v_sub_nc_u32_e32 v8, v0, v9
	v_mul_lo_u32 v8, v8, s11
	v_mad_u32 v2, v4, s4, v1
	s_delay_alu instid0(VALU_DEP_2) | instskip(SKIP_1) | instid1(VALU_DEP_1)
	v_ashrrev_i32_e32 v9, 31, v8
	v_mad_u32 v6, v7, s24, v6
	v_ashrrev_i32_e32 v7, 31, v6
	s_wait_kmcnt 0x0
	s_delay_alu instid0(VALU_DEP_1) | instskip(NEXT) | instid1(VALU_DEP_1)
	v_lshl_add_u64 v[6:7], v[6:7], 2, s[2:3]
	v_lshl_add_u64 v[6:7], v[8:9], 2, v[6:7]
	global_load_b32 v6, v[6:7], off
	v_mov_b32_e32 v1, v3
	v_lshl_add_u64 v[2:3], v[2:3], 1, s[0:1]
	s_wait_loadcnt 0x0
	v_sub_f32_e32 v4, v5, v6
	s_delay_alu instid0(VALU_DEP_2) | instskip(NEXT) | instid1(VALU_DEP_2)
	v_lshl_add_u64 v[0:1], v[0:1], 1, v[2:3]
	v_cvt_f16_f32_e32 v4, v4
	global_store_b16 v[0:1], v4, off
.LBB20_4:
	s_endpgm
	.section	.rodata,"a",@progbits
	.p2align	6, 0x0
	.amdhsa_kernel _ZL19k_bin_bcast_unravelIXadL_ZL6op_subffEE6__halffS0_JPKfEEvPKT0_PKT1_PT2_15HIP_vector_typeIjLj3EESC_SC_jSC_SC_SC_SC_SC_SC_iiiiiiiiiiiDpT3_
		.amdhsa_group_segment_fixed_size 0
		.amdhsa_private_segment_fixed_size 0
		.amdhsa_kernarg_size 448
		.amdhsa_user_sgpr_count 2
		.amdhsa_user_sgpr_dispatch_ptr 0
		.amdhsa_user_sgpr_queue_ptr 0
		.amdhsa_user_sgpr_kernarg_segment_ptr 1
		.amdhsa_user_sgpr_dispatch_id 0
		.amdhsa_user_sgpr_kernarg_preload_length 0
		.amdhsa_user_sgpr_kernarg_preload_offset 0
		.amdhsa_user_sgpr_private_segment_size 0
		.amdhsa_wavefront_size32 1
		.amdhsa_uses_dynamic_stack 0
		.amdhsa_enable_private_segment 0
		.amdhsa_system_sgpr_workgroup_id_x 1
		.amdhsa_system_sgpr_workgroup_id_y 0
		.amdhsa_system_sgpr_workgroup_id_z 0
		.amdhsa_system_sgpr_workgroup_info 0
		.amdhsa_system_vgpr_workitem_id 0
		.amdhsa_next_free_vgpr 10
		.amdhsa_next_free_sgpr 27
		.amdhsa_named_barrier_count 0
		.amdhsa_reserve_vcc 1
		.amdhsa_float_round_mode_32 0
		.amdhsa_float_round_mode_16_64 0
		.amdhsa_float_denorm_mode_32 3
		.amdhsa_float_denorm_mode_16_64 3
		.amdhsa_fp16_overflow 0
		.amdhsa_memory_ordered 1
		.amdhsa_forward_progress 1
		.amdhsa_inst_pref_size 6
		.amdhsa_round_robin_scheduling 0
		.amdhsa_exception_fp_ieee_invalid_op 0
		.amdhsa_exception_fp_denorm_src 0
		.amdhsa_exception_fp_ieee_div_zero 0
		.amdhsa_exception_fp_ieee_overflow 0
		.amdhsa_exception_fp_ieee_underflow 0
		.amdhsa_exception_fp_ieee_inexact 0
		.amdhsa_exception_int_div_zero 0
	.end_amdhsa_kernel
	.section	.text._ZL19k_bin_bcast_unravelIXadL_ZL6op_subffEE6__halffS0_JPKfEEvPKT0_PKT1_PT2_15HIP_vector_typeIjLj3EESC_SC_jSC_SC_SC_SC_SC_SC_iiiiiiiiiiiDpT3_,"axG",@progbits,_ZL19k_bin_bcast_unravelIXadL_ZL6op_subffEE6__halffS0_JPKfEEvPKT0_PKT1_PT2_15HIP_vector_typeIjLj3EESC_SC_jSC_SC_SC_SC_SC_SC_iiiiiiiiiiiDpT3_,comdat
.Lfunc_end20:
	.size	_ZL19k_bin_bcast_unravelIXadL_ZL6op_subffEE6__halffS0_JPKfEEvPKT0_PKT1_PT2_15HIP_vector_typeIjLj3EESC_SC_jSC_SC_SC_SC_SC_SC_iiiiiiiiiiiDpT3_, .Lfunc_end20-_ZL19k_bin_bcast_unravelIXadL_ZL6op_subffEE6__halffS0_JPKfEEvPKT0_PKT1_PT2_15HIP_vector_typeIjLj3EESC_SC_jSC_SC_SC_SC_SC_SC_iiiiiiiiiiiDpT3_
                                        ; -- End function
	.set _ZL19k_bin_bcast_unravelIXadL_ZL6op_subffEE6__halffS0_JPKfEEvPKT0_PKT1_PT2_15HIP_vector_typeIjLj3EESC_SC_jSC_SC_SC_SC_SC_SC_iiiiiiiiiiiDpT3_.num_vgpr, 10
	.set _ZL19k_bin_bcast_unravelIXadL_ZL6op_subffEE6__halffS0_JPKfEEvPKT0_PKT1_PT2_15HIP_vector_typeIjLj3EESC_SC_jSC_SC_SC_SC_SC_SC_iiiiiiiiiiiDpT3_.num_agpr, 0
	.set _ZL19k_bin_bcast_unravelIXadL_ZL6op_subffEE6__halffS0_JPKfEEvPKT0_PKT1_PT2_15HIP_vector_typeIjLj3EESC_SC_jSC_SC_SC_SC_SC_SC_iiiiiiiiiiiDpT3_.numbered_sgpr, 27
	.set _ZL19k_bin_bcast_unravelIXadL_ZL6op_subffEE6__halffS0_JPKfEEvPKT0_PKT1_PT2_15HIP_vector_typeIjLj3EESC_SC_jSC_SC_SC_SC_SC_SC_iiiiiiiiiiiDpT3_.num_named_barrier, 0
	.set _ZL19k_bin_bcast_unravelIXadL_ZL6op_subffEE6__halffS0_JPKfEEvPKT0_PKT1_PT2_15HIP_vector_typeIjLj3EESC_SC_jSC_SC_SC_SC_SC_SC_iiiiiiiiiiiDpT3_.private_seg_size, 0
	.set _ZL19k_bin_bcast_unravelIXadL_ZL6op_subffEE6__halffS0_JPKfEEvPKT0_PKT1_PT2_15HIP_vector_typeIjLj3EESC_SC_jSC_SC_SC_SC_SC_SC_iiiiiiiiiiiDpT3_.uses_vcc, 1
	.set _ZL19k_bin_bcast_unravelIXadL_ZL6op_subffEE6__halffS0_JPKfEEvPKT0_PKT1_PT2_15HIP_vector_typeIjLj3EESC_SC_jSC_SC_SC_SC_SC_SC_iiiiiiiiiiiDpT3_.uses_flat_scratch, 0
	.set _ZL19k_bin_bcast_unravelIXadL_ZL6op_subffEE6__halffS0_JPKfEEvPKT0_PKT1_PT2_15HIP_vector_typeIjLj3EESC_SC_jSC_SC_SC_SC_SC_SC_iiiiiiiiiiiDpT3_.has_dyn_sized_stack, 0
	.set _ZL19k_bin_bcast_unravelIXadL_ZL6op_subffEE6__halffS0_JPKfEEvPKT0_PKT1_PT2_15HIP_vector_typeIjLj3EESC_SC_jSC_SC_SC_SC_SC_SC_iiiiiiiiiiiDpT3_.has_recursion, 0
	.set _ZL19k_bin_bcast_unravelIXadL_ZL6op_subffEE6__halffS0_JPKfEEvPKT0_PKT1_PT2_15HIP_vector_typeIjLj3EESC_SC_jSC_SC_SC_SC_SC_SC_iiiiiiiiiiiDpT3_.has_indirect_call, 0
	.section	.AMDGPU.csdata,"",@progbits
; Kernel info:
; codeLenInByte = 744
; TotalNumSgprs: 29
; NumVgprs: 10
; ScratchSize: 0
; MemoryBound: 0
; FloatMode: 240
; IeeeMode: 1
; LDSByteSize: 0 bytes/workgroup (compile time only)
; SGPRBlocks: 0
; VGPRBlocks: 0
; NumSGPRsForWavesPerEU: 29
; NumVGPRsForWavesPerEU: 10
; NamedBarCnt: 0
; Occupancy: 16
; WaveLimiterHint : 1
; COMPUTE_PGM_RSRC2:SCRATCH_EN: 0
; COMPUTE_PGM_RSRC2:USER_SGPR: 2
; COMPUTE_PGM_RSRC2:TRAP_HANDLER: 0
; COMPUTE_PGM_RSRC2:TGID_X_EN: 1
; COMPUTE_PGM_RSRC2:TGID_Y_EN: 0
; COMPUTE_PGM_RSRC2:TGID_Z_EN: 0
; COMPUTE_PGM_RSRC2:TIDIG_COMP_CNT: 0
	.section	.text._ZL11k_bin_bcastIXadL_ZL6op_subffEE6__halffS0_JPKfEEvPKT0_PKT1_PT2_iii15HIP_vector_typeIjLj3EESC_SC_SC_SC_iiiiiiiiiiiDpT3_,"axG",@progbits,_ZL11k_bin_bcastIXadL_ZL6op_subffEE6__halffS0_JPKfEEvPKT0_PKT1_PT2_iii15HIP_vector_typeIjLj3EESC_SC_SC_SC_iiiiiiiiiiiDpT3_,comdat
	.globl	_ZL11k_bin_bcastIXadL_ZL6op_subffEE6__halffS0_JPKfEEvPKT0_PKT1_PT2_iii15HIP_vector_typeIjLj3EESC_SC_SC_SC_iiiiiiiiiiiDpT3_ ; -- Begin function _ZL11k_bin_bcastIXadL_ZL6op_subffEE6__halffS0_JPKfEEvPKT0_PKT1_PT2_iii15HIP_vector_typeIjLj3EESC_SC_SC_SC_iiiiiiiiiiiDpT3_
	.p2align	8
	.type	_ZL11k_bin_bcastIXadL_ZL6op_subffEE6__halffS0_JPKfEEvPKT0_PKT1_PT2_iii15HIP_vector_typeIjLj3EESC_SC_SC_SC_iiiiiiiiiiiDpT3_,@function
_ZL11k_bin_bcastIXadL_ZL6op_subffEE6__halffS0_JPKfEEvPKT0_PKT1_PT2_iii15HIP_vector_typeIjLj3EESC_SC_SC_SC_iiiiiiiiiiiDpT3_: ; @_ZL11k_bin_bcastIXadL_ZL6op_subffEE6__halffS0_JPKfEEvPKT0_PKT1_PT2_iii15HIP_vector_typeIjLj3EESC_SC_SC_SC_iiiiiiiiiiiDpT3_
; %bb.0:
	s_load_b64 s[2:3], s[0:1], 0xa4
	s_bfe_u32 s5, ttmp6, 0x40014
	s_bfe_u32 s16, ttmp6, 0x40010
	;; [unrolled: 1-line block ×3, first 2 shown]
	s_lshr_b32 s4, ttmp7, 16
	s_and_b32 s7, ttmp7, 0xffff
	s_add_co_i32 s5, s5, 1
	s_add_co_i32 s16, s16, 1
	s_load_b256 s[8:15], s[0:1], 0x18
	s_add_co_i32 s19, s19, 1
	s_bfe_u32 s6, ttmp6, 0x40008
	s_bfe_u32 s17, ttmp6, 0x40004
	s_mul_i32 s5, s4, s5
	s_mul_i32 s16, s7, s16
	s_and_b32 s18, ttmp6, 15
	s_mul_i32 s19, ttmp9, s19
	s_add_co_i32 s6, s6, s5
	s_add_co_i32 s17, s17, s16
	;; [unrolled: 1-line block ×3, first 2 shown]
	v_bfe_u32 v1, v0, 20, 10
	s_wait_kmcnt 0x0
	s_lshr_b32 s16, s2, 16
	s_and_b32 s5, s2, 0xffff
	s_getreg_b32 s2, hwreg(HW_REG_IB_STS2, 6, 4)
	s_and_b32 s3, s3, 0xffff
	s_cmp_eq_u32 s2, 0
	v_and_b32_e32 v3, 0x3ff, v0
	s_cselect_b32 s2, s4, s6
	v_bfe_u32 v4, v0, 10, 10
	v_mad_u32 v2, s2, s3, v1
	s_cselect_b32 s2, ttmp9, s18
	s_cselect_b32 s3, s7, s17
	v_mad_u32 v0, s2, s5, v3
	v_mad_u32 v3, s3, s16, v4
	s_delay_alu instid0(VALU_DEP_3) | instskip(NEXT) | instid1(VALU_DEP_3)
	v_mul_hi_u32 v1, v2, s11
	v_cmp_gt_u32_e32 vcc_lo, s8, v0
	s_delay_alu instid0(VALU_DEP_3) | instskip(SKIP_2) | instid1(VALU_DEP_1)
	v_cmp_gt_u32_e64 s2, s9, v3
	s_and_b32 s2, vcc_lo, s2
	v_add_nc_u32_e32 v1, v2, v1
	v_lshrrev_b32_e32 v1, s12, v1
	s_delay_alu instid0(VALU_DEP_1) | instskip(SKIP_3) | instid1(VALU_DEP_1)
	v_mul_lo_u32 v5, v1, s13
	v_cmp_gt_u32_e64 s3, s10, v1
	s_and_b32 s2, s2, s3
	v_sub_nc_u32_e32 v2, v2, v5
	v_cmp_gt_u32_e64 s4, s13, v2
	s_and_b32 s2, s2, s4
	s_delay_alu instid0(SALU_CYCLE_1)
	s_and_saveexec_b32 s3, s2
	s_cbranch_execz .LBB21_6
; %bb.1:
	v_cmp_gt_i32_e32 vcc_lo, s8, v0
	s_and_b32 exec_lo, exec_lo, vcc_lo
	s_cbranch_execz .LBB21_6
; %bb.2:
	s_clause 0x4
	s_load_b256 s[24:31], s[0:1], 0x3c
	s_load_b32 s2, s[0:1], 0x5c
	s_load_b256 s[16:23], s[0:1], 0x60
	s_load_b96 s[36:38], s[0:1], 0x80
	s_load_b64 s[6:7], s[0:1], 0x90
	s_wait_kmcnt 0x0
	v_mul_hi_u32 v4, s30, v2
	v_mul_hi_u32 v5, s27, v1
	;; [unrolled: 1-line block ×3, first 2 shown]
	v_mul_lo_u32 v7, v3, s20
	v_mul_lo_u32 v8, v3, s16
	s_delay_alu instid0(VALU_DEP_4) | instskip(NEXT) | instid1(VALU_DEP_3)
	v_dual_add_nc_u32 v4, v2, v4 :: v_dual_add_nc_u32 v5, v1, v5
	v_mad_u32 v7, v1, s21, v7
	s_delay_alu instid0(VALU_DEP_3) | instskip(NEXT) | instid1(VALU_DEP_3)
	v_mad_u32 v8, v1, s17, v8
	v_dual_lshrrev_b32 v4, s31, v4 :: v_dual_lshrrev_b32 v5, s28, v5
	s_delay_alu instid0(VALU_DEP_1) | instskip(SKIP_1) | instid1(VALU_DEP_3)
	v_mul_lo_u32 v4, v4, s2
	v_add_nc_u32_e32 v6, v3, v6
	v_mul_lo_u32 v5, v5, s29
	s_add_nc_u64 s[2:3], s[0:1], 0x98
	s_load_b64 s[10:11], s[0:1], 0x0
	s_load_b32 s4, s[2:3], 0x0
	s_clause 0x1
	s_load_b64 s[12:13], s[0:1], 0x10
	s_load_b32 s9, s[0:1], 0x38
	s_wait_xcnt 0x0
	s_mov_b32 s1, 0
	s_mov_b32 s0, s14
	v_dual_sub_nc_u32 v4, v2, v4 :: v_dual_lshrrev_b32 v6, s25, v6
	v_dual_sub_nc_u32 v5, v1, v5 :: v_dual_mov_b32 v1, 0
	s_delay_alu instid0(VALU_DEP_2) | instskip(NEXT) | instid1(VALU_DEP_3)
	v_mul_lo_u32 v4, v4, s38
	v_mul_lo_u32 v6, v6, s26
	s_delay_alu instid0(VALU_DEP_3)
	v_mov_b32_e32 v9, v1
	s_wait_kmcnt 0x0
	s_cmp_lg_u64 s[10:11], 0
	s_mul_i32 s2, s4, s5
	s_cselect_b32 s3, -1, 0
	s_mul_i32 s4, s2, s19
	s_delay_alu instid0(VALU_DEP_3) | instskip(NEXT) | instid1(VALU_DEP_3)
	v_mad_u32 v5, v5, s37, v4
	v_sub_nc_u32_e32 v3, v3, v6
	v_mad_u32 v4, v2, s22, v7
	v_mad_u32 v6, v2, s18, v8
	v_mul_lo_u32 v2, s19, v0
	s_sub_co_i32 s5, 0, s9
	v_mov_b32_e32 v7, v1
	v_mad_u32 v8, v3, s36, v5
	v_mov_b32_e32 v5, v1
	s_delay_alu instid0(VALU_DEP_3) | instskip(NEXT) | instid1(VALU_DEP_2)
	v_lshl_add_u64 v[6:7], v[6:7], 1, s[12:13]
	v_lshl_add_u64 v[4:5], v[4:5], 1, s[10:11]
	s_delay_alu instid0(VALU_DEP_4)
	v_lshl_add_u64 v[8:9], v[8:9], 2, s[6:7]
	s_mov_b32 s6, s1
	s_branch .LBB21_4
.LBB21_3:                               ;   in Loop: Header=BB21_4 Depth=1
	s_wait_xcnt 0x0
	v_mul_u64_e32 v[10:11], s[0:1], v[0:1]
	s_delay_alu instid0(VALU_DEP_1) | instskip(NEXT) | instid1(VALU_DEP_1)
	v_dual_add_nc_u32 v2, s4, v2 :: v_dual_add_nc_u32 v10, v0, v11
	v_dual_mov_b32 v11, v1 :: v_dual_lshrrev_b32 v10, s15, v10
	s_delay_alu instid0(VALU_DEP_1) | instskip(NEXT) | instid1(VALU_DEP_1)
	v_mad_u32 v10, s5, v10, v0
	v_mul_lo_u32 v10, v10, s23
	s_delay_alu instid0(VALU_DEP_1) | instskip(SKIP_4) | instid1(VALU_DEP_2)
	v_lshl_add_u64 v[10:11], v[10:11], 2, v[8:9]
	global_load_b32 v12, v[10:11], off
	s_wait_xcnt 0x0
	v_dual_mov_b32 v10, v0 :: v_dual_ashrrev_i32 v11, 31, v0
	v_add_nc_u32_e32 v0, s2, v0
	v_lshl_add_u64 v[10:11], v[10:11], 1, v[6:7]
	s_delay_alu instid0(VALU_DEP_2) | instskip(SKIP_3) | instid1(VALU_DEP_1)
	v_cmp_le_i32_e32 vcc_lo, s8, v0
	s_or_b32 s6, vcc_lo, s6
	s_wait_loadcnt 0x0
	v_sub_f32_e32 v3, v3, v12
	v_cvt_f16_f32_e32 v3, v3
	global_store_b16 v[10:11], v3, off
	s_wait_xcnt 0x0
	s_and_not1_b32 exec_lo, exec_lo, s6
	s_cbranch_execz .LBB21_6
.LBB21_4:                               ; =>This Inner Loop Header: Depth=1
	v_mov_b32_e32 v3, 0
	s_and_not1_b32 vcc_lo, exec_lo, s3
	s_cbranch_vccnz .LBB21_3
; %bb.5:                                ;   in Loop: Header=BB21_4 Depth=1
	v_ashrrev_i32_e32 v3, 31, v2
	s_delay_alu instid0(VALU_DEP_1)
	v_lshl_add_u64 v[10:11], v[2:3], 1, v[4:5]
	global_load_u16 v3, v[10:11], off
	s_wait_loadcnt 0x0
	v_cvt_f32_f16_e32 v3, v3
	s_branch .LBB21_3
.LBB21_6:
	s_endpgm
	.section	.rodata,"a",@progbits
	.p2align	6, 0x0
	.amdhsa_kernel _ZL11k_bin_bcastIXadL_ZL6op_subffEE6__halffS0_JPKfEEvPKT0_PKT1_PT2_iii15HIP_vector_typeIjLj3EESC_SC_SC_SC_iiiiiiiiiiiDpT3_
		.amdhsa_group_segment_fixed_size 0
		.amdhsa_private_segment_fixed_size 0
		.amdhsa_kernarg_size 408
		.amdhsa_user_sgpr_count 2
		.amdhsa_user_sgpr_dispatch_ptr 0
		.amdhsa_user_sgpr_queue_ptr 0
		.amdhsa_user_sgpr_kernarg_segment_ptr 1
		.amdhsa_user_sgpr_dispatch_id 0
		.amdhsa_user_sgpr_kernarg_preload_length 0
		.amdhsa_user_sgpr_kernarg_preload_offset 0
		.amdhsa_user_sgpr_private_segment_size 0
		.amdhsa_wavefront_size32 1
		.amdhsa_uses_dynamic_stack 0
		.amdhsa_enable_private_segment 0
		.amdhsa_system_sgpr_workgroup_id_x 1
		.amdhsa_system_sgpr_workgroup_id_y 1
		.amdhsa_system_sgpr_workgroup_id_z 1
		.amdhsa_system_sgpr_workgroup_info 0
		.amdhsa_system_vgpr_workitem_id 2
		.amdhsa_next_free_vgpr 13
		.amdhsa_next_free_sgpr 39
		.amdhsa_named_barrier_count 0
		.amdhsa_reserve_vcc 1
		.amdhsa_float_round_mode_32 0
		.amdhsa_float_round_mode_16_64 0
		.amdhsa_float_denorm_mode_32 3
		.amdhsa_float_denorm_mode_16_64 3
		.amdhsa_fp16_overflow 0
		.amdhsa_memory_ordered 1
		.amdhsa_forward_progress 1
		.amdhsa_inst_pref_size 7
		.amdhsa_round_robin_scheduling 0
		.amdhsa_exception_fp_ieee_invalid_op 0
		.amdhsa_exception_fp_denorm_src 0
		.amdhsa_exception_fp_ieee_div_zero 0
		.amdhsa_exception_fp_ieee_overflow 0
		.amdhsa_exception_fp_ieee_underflow 0
		.amdhsa_exception_fp_ieee_inexact 0
		.amdhsa_exception_int_div_zero 0
	.end_amdhsa_kernel
	.section	.text._ZL11k_bin_bcastIXadL_ZL6op_subffEE6__halffS0_JPKfEEvPKT0_PKT1_PT2_iii15HIP_vector_typeIjLj3EESC_SC_SC_SC_iiiiiiiiiiiDpT3_,"axG",@progbits,_ZL11k_bin_bcastIXadL_ZL6op_subffEE6__halffS0_JPKfEEvPKT0_PKT1_PT2_iii15HIP_vector_typeIjLj3EESC_SC_SC_SC_iiiiiiiiiiiDpT3_,comdat
.Lfunc_end21:
	.size	_ZL11k_bin_bcastIXadL_ZL6op_subffEE6__halffS0_JPKfEEvPKT0_PKT1_PT2_iii15HIP_vector_typeIjLj3EESC_SC_SC_SC_iiiiiiiiiiiDpT3_, .Lfunc_end21-_ZL11k_bin_bcastIXadL_ZL6op_subffEE6__halffS0_JPKfEEvPKT0_PKT1_PT2_iii15HIP_vector_typeIjLj3EESC_SC_SC_SC_iiiiiiiiiiiDpT3_
                                        ; -- End function
	.set _ZL11k_bin_bcastIXadL_ZL6op_subffEE6__halffS0_JPKfEEvPKT0_PKT1_PT2_iii15HIP_vector_typeIjLj3EESC_SC_SC_SC_iiiiiiiiiiiDpT3_.num_vgpr, 13
	.set _ZL11k_bin_bcastIXadL_ZL6op_subffEE6__halffS0_JPKfEEvPKT0_PKT1_PT2_iii15HIP_vector_typeIjLj3EESC_SC_SC_SC_iiiiiiiiiiiDpT3_.num_agpr, 0
	.set _ZL11k_bin_bcastIXadL_ZL6op_subffEE6__halffS0_JPKfEEvPKT0_PKT1_PT2_iii15HIP_vector_typeIjLj3EESC_SC_SC_SC_iiiiiiiiiiiDpT3_.numbered_sgpr, 39
	.set _ZL11k_bin_bcastIXadL_ZL6op_subffEE6__halffS0_JPKfEEvPKT0_PKT1_PT2_iii15HIP_vector_typeIjLj3EESC_SC_SC_SC_iiiiiiiiiiiDpT3_.num_named_barrier, 0
	.set _ZL11k_bin_bcastIXadL_ZL6op_subffEE6__halffS0_JPKfEEvPKT0_PKT1_PT2_iii15HIP_vector_typeIjLj3EESC_SC_SC_SC_iiiiiiiiiiiDpT3_.private_seg_size, 0
	.set _ZL11k_bin_bcastIXadL_ZL6op_subffEE6__halffS0_JPKfEEvPKT0_PKT1_PT2_iii15HIP_vector_typeIjLj3EESC_SC_SC_SC_iiiiiiiiiiiDpT3_.uses_vcc, 1
	.set _ZL11k_bin_bcastIXadL_ZL6op_subffEE6__halffS0_JPKfEEvPKT0_PKT1_PT2_iii15HIP_vector_typeIjLj3EESC_SC_SC_SC_iiiiiiiiiiiDpT3_.uses_flat_scratch, 0
	.set _ZL11k_bin_bcastIXadL_ZL6op_subffEE6__halffS0_JPKfEEvPKT0_PKT1_PT2_iii15HIP_vector_typeIjLj3EESC_SC_SC_SC_iiiiiiiiiiiDpT3_.has_dyn_sized_stack, 0
	.set _ZL11k_bin_bcastIXadL_ZL6op_subffEE6__halffS0_JPKfEEvPKT0_PKT1_PT2_iii15HIP_vector_typeIjLj3EESC_SC_SC_SC_iiiiiiiiiiiDpT3_.has_recursion, 0
	.set _ZL11k_bin_bcastIXadL_ZL6op_subffEE6__halffS0_JPKfEEvPKT0_PKT1_PT2_iii15HIP_vector_typeIjLj3EESC_SC_SC_SC_iiiiiiiiiiiDpT3_.has_indirect_call, 0
	.section	.AMDGPU.csdata,"",@progbits
; Kernel info:
; codeLenInByte = 896
; TotalNumSgprs: 41
; NumVgprs: 13
; ScratchSize: 0
; MemoryBound: 0
; FloatMode: 240
; IeeeMode: 1
; LDSByteSize: 0 bytes/workgroup (compile time only)
; SGPRBlocks: 0
; VGPRBlocks: 0
; NumSGPRsForWavesPerEU: 41
; NumVGPRsForWavesPerEU: 13
; NamedBarCnt: 0
; Occupancy: 16
; WaveLimiterHint : 1
; COMPUTE_PGM_RSRC2:SCRATCH_EN: 0
; COMPUTE_PGM_RSRC2:USER_SGPR: 2
; COMPUTE_PGM_RSRC2:TRAP_HANDLER: 0
; COMPUTE_PGM_RSRC2:TGID_X_EN: 1
; COMPUTE_PGM_RSRC2:TGID_Y_EN: 1
; COMPUTE_PGM_RSRC2:TGID_Z_EN: 1
; COMPUTE_PGM_RSRC2:TIDIG_COMP_CNT: 2
	.section	.text._ZL19k_bin_bcast_unravelIXadL_ZL6op_subffEE6__halfffJPKfEEvPKT0_PKT1_PT2_15HIP_vector_typeIjLj3EESC_SC_jSC_SC_SC_SC_SC_SC_iiiiiiiiiiiDpT3_,"axG",@progbits,_ZL19k_bin_bcast_unravelIXadL_ZL6op_subffEE6__halfffJPKfEEvPKT0_PKT1_PT2_15HIP_vector_typeIjLj3EESC_SC_jSC_SC_SC_SC_SC_SC_iiiiiiiiiiiDpT3_,comdat
	.globl	_ZL19k_bin_bcast_unravelIXadL_ZL6op_subffEE6__halfffJPKfEEvPKT0_PKT1_PT2_15HIP_vector_typeIjLj3EESC_SC_jSC_SC_SC_SC_SC_SC_iiiiiiiiiiiDpT3_ ; -- Begin function _ZL19k_bin_bcast_unravelIXadL_ZL6op_subffEE6__halfffJPKfEEvPKT0_PKT1_PT2_15HIP_vector_typeIjLj3EESC_SC_jSC_SC_SC_SC_SC_SC_iiiiiiiiiiiDpT3_
	.p2align	8
	.type	_ZL19k_bin_bcast_unravelIXadL_ZL6op_subffEE6__halfffJPKfEEvPKT0_PKT1_PT2_15HIP_vector_typeIjLj3EESC_SC_jSC_SC_SC_SC_SC_SC_iiiiiiiiiiiDpT3_,@function
_ZL19k_bin_bcast_unravelIXadL_ZL6op_subffEE6__halfffJPKfEEvPKT0_PKT1_PT2_15HIP_vector_typeIjLj3EESC_SC_jSC_SC_SC_SC_SC_SC_iiiiiiiiiiiDpT3_: ; @_ZL19k_bin_bcast_unravelIXadL_ZL6op_subffEE6__halfffJPKfEEvPKT0_PKT1_PT2_15HIP_vector_typeIjLj3EESC_SC_jSC_SC_SC_SC_SC_SC_iiiiiiiiiiiDpT3_
; %bb.0:
	s_load_b32 s2, s[0:1], 0xcc
	s_bfe_u32 s3, ttmp6, 0x4000c
	s_load_b256 s[4:11], s[0:1], 0x38
	s_add_co_i32 s3, s3, 1
	s_and_b32 s12, ttmp6, 15
	s_mul_i32 s3, ttmp9, s3
	s_getreg_b32 s13, hwreg(HW_REG_IB_STS2, 6, 4)
	s_add_co_i32 s12, s12, s3
	s_wait_kmcnt 0x0
	s_and_b32 s2, s2, 0xffff
	s_cmp_eq_u32 s13, 0
	s_cselect_b32 s3, ttmp9, s12
	s_delay_alu instid0(SALU_CYCLE_1) | instskip(SKIP_1) | instid1(VALU_DEP_1)
	v_mad_u32 v0, s3, s2, v0
	s_load_b32 s2, s[0:1], 0x2c
	v_mul_hi_u32 v1, v0, s6
	s_delay_alu instid0(VALU_DEP_1) | instskip(NEXT) | instid1(VALU_DEP_1)
	v_add_nc_u32_e32 v1, v0, v1
	v_lshrrev_b32_e32 v1, s7, v1
	s_delay_alu instid0(VALU_DEP_1) | instskip(NEXT) | instid1(VALU_DEP_1)
	v_mul_lo_u32 v2, v1, s8
	v_sub_nc_u32_e32 v0, v0, v2
	s_delay_alu instid0(VALU_DEP_1) | instskip(NEXT) | instid1(VALU_DEP_1)
	v_mul_hi_u32 v2, v0, s9
	v_add_nc_u32_e32 v2, v0, v2
	s_delay_alu instid0(VALU_DEP_1) | instskip(SKIP_1) | instid1(VALU_DEP_1)
	v_lshrrev_b32_e32 v2, s10, v2
	s_load_b96 s[8:10], s[0:1], 0x18
	v_mul_lo_u32 v3, v2, s11
	s_delay_alu instid0(VALU_DEP_1) | instskip(SKIP_3) | instid1(VALU_DEP_3)
	v_sub_nc_u32_e32 v0, v0, v3
	v_cmp_gt_u32_e64 s3, s4, v2
	v_cmp_gt_u32_e64 s4, s5, v1
	s_wait_kmcnt 0x0
	v_mul_hi_u32 v3, v0, s8
	s_delay_alu instid0(VALU_DEP_1) | instskip(NEXT) | instid1(VALU_DEP_1)
	v_add_nc_u32_e32 v3, v0, v3
	v_lshrrev_b32_e32 v4, s9, v3
	s_delay_alu instid0(VALU_DEP_1) | instskip(NEXT) | instid1(VALU_DEP_1)
	v_mul_lo_u32 v3, v4, s10
	v_sub_nc_u32_e32 v0, v0, v3
	v_cmp_gt_u32_e64 s2, s2, v4
	s_delay_alu instid0(VALU_DEP_2) | instskip(SKIP_1) | instid1(SALU_CYCLE_1)
	v_cmp_gt_u32_e32 vcc_lo, s10, v0
	s_and_b32 s2, vcc_lo, s2
	s_and_b32 s2, s2, s3
	s_delay_alu instid0(SALU_CYCLE_1) | instskip(NEXT) | instid1(SALU_CYCLE_1)
	s_and_b32 s2, s4, s2
	s_and_saveexec_b32 s3, s2
	s_cbranch_execz .LBB22_4
; %bb.1:
	s_clause 0x4
	s_load_b64 s[2:3], s[0:1], 0x0
	s_load_b96 s[24:26], s[0:1], 0xa8
	s_load_b256 s[4:11], s[0:1], 0x88
	s_load_b128 s[20:23], s[0:1], 0x78
	s_load_b256 s[12:19], s[0:1], 0x58
	v_dual_mov_b32 v3, 0 :: v_dual_mov_b32 v5, 0
	s_wait_kmcnt 0x0
	s_cmp_eq_u64 s[2:3], 0
	s_cbranch_scc1 .LBB22_3
; %bb.2:
	v_mul_lo_u32 v5, v1, s10
	v_mov_b32_e32 v7, 0
	s_delay_alu instid0(VALU_DEP_2) | instskip(NEXT) | instid1(VALU_DEP_1)
	v_mad_u32 v5, v2, s9, v5
	v_mad_u32 v6, v4, s8, v5
	s_delay_alu instid0(VALU_DEP_1) | instskip(SKIP_1) | instid1(VALU_DEP_1)
	v_lshl_add_u64 v[8:9], v[6:7], 1, s[2:3]
	v_mul_lo_u32 v6, v0, s7
	v_lshl_add_u64 v[6:7], v[6:7], 1, v[8:9]
	global_load_u16 v5, v[6:7], off
	s_wait_loadcnt 0x0
	v_cvt_f32_f16_e32 v5, v5
.LBB22_3:
	v_mul_hi_u32 v6, s21, v1
	v_mul_hi_u32 v7, s18, v2
	;; [unrolled: 1-line block ×4, first 2 shown]
	s_load_b64 s[2:3], s[0:1], 0xb8
	s_delay_alu instid0(VALU_DEP_3) | instskip(SKIP_2) | instid1(VALU_DEP_3)
	v_dual_add_nc_u32 v6, v1, v6 :: v_dual_add_nc_u32 v7, v2, v7
	s_wait_xcnt 0x0
	s_load_b64 s[0:1], s[0:1], 0x10
	v_add_nc_u32_e32 v8, v4, v8
	s_delay_alu instid0(VALU_DEP_2) | instskip(NEXT) | instid1(VALU_DEP_2)
	v_dual_add_nc_u32 v9, v0, v9 :: v_dual_lshrrev_b32 v6, s22, v6
	v_dual_lshrrev_b32 v7, s19, v7 :: v_dual_lshrrev_b32 v8, s16, v8
	s_delay_alu instid0(VALU_DEP_2) | instskip(NEXT) | instid1(VALU_DEP_2)
	v_mul_lo_u32 v6, v6, s23
	v_mul_lo_u32 v7, v7, s20
	s_delay_alu instid0(VALU_DEP_4) | instskip(NEXT) | instid1(VALU_DEP_4)
	v_lshrrev_b32_e32 v9, s13, v9
	v_mul_lo_u32 v8, v8, s17
	s_delay_alu instid0(VALU_DEP_3) | instskip(NEXT) | instid1(VALU_DEP_3)
	v_dual_sub_nc_u32 v6, v1, v6 :: v_dual_sub_nc_u32 v7, v2, v7
	v_mul_lo_u32 v9, v9, s14
	v_mul_lo_u32 v1, v1, s6
	s_delay_alu instid0(VALU_DEP_3) | instskip(NEXT) | instid1(VALU_DEP_2)
	v_mul_lo_u32 v6, v6, s26
	v_mad_u32 v1, v2, s5, v1
	s_delay_alu instid0(VALU_DEP_2) | instskip(SKIP_2) | instid1(VALU_DEP_1)
	v_mad_u32 v6, v7, s25, v6
	v_sub_nc_u32_e32 v7, v4, v8
	v_sub_nc_u32_e32 v8, v0, v9
	v_mul_lo_u32 v8, v8, s11
	v_mad_u32 v2, v4, s4, v1
	s_delay_alu instid0(VALU_DEP_2) | instskip(SKIP_1) | instid1(VALU_DEP_1)
	v_ashrrev_i32_e32 v9, 31, v8
	v_mad_u32 v6, v7, s24, v6
	v_ashrrev_i32_e32 v7, 31, v6
	s_wait_kmcnt 0x0
	s_delay_alu instid0(VALU_DEP_1) | instskip(NEXT) | instid1(VALU_DEP_1)
	v_lshl_add_u64 v[6:7], v[6:7], 2, s[2:3]
	v_lshl_add_u64 v[6:7], v[8:9], 2, v[6:7]
	global_load_b32 v6, v[6:7], off
	v_mov_b32_e32 v1, v3
	v_lshl_add_u64 v[2:3], v[2:3], 2, s[0:1]
	s_wait_loadcnt 0x0
	v_sub_f32_e32 v4, v5, v6
	s_delay_alu instid0(VALU_DEP_2)
	v_lshl_add_u64 v[0:1], v[0:1], 2, v[2:3]
	global_store_b32 v[0:1], v4, off
.LBB22_4:
	s_endpgm
	.section	.rodata,"a",@progbits
	.p2align	6, 0x0
	.amdhsa_kernel _ZL19k_bin_bcast_unravelIXadL_ZL6op_subffEE6__halfffJPKfEEvPKT0_PKT1_PT2_15HIP_vector_typeIjLj3EESC_SC_jSC_SC_SC_SC_SC_SC_iiiiiiiiiiiDpT3_
		.amdhsa_group_segment_fixed_size 0
		.amdhsa_private_segment_fixed_size 0
		.amdhsa_kernarg_size 448
		.amdhsa_user_sgpr_count 2
		.amdhsa_user_sgpr_dispatch_ptr 0
		.amdhsa_user_sgpr_queue_ptr 0
		.amdhsa_user_sgpr_kernarg_segment_ptr 1
		.amdhsa_user_sgpr_dispatch_id 0
		.amdhsa_user_sgpr_kernarg_preload_length 0
		.amdhsa_user_sgpr_kernarg_preload_offset 0
		.amdhsa_user_sgpr_private_segment_size 0
		.amdhsa_wavefront_size32 1
		.amdhsa_uses_dynamic_stack 0
		.amdhsa_enable_private_segment 0
		.amdhsa_system_sgpr_workgroup_id_x 1
		.amdhsa_system_sgpr_workgroup_id_y 0
		.amdhsa_system_sgpr_workgroup_id_z 0
		.amdhsa_system_sgpr_workgroup_info 0
		.amdhsa_system_vgpr_workitem_id 0
		.amdhsa_next_free_vgpr 10
		.amdhsa_next_free_sgpr 27
		.amdhsa_named_barrier_count 0
		.amdhsa_reserve_vcc 1
		.amdhsa_float_round_mode_32 0
		.amdhsa_float_round_mode_16_64 0
		.amdhsa_float_denorm_mode_32 3
		.amdhsa_float_denorm_mode_16_64 3
		.amdhsa_fp16_overflow 0
		.amdhsa_memory_ordered 1
		.amdhsa_forward_progress 1
		.amdhsa_inst_pref_size 6
		.amdhsa_round_robin_scheduling 0
		.amdhsa_exception_fp_ieee_invalid_op 0
		.amdhsa_exception_fp_denorm_src 0
		.amdhsa_exception_fp_ieee_div_zero 0
		.amdhsa_exception_fp_ieee_overflow 0
		.amdhsa_exception_fp_ieee_underflow 0
		.amdhsa_exception_fp_ieee_inexact 0
		.amdhsa_exception_int_div_zero 0
	.end_amdhsa_kernel
	.section	.text._ZL19k_bin_bcast_unravelIXadL_ZL6op_subffEE6__halfffJPKfEEvPKT0_PKT1_PT2_15HIP_vector_typeIjLj3EESC_SC_jSC_SC_SC_SC_SC_SC_iiiiiiiiiiiDpT3_,"axG",@progbits,_ZL19k_bin_bcast_unravelIXadL_ZL6op_subffEE6__halfffJPKfEEvPKT0_PKT1_PT2_15HIP_vector_typeIjLj3EESC_SC_jSC_SC_SC_SC_SC_SC_iiiiiiiiiiiDpT3_,comdat
.Lfunc_end22:
	.size	_ZL19k_bin_bcast_unravelIXadL_ZL6op_subffEE6__halfffJPKfEEvPKT0_PKT1_PT2_15HIP_vector_typeIjLj3EESC_SC_jSC_SC_SC_SC_SC_SC_iiiiiiiiiiiDpT3_, .Lfunc_end22-_ZL19k_bin_bcast_unravelIXadL_ZL6op_subffEE6__halfffJPKfEEvPKT0_PKT1_PT2_15HIP_vector_typeIjLj3EESC_SC_jSC_SC_SC_SC_SC_SC_iiiiiiiiiiiDpT3_
                                        ; -- End function
	.set _ZL19k_bin_bcast_unravelIXadL_ZL6op_subffEE6__halfffJPKfEEvPKT0_PKT1_PT2_15HIP_vector_typeIjLj3EESC_SC_jSC_SC_SC_SC_SC_SC_iiiiiiiiiiiDpT3_.num_vgpr, 10
	.set _ZL19k_bin_bcast_unravelIXadL_ZL6op_subffEE6__halfffJPKfEEvPKT0_PKT1_PT2_15HIP_vector_typeIjLj3EESC_SC_jSC_SC_SC_SC_SC_SC_iiiiiiiiiiiDpT3_.num_agpr, 0
	.set _ZL19k_bin_bcast_unravelIXadL_ZL6op_subffEE6__halfffJPKfEEvPKT0_PKT1_PT2_15HIP_vector_typeIjLj3EESC_SC_jSC_SC_SC_SC_SC_SC_iiiiiiiiiiiDpT3_.numbered_sgpr, 27
	.set _ZL19k_bin_bcast_unravelIXadL_ZL6op_subffEE6__halfffJPKfEEvPKT0_PKT1_PT2_15HIP_vector_typeIjLj3EESC_SC_jSC_SC_SC_SC_SC_SC_iiiiiiiiiiiDpT3_.num_named_barrier, 0
	.set _ZL19k_bin_bcast_unravelIXadL_ZL6op_subffEE6__halfffJPKfEEvPKT0_PKT1_PT2_15HIP_vector_typeIjLj3EESC_SC_jSC_SC_SC_SC_SC_SC_iiiiiiiiiiiDpT3_.private_seg_size, 0
	.set _ZL19k_bin_bcast_unravelIXadL_ZL6op_subffEE6__halfffJPKfEEvPKT0_PKT1_PT2_15HIP_vector_typeIjLj3EESC_SC_jSC_SC_SC_SC_SC_SC_iiiiiiiiiiiDpT3_.uses_vcc, 1
	.set _ZL19k_bin_bcast_unravelIXadL_ZL6op_subffEE6__halfffJPKfEEvPKT0_PKT1_PT2_15HIP_vector_typeIjLj3EESC_SC_jSC_SC_SC_SC_SC_SC_iiiiiiiiiiiDpT3_.uses_flat_scratch, 0
	.set _ZL19k_bin_bcast_unravelIXadL_ZL6op_subffEE6__halfffJPKfEEvPKT0_PKT1_PT2_15HIP_vector_typeIjLj3EESC_SC_jSC_SC_SC_SC_SC_SC_iiiiiiiiiiiDpT3_.has_dyn_sized_stack, 0
	.set _ZL19k_bin_bcast_unravelIXadL_ZL6op_subffEE6__halfffJPKfEEvPKT0_PKT1_PT2_15HIP_vector_typeIjLj3EESC_SC_jSC_SC_SC_SC_SC_SC_iiiiiiiiiiiDpT3_.has_recursion, 0
	.set _ZL19k_bin_bcast_unravelIXadL_ZL6op_subffEE6__halfffJPKfEEvPKT0_PKT1_PT2_15HIP_vector_typeIjLj3EESC_SC_jSC_SC_SC_SC_SC_SC_iiiiiiiiiiiDpT3_.has_indirect_call, 0
	.section	.AMDGPU.csdata,"",@progbits
; Kernel info:
; codeLenInByte = 740
; TotalNumSgprs: 29
; NumVgprs: 10
; ScratchSize: 0
; MemoryBound: 0
; FloatMode: 240
; IeeeMode: 1
; LDSByteSize: 0 bytes/workgroup (compile time only)
; SGPRBlocks: 0
; VGPRBlocks: 0
; NumSGPRsForWavesPerEU: 29
; NumVGPRsForWavesPerEU: 10
; NamedBarCnt: 0
; Occupancy: 16
; WaveLimiterHint : 1
; COMPUTE_PGM_RSRC2:SCRATCH_EN: 0
; COMPUTE_PGM_RSRC2:USER_SGPR: 2
; COMPUTE_PGM_RSRC2:TRAP_HANDLER: 0
; COMPUTE_PGM_RSRC2:TGID_X_EN: 1
; COMPUTE_PGM_RSRC2:TGID_Y_EN: 0
; COMPUTE_PGM_RSRC2:TGID_Z_EN: 0
; COMPUTE_PGM_RSRC2:TIDIG_COMP_CNT: 0
	.section	.text._ZL11k_bin_bcastIXadL_ZL6op_subffEE6__halfffJPKfEEvPKT0_PKT1_PT2_iii15HIP_vector_typeIjLj3EESC_SC_SC_SC_iiiiiiiiiiiDpT3_,"axG",@progbits,_ZL11k_bin_bcastIXadL_ZL6op_subffEE6__halfffJPKfEEvPKT0_PKT1_PT2_iii15HIP_vector_typeIjLj3EESC_SC_SC_SC_iiiiiiiiiiiDpT3_,comdat
	.globl	_ZL11k_bin_bcastIXadL_ZL6op_subffEE6__halfffJPKfEEvPKT0_PKT1_PT2_iii15HIP_vector_typeIjLj3EESC_SC_SC_SC_iiiiiiiiiiiDpT3_ ; -- Begin function _ZL11k_bin_bcastIXadL_ZL6op_subffEE6__halfffJPKfEEvPKT0_PKT1_PT2_iii15HIP_vector_typeIjLj3EESC_SC_SC_SC_iiiiiiiiiiiDpT3_
	.p2align	8
	.type	_ZL11k_bin_bcastIXadL_ZL6op_subffEE6__halfffJPKfEEvPKT0_PKT1_PT2_iii15HIP_vector_typeIjLj3EESC_SC_SC_SC_iiiiiiiiiiiDpT3_,@function
_ZL11k_bin_bcastIXadL_ZL6op_subffEE6__halfffJPKfEEvPKT0_PKT1_PT2_iii15HIP_vector_typeIjLj3EESC_SC_SC_SC_iiiiiiiiiiiDpT3_: ; @_ZL11k_bin_bcastIXadL_ZL6op_subffEE6__halfffJPKfEEvPKT0_PKT1_PT2_iii15HIP_vector_typeIjLj3EESC_SC_SC_SC_iiiiiiiiiiiDpT3_
; %bb.0:
	s_load_b64 s[2:3], s[0:1], 0xa4
	s_bfe_u32 s5, ttmp6, 0x40014
	s_bfe_u32 s16, ttmp6, 0x40010
	;; [unrolled: 1-line block ×3, first 2 shown]
	s_lshr_b32 s4, ttmp7, 16
	s_and_b32 s7, ttmp7, 0xffff
	s_add_co_i32 s5, s5, 1
	s_add_co_i32 s16, s16, 1
	s_load_b256 s[8:15], s[0:1], 0x18
	s_add_co_i32 s19, s19, 1
	s_bfe_u32 s6, ttmp6, 0x40008
	s_bfe_u32 s17, ttmp6, 0x40004
	s_mul_i32 s5, s4, s5
	s_mul_i32 s16, s7, s16
	s_and_b32 s18, ttmp6, 15
	s_mul_i32 s19, ttmp9, s19
	s_add_co_i32 s6, s6, s5
	s_add_co_i32 s17, s17, s16
	;; [unrolled: 1-line block ×3, first 2 shown]
	v_bfe_u32 v1, v0, 20, 10
	s_wait_kmcnt 0x0
	s_lshr_b32 s16, s2, 16
	s_and_b32 s5, s2, 0xffff
	s_getreg_b32 s2, hwreg(HW_REG_IB_STS2, 6, 4)
	s_and_b32 s3, s3, 0xffff
	s_cmp_eq_u32 s2, 0
	v_and_b32_e32 v3, 0x3ff, v0
	s_cselect_b32 s2, s4, s6
	v_bfe_u32 v4, v0, 10, 10
	v_mad_u32 v2, s2, s3, v1
	s_cselect_b32 s2, ttmp9, s18
	s_cselect_b32 s3, s7, s17
	v_mad_u32 v0, s2, s5, v3
	v_mad_u32 v3, s3, s16, v4
	s_delay_alu instid0(VALU_DEP_3) | instskip(NEXT) | instid1(VALU_DEP_3)
	v_mul_hi_u32 v1, v2, s11
	v_cmp_gt_u32_e32 vcc_lo, s8, v0
	s_delay_alu instid0(VALU_DEP_3) | instskip(SKIP_2) | instid1(VALU_DEP_1)
	v_cmp_gt_u32_e64 s2, s9, v3
	s_and_b32 s2, vcc_lo, s2
	v_add_nc_u32_e32 v1, v2, v1
	v_lshrrev_b32_e32 v1, s12, v1
	s_delay_alu instid0(VALU_DEP_1) | instskip(SKIP_3) | instid1(VALU_DEP_1)
	v_mul_lo_u32 v5, v1, s13
	v_cmp_gt_u32_e64 s3, s10, v1
	s_and_b32 s2, s2, s3
	v_sub_nc_u32_e32 v2, v2, v5
	v_cmp_gt_u32_e64 s4, s13, v2
	s_and_b32 s2, s2, s4
	s_delay_alu instid0(SALU_CYCLE_1)
	s_and_saveexec_b32 s3, s2
	s_cbranch_execz .LBB23_6
; %bb.1:
	v_cmp_gt_i32_e32 vcc_lo, s8, v0
	s_and_b32 exec_lo, exec_lo, vcc_lo
	s_cbranch_execz .LBB23_6
; %bb.2:
	s_clause 0x4
	s_load_b256 s[24:31], s[0:1], 0x3c
	s_load_b32 s2, s[0:1], 0x5c
	s_load_b256 s[16:23], s[0:1], 0x60
	s_load_b96 s[36:38], s[0:1], 0x80
	s_load_b64 s[6:7], s[0:1], 0x90
	s_wait_kmcnt 0x0
	v_mul_hi_u32 v4, s30, v2
	v_mul_hi_u32 v5, s27, v1
	;; [unrolled: 1-line block ×3, first 2 shown]
	v_mul_lo_u32 v7, v3, s20
	v_mul_lo_u32 v8, v3, s16
	s_delay_alu instid0(VALU_DEP_4) | instskip(NEXT) | instid1(VALU_DEP_3)
	v_dual_add_nc_u32 v4, v2, v4 :: v_dual_add_nc_u32 v5, v1, v5
	v_mad_u32 v7, v1, s21, v7
	s_delay_alu instid0(VALU_DEP_3) | instskip(NEXT) | instid1(VALU_DEP_3)
	v_mad_u32 v8, v1, s17, v8
	v_dual_lshrrev_b32 v4, s31, v4 :: v_dual_lshrrev_b32 v5, s28, v5
	s_delay_alu instid0(VALU_DEP_1) | instskip(SKIP_1) | instid1(VALU_DEP_3)
	v_mul_lo_u32 v4, v4, s2
	v_add_nc_u32_e32 v6, v3, v6
	v_mul_lo_u32 v5, v5, s29
	s_add_nc_u64 s[2:3], s[0:1], 0x98
	s_load_b64 s[10:11], s[0:1], 0x0
	s_load_b32 s4, s[2:3], 0x0
	s_clause 0x1
	s_load_b64 s[12:13], s[0:1], 0x10
	s_load_b32 s9, s[0:1], 0x38
	s_wait_xcnt 0x0
	s_mov_b32 s1, 0
	s_mov_b32 s0, s14
	v_dual_sub_nc_u32 v4, v2, v4 :: v_dual_lshrrev_b32 v6, s25, v6
	v_dual_sub_nc_u32 v5, v1, v5 :: v_dual_mov_b32 v1, 0
	s_delay_alu instid0(VALU_DEP_2) | instskip(NEXT) | instid1(VALU_DEP_3)
	v_mul_lo_u32 v4, v4, s38
	v_mul_lo_u32 v6, v6, s26
	s_delay_alu instid0(VALU_DEP_3)
	v_mov_b32_e32 v9, v1
	s_wait_kmcnt 0x0
	s_cmp_lg_u64 s[10:11], 0
	s_mul_i32 s2, s4, s5
	s_cselect_b32 s3, -1, 0
	s_mul_i32 s4, s2, s19
	s_delay_alu instid0(VALU_DEP_3) | instskip(NEXT) | instid1(VALU_DEP_3)
	v_mad_u32 v5, v5, s37, v4
	v_sub_nc_u32_e32 v3, v3, v6
	v_mad_u32 v4, v2, s22, v7
	v_mad_u32 v6, v2, s18, v8
	v_mul_lo_u32 v2, s19, v0
	s_sub_co_i32 s5, 0, s9
	v_mov_b32_e32 v7, v1
	v_mad_u32 v8, v3, s36, v5
	v_mov_b32_e32 v5, v1
	s_delay_alu instid0(VALU_DEP_3) | instskip(NEXT) | instid1(VALU_DEP_2)
	v_lshl_add_u64 v[6:7], v[6:7], 2, s[12:13]
	v_lshl_add_u64 v[4:5], v[4:5], 1, s[10:11]
	s_delay_alu instid0(VALU_DEP_4)
	v_lshl_add_u64 v[8:9], v[8:9], 2, s[6:7]
	s_mov_b32 s6, s1
	s_branch .LBB23_4
.LBB23_3:                               ;   in Loop: Header=BB23_4 Depth=1
	s_wait_xcnt 0x0
	v_mul_u64_e32 v[10:11], s[0:1], v[0:1]
	s_delay_alu instid0(VALU_DEP_1) | instskip(NEXT) | instid1(VALU_DEP_1)
	v_dual_add_nc_u32 v2, s4, v2 :: v_dual_add_nc_u32 v10, v0, v11
	v_dual_mov_b32 v11, v1 :: v_dual_lshrrev_b32 v10, s15, v10
	s_delay_alu instid0(VALU_DEP_1) | instskip(NEXT) | instid1(VALU_DEP_1)
	v_mad_u32 v10, s5, v10, v0
	v_mul_lo_u32 v10, v10, s23
	s_delay_alu instid0(VALU_DEP_1) | instskip(SKIP_4) | instid1(VALU_DEP_2)
	v_lshl_add_u64 v[10:11], v[10:11], 2, v[8:9]
	global_load_b32 v12, v[10:11], off
	s_wait_xcnt 0x0
	v_dual_mov_b32 v10, v0 :: v_dual_ashrrev_i32 v11, 31, v0
	v_add_nc_u32_e32 v0, s2, v0
	v_lshl_add_u64 v[10:11], v[10:11], 2, v[6:7]
	s_delay_alu instid0(VALU_DEP_2)
	v_cmp_le_i32_e32 vcc_lo, s8, v0
	s_or_b32 s6, vcc_lo, s6
	s_wait_loadcnt 0x0
	v_sub_f32_e32 v3, v3, v12
	global_store_b32 v[10:11], v3, off
	s_wait_xcnt 0x0
	s_and_not1_b32 exec_lo, exec_lo, s6
	s_cbranch_execz .LBB23_6
.LBB23_4:                               ; =>This Inner Loop Header: Depth=1
	v_mov_b32_e32 v3, 0
	s_and_not1_b32 vcc_lo, exec_lo, s3
	s_cbranch_vccnz .LBB23_3
; %bb.5:                                ;   in Loop: Header=BB23_4 Depth=1
	v_ashrrev_i32_e32 v3, 31, v2
	s_delay_alu instid0(VALU_DEP_1)
	v_lshl_add_u64 v[10:11], v[2:3], 1, v[4:5]
	global_load_u16 v3, v[10:11], off
	s_wait_loadcnt 0x0
	v_cvt_f32_f16_e32 v3, v3
	s_branch .LBB23_3
.LBB23_6:
	s_endpgm
	.section	.rodata,"a",@progbits
	.p2align	6, 0x0
	.amdhsa_kernel _ZL11k_bin_bcastIXadL_ZL6op_subffEE6__halfffJPKfEEvPKT0_PKT1_PT2_iii15HIP_vector_typeIjLj3EESC_SC_SC_SC_iiiiiiiiiiiDpT3_
		.amdhsa_group_segment_fixed_size 0
		.amdhsa_private_segment_fixed_size 0
		.amdhsa_kernarg_size 408
		.amdhsa_user_sgpr_count 2
		.amdhsa_user_sgpr_dispatch_ptr 0
		.amdhsa_user_sgpr_queue_ptr 0
		.amdhsa_user_sgpr_kernarg_segment_ptr 1
		.amdhsa_user_sgpr_dispatch_id 0
		.amdhsa_user_sgpr_kernarg_preload_length 0
		.amdhsa_user_sgpr_kernarg_preload_offset 0
		.amdhsa_user_sgpr_private_segment_size 0
		.amdhsa_wavefront_size32 1
		.amdhsa_uses_dynamic_stack 0
		.amdhsa_enable_private_segment 0
		.amdhsa_system_sgpr_workgroup_id_x 1
		.amdhsa_system_sgpr_workgroup_id_y 1
		.amdhsa_system_sgpr_workgroup_id_z 1
		.amdhsa_system_sgpr_workgroup_info 0
		.amdhsa_system_vgpr_workitem_id 2
		.amdhsa_next_free_vgpr 13
		.amdhsa_next_free_sgpr 39
		.amdhsa_named_barrier_count 0
		.amdhsa_reserve_vcc 1
		.amdhsa_float_round_mode_32 0
		.amdhsa_float_round_mode_16_64 0
		.amdhsa_float_denorm_mode_32 3
		.amdhsa_float_denorm_mode_16_64 3
		.amdhsa_fp16_overflow 0
		.amdhsa_memory_ordered 1
		.amdhsa_forward_progress 1
		.amdhsa_inst_pref_size 7
		.amdhsa_round_robin_scheduling 0
		.amdhsa_exception_fp_ieee_invalid_op 0
		.amdhsa_exception_fp_denorm_src 0
		.amdhsa_exception_fp_ieee_div_zero 0
		.amdhsa_exception_fp_ieee_overflow 0
		.amdhsa_exception_fp_ieee_underflow 0
		.amdhsa_exception_fp_ieee_inexact 0
		.amdhsa_exception_int_div_zero 0
	.end_amdhsa_kernel
	.section	.text._ZL11k_bin_bcastIXadL_ZL6op_subffEE6__halfffJPKfEEvPKT0_PKT1_PT2_iii15HIP_vector_typeIjLj3EESC_SC_SC_SC_iiiiiiiiiiiDpT3_,"axG",@progbits,_ZL11k_bin_bcastIXadL_ZL6op_subffEE6__halfffJPKfEEvPKT0_PKT1_PT2_iii15HIP_vector_typeIjLj3EESC_SC_SC_SC_iiiiiiiiiiiDpT3_,comdat
.Lfunc_end23:
	.size	_ZL11k_bin_bcastIXadL_ZL6op_subffEE6__halfffJPKfEEvPKT0_PKT1_PT2_iii15HIP_vector_typeIjLj3EESC_SC_SC_SC_iiiiiiiiiiiDpT3_, .Lfunc_end23-_ZL11k_bin_bcastIXadL_ZL6op_subffEE6__halfffJPKfEEvPKT0_PKT1_PT2_iii15HIP_vector_typeIjLj3EESC_SC_SC_SC_iiiiiiiiiiiDpT3_
                                        ; -- End function
	.set _ZL11k_bin_bcastIXadL_ZL6op_subffEE6__halfffJPKfEEvPKT0_PKT1_PT2_iii15HIP_vector_typeIjLj3EESC_SC_SC_SC_iiiiiiiiiiiDpT3_.num_vgpr, 13
	.set _ZL11k_bin_bcastIXadL_ZL6op_subffEE6__halfffJPKfEEvPKT0_PKT1_PT2_iii15HIP_vector_typeIjLj3EESC_SC_SC_SC_iiiiiiiiiiiDpT3_.num_agpr, 0
	.set _ZL11k_bin_bcastIXadL_ZL6op_subffEE6__halfffJPKfEEvPKT0_PKT1_PT2_iii15HIP_vector_typeIjLj3EESC_SC_SC_SC_iiiiiiiiiiiDpT3_.numbered_sgpr, 39
	.set _ZL11k_bin_bcastIXadL_ZL6op_subffEE6__halfffJPKfEEvPKT0_PKT1_PT2_iii15HIP_vector_typeIjLj3EESC_SC_SC_SC_iiiiiiiiiiiDpT3_.num_named_barrier, 0
	.set _ZL11k_bin_bcastIXadL_ZL6op_subffEE6__halfffJPKfEEvPKT0_PKT1_PT2_iii15HIP_vector_typeIjLj3EESC_SC_SC_SC_iiiiiiiiiiiDpT3_.private_seg_size, 0
	.set _ZL11k_bin_bcastIXadL_ZL6op_subffEE6__halfffJPKfEEvPKT0_PKT1_PT2_iii15HIP_vector_typeIjLj3EESC_SC_SC_SC_iiiiiiiiiiiDpT3_.uses_vcc, 1
	.set _ZL11k_bin_bcastIXadL_ZL6op_subffEE6__halfffJPKfEEvPKT0_PKT1_PT2_iii15HIP_vector_typeIjLj3EESC_SC_SC_SC_iiiiiiiiiiiDpT3_.uses_flat_scratch, 0
	.set _ZL11k_bin_bcastIXadL_ZL6op_subffEE6__halfffJPKfEEvPKT0_PKT1_PT2_iii15HIP_vector_typeIjLj3EESC_SC_SC_SC_iiiiiiiiiiiDpT3_.has_dyn_sized_stack, 0
	.set _ZL11k_bin_bcastIXadL_ZL6op_subffEE6__halfffJPKfEEvPKT0_PKT1_PT2_iii15HIP_vector_typeIjLj3EESC_SC_SC_SC_iiiiiiiiiiiDpT3_.has_recursion, 0
	.set _ZL11k_bin_bcastIXadL_ZL6op_subffEE6__halfffJPKfEEvPKT0_PKT1_PT2_iii15HIP_vector_typeIjLj3EESC_SC_SC_SC_iiiiiiiiiiiDpT3_.has_indirect_call, 0
	.section	.AMDGPU.csdata,"",@progbits
; Kernel info:
; codeLenInByte = 892
; TotalNumSgprs: 41
; NumVgprs: 13
; ScratchSize: 0
; MemoryBound: 0
; FloatMode: 240
; IeeeMode: 1
; LDSByteSize: 0 bytes/workgroup (compile time only)
; SGPRBlocks: 0
; VGPRBlocks: 0
; NumSGPRsForWavesPerEU: 41
; NumVGPRsForWavesPerEU: 13
; NamedBarCnt: 0
; Occupancy: 16
; WaveLimiterHint : 1
; COMPUTE_PGM_RSRC2:SCRATCH_EN: 0
; COMPUTE_PGM_RSRC2:USER_SGPR: 2
; COMPUTE_PGM_RSRC2:TRAP_HANDLER: 0
; COMPUTE_PGM_RSRC2:TGID_X_EN: 1
; COMPUTE_PGM_RSRC2:TGID_Y_EN: 1
; COMPUTE_PGM_RSRC2:TGID_Z_EN: 1
; COMPUTE_PGM_RSRC2:TIDIG_COMP_CNT: 2
	.section	.text._ZL19k_bin_bcast_unravelIXadL_ZL6op_mulffEEfffJPKfEEvPKT0_PKT1_PT2_15HIP_vector_typeIjLj3EESB_SB_jSB_SB_SB_SB_SB_SB_iiiiiiiiiiiDpT3_,"axG",@progbits,_ZL19k_bin_bcast_unravelIXadL_ZL6op_mulffEEfffJPKfEEvPKT0_PKT1_PT2_15HIP_vector_typeIjLj3EESB_SB_jSB_SB_SB_SB_SB_SB_iiiiiiiiiiiDpT3_,comdat
	.globl	_ZL19k_bin_bcast_unravelIXadL_ZL6op_mulffEEfffJPKfEEvPKT0_PKT1_PT2_15HIP_vector_typeIjLj3EESB_SB_jSB_SB_SB_SB_SB_SB_iiiiiiiiiiiDpT3_ ; -- Begin function _ZL19k_bin_bcast_unravelIXadL_ZL6op_mulffEEfffJPKfEEvPKT0_PKT1_PT2_15HIP_vector_typeIjLj3EESB_SB_jSB_SB_SB_SB_SB_SB_iiiiiiiiiiiDpT3_
	.p2align	8
	.type	_ZL19k_bin_bcast_unravelIXadL_ZL6op_mulffEEfffJPKfEEvPKT0_PKT1_PT2_15HIP_vector_typeIjLj3EESB_SB_jSB_SB_SB_SB_SB_SB_iiiiiiiiiiiDpT3_,@function
_ZL19k_bin_bcast_unravelIXadL_ZL6op_mulffEEfffJPKfEEvPKT0_PKT1_PT2_15HIP_vector_typeIjLj3EESB_SB_jSB_SB_SB_SB_SB_SB_iiiiiiiiiiiDpT3_: ; @_ZL19k_bin_bcast_unravelIXadL_ZL6op_mulffEEfffJPKfEEvPKT0_PKT1_PT2_15HIP_vector_typeIjLj3EESB_SB_jSB_SB_SB_SB_SB_SB_iiiiiiiiiiiDpT3_
; %bb.0:
	s_load_b32 s2, s[0:1], 0xcc
	s_bfe_u32 s3, ttmp6, 0x4000c
	s_load_b256 s[4:11], s[0:1], 0x38
	s_add_co_i32 s3, s3, 1
	s_and_b32 s12, ttmp6, 15
	s_mul_i32 s3, ttmp9, s3
	s_getreg_b32 s13, hwreg(HW_REG_IB_STS2, 6, 4)
	s_add_co_i32 s12, s12, s3
	s_wait_kmcnt 0x0
	s_and_b32 s2, s2, 0xffff
	s_cmp_eq_u32 s13, 0
	s_cselect_b32 s3, ttmp9, s12
	s_delay_alu instid0(SALU_CYCLE_1) | instskip(SKIP_1) | instid1(VALU_DEP_1)
	v_mad_u32 v0, s3, s2, v0
	s_load_b32 s2, s[0:1], 0x2c
	v_mul_hi_u32 v1, v0, s6
	s_delay_alu instid0(VALU_DEP_1) | instskip(NEXT) | instid1(VALU_DEP_1)
	v_add_nc_u32_e32 v1, v0, v1
	v_lshrrev_b32_e32 v1, s7, v1
	s_delay_alu instid0(VALU_DEP_1) | instskip(NEXT) | instid1(VALU_DEP_1)
	v_mul_lo_u32 v2, v1, s8
	v_sub_nc_u32_e32 v0, v0, v2
	s_delay_alu instid0(VALU_DEP_1) | instskip(NEXT) | instid1(VALU_DEP_1)
	v_mul_hi_u32 v2, v0, s9
	v_add_nc_u32_e32 v2, v0, v2
	s_delay_alu instid0(VALU_DEP_1) | instskip(SKIP_1) | instid1(VALU_DEP_1)
	v_lshrrev_b32_e32 v2, s10, v2
	s_load_b96 s[8:10], s[0:1], 0x18
	v_mul_lo_u32 v3, v2, s11
	s_delay_alu instid0(VALU_DEP_1) | instskip(SKIP_3) | instid1(VALU_DEP_3)
	v_sub_nc_u32_e32 v0, v0, v3
	v_cmp_gt_u32_e64 s3, s4, v2
	v_cmp_gt_u32_e64 s4, s5, v1
	s_wait_kmcnt 0x0
	v_mul_hi_u32 v3, v0, s8
	s_delay_alu instid0(VALU_DEP_1) | instskip(NEXT) | instid1(VALU_DEP_1)
	v_add_nc_u32_e32 v3, v0, v3
	v_lshrrev_b32_e32 v4, s9, v3
	s_delay_alu instid0(VALU_DEP_1) | instskip(NEXT) | instid1(VALU_DEP_1)
	v_mul_lo_u32 v3, v4, s10
	v_sub_nc_u32_e32 v0, v0, v3
	v_cmp_gt_u32_e64 s2, s2, v4
	s_delay_alu instid0(VALU_DEP_2) | instskip(SKIP_1) | instid1(SALU_CYCLE_1)
	v_cmp_gt_u32_e32 vcc_lo, s10, v0
	s_and_b32 s2, vcc_lo, s2
	s_and_b32 s2, s2, s3
	s_delay_alu instid0(SALU_CYCLE_1) | instskip(NEXT) | instid1(SALU_CYCLE_1)
	s_and_b32 s2, s4, s2
	s_and_saveexec_b32 s3, s2
	s_cbranch_execz .LBB24_4
; %bb.1:
	s_clause 0x4
	s_load_b64 s[2:3], s[0:1], 0x0
	s_load_b96 s[24:26], s[0:1], 0xa8
	s_load_b256 s[4:11], s[0:1], 0x88
	s_load_b128 s[20:23], s[0:1], 0x78
	s_load_b256 s[12:19], s[0:1], 0x58
	v_dual_mov_b32 v3, 0 :: v_dual_mov_b32 v5, 0
	s_wait_kmcnt 0x0
	s_cmp_eq_u64 s[2:3], 0
	s_cbranch_scc1 .LBB24_3
; %bb.2:
	v_mul_lo_u32 v5, v1, s10
	v_mov_b32_e32 v7, 0
	s_delay_alu instid0(VALU_DEP_2) | instskip(NEXT) | instid1(VALU_DEP_1)
	v_mad_u32 v5, v2, s9, v5
	v_mad_u32 v6, v4, s8, v5
	s_delay_alu instid0(VALU_DEP_1) | instskip(SKIP_1) | instid1(VALU_DEP_1)
	v_lshl_add_u64 v[8:9], v[6:7], 2, s[2:3]
	v_mul_lo_u32 v6, v0, s7
	v_lshl_add_u64 v[6:7], v[6:7], 2, v[8:9]
	global_load_b32 v5, v[6:7], off
.LBB24_3:
	s_wait_xcnt 0x0
	v_mul_hi_u32 v6, s21, v1
	v_mul_hi_u32 v7, s18, v2
	;; [unrolled: 1-line block ×4, first 2 shown]
	s_load_b64 s[2:3], s[0:1], 0xb8
	s_delay_alu instid0(VALU_DEP_3) | instskip(SKIP_2) | instid1(VALU_DEP_3)
	v_dual_add_nc_u32 v6, v1, v6 :: v_dual_add_nc_u32 v7, v2, v7
	s_wait_xcnt 0x0
	s_load_b64 s[0:1], s[0:1], 0x10
	v_add_nc_u32_e32 v8, v4, v8
	s_delay_alu instid0(VALU_DEP_2) | instskip(NEXT) | instid1(VALU_DEP_2)
	v_dual_add_nc_u32 v9, v0, v9 :: v_dual_lshrrev_b32 v6, s22, v6
	v_dual_lshrrev_b32 v7, s19, v7 :: v_dual_lshrrev_b32 v8, s16, v8
	s_delay_alu instid0(VALU_DEP_2) | instskip(NEXT) | instid1(VALU_DEP_2)
	v_mul_lo_u32 v6, v6, s23
	v_mul_lo_u32 v7, v7, s20
	s_delay_alu instid0(VALU_DEP_4) | instskip(NEXT) | instid1(VALU_DEP_4)
	v_lshrrev_b32_e32 v9, s13, v9
	v_mul_lo_u32 v8, v8, s17
	s_delay_alu instid0(VALU_DEP_3) | instskip(NEXT) | instid1(VALU_DEP_3)
	v_dual_sub_nc_u32 v6, v1, v6 :: v_dual_sub_nc_u32 v7, v2, v7
	v_mul_lo_u32 v9, v9, s14
	v_mul_lo_u32 v1, v1, s6
	s_delay_alu instid0(VALU_DEP_3) | instskip(NEXT) | instid1(VALU_DEP_2)
	v_mul_lo_u32 v6, v6, s26
	v_mad_u32 v1, v2, s5, v1
	s_delay_alu instid0(VALU_DEP_2) | instskip(SKIP_2) | instid1(VALU_DEP_1)
	v_mad_u32 v6, v7, s25, v6
	v_sub_nc_u32_e32 v7, v4, v8
	v_sub_nc_u32_e32 v8, v0, v9
	v_mul_lo_u32 v8, v8, s11
	v_mad_u32 v2, v4, s4, v1
	s_delay_alu instid0(VALU_DEP_2) | instskip(SKIP_1) | instid1(VALU_DEP_1)
	v_ashrrev_i32_e32 v9, 31, v8
	v_mad_u32 v6, v7, s24, v6
	v_ashrrev_i32_e32 v7, 31, v6
	s_wait_kmcnt 0x0
	s_delay_alu instid0(VALU_DEP_1) | instskip(NEXT) | instid1(VALU_DEP_1)
	v_lshl_add_u64 v[6:7], v[6:7], 2, s[2:3]
	v_lshl_add_u64 v[6:7], v[8:9], 2, v[6:7]
	global_load_b32 v6, v[6:7], off
	v_mov_b32_e32 v1, v3
	v_lshl_add_u64 v[2:3], v[2:3], 2, s[0:1]
	s_wait_loadcnt 0x0
	v_mul_f32_e32 v4, v5, v6
	s_delay_alu instid0(VALU_DEP_2)
	v_lshl_add_u64 v[0:1], v[0:1], 2, v[2:3]
	global_store_b32 v[0:1], v4, off
.LBB24_4:
	s_endpgm
	.section	.rodata,"a",@progbits
	.p2align	6, 0x0
	.amdhsa_kernel _ZL19k_bin_bcast_unravelIXadL_ZL6op_mulffEEfffJPKfEEvPKT0_PKT1_PT2_15HIP_vector_typeIjLj3EESB_SB_jSB_SB_SB_SB_SB_SB_iiiiiiiiiiiDpT3_
		.amdhsa_group_segment_fixed_size 0
		.amdhsa_private_segment_fixed_size 0
		.amdhsa_kernarg_size 448
		.amdhsa_user_sgpr_count 2
		.amdhsa_user_sgpr_dispatch_ptr 0
		.amdhsa_user_sgpr_queue_ptr 0
		.amdhsa_user_sgpr_kernarg_segment_ptr 1
		.amdhsa_user_sgpr_dispatch_id 0
		.amdhsa_user_sgpr_kernarg_preload_length 0
		.amdhsa_user_sgpr_kernarg_preload_offset 0
		.amdhsa_user_sgpr_private_segment_size 0
		.amdhsa_wavefront_size32 1
		.amdhsa_uses_dynamic_stack 0
		.amdhsa_enable_private_segment 0
		.amdhsa_system_sgpr_workgroup_id_x 1
		.amdhsa_system_sgpr_workgroup_id_y 0
		.amdhsa_system_sgpr_workgroup_id_z 0
		.amdhsa_system_sgpr_workgroup_info 0
		.amdhsa_system_vgpr_workitem_id 0
		.amdhsa_next_free_vgpr 10
		.amdhsa_next_free_sgpr 27
		.amdhsa_named_barrier_count 0
		.amdhsa_reserve_vcc 1
		.amdhsa_float_round_mode_32 0
		.amdhsa_float_round_mode_16_64 0
		.amdhsa_float_denorm_mode_32 3
		.amdhsa_float_denorm_mode_16_64 3
		.amdhsa_fp16_overflow 0
		.amdhsa_memory_ordered 1
		.amdhsa_forward_progress 1
		.amdhsa_inst_pref_size 6
		.amdhsa_round_robin_scheduling 0
		.amdhsa_exception_fp_ieee_invalid_op 0
		.amdhsa_exception_fp_denorm_src 0
		.amdhsa_exception_fp_ieee_div_zero 0
		.amdhsa_exception_fp_ieee_overflow 0
		.amdhsa_exception_fp_ieee_underflow 0
		.amdhsa_exception_fp_ieee_inexact 0
		.amdhsa_exception_int_div_zero 0
	.end_amdhsa_kernel
	.section	.text._ZL19k_bin_bcast_unravelIXadL_ZL6op_mulffEEfffJPKfEEvPKT0_PKT1_PT2_15HIP_vector_typeIjLj3EESB_SB_jSB_SB_SB_SB_SB_SB_iiiiiiiiiiiDpT3_,"axG",@progbits,_ZL19k_bin_bcast_unravelIXadL_ZL6op_mulffEEfffJPKfEEvPKT0_PKT1_PT2_15HIP_vector_typeIjLj3EESB_SB_jSB_SB_SB_SB_SB_SB_iiiiiiiiiiiDpT3_,comdat
.Lfunc_end24:
	.size	_ZL19k_bin_bcast_unravelIXadL_ZL6op_mulffEEfffJPKfEEvPKT0_PKT1_PT2_15HIP_vector_typeIjLj3EESB_SB_jSB_SB_SB_SB_SB_SB_iiiiiiiiiiiDpT3_, .Lfunc_end24-_ZL19k_bin_bcast_unravelIXadL_ZL6op_mulffEEfffJPKfEEvPKT0_PKT1_PT2_15HIP_vector_typeIjLj3EESB_SB_jSB_SB_SB_SB_SB_SB_iiiiiiiiiiiDpT3_
                                        ; -- End function
	.set _ZL19k_bin_bcast_unravelIXadL_ZL6op_mulffEEfffJPKfEEvPKT0_PKT1_PT2_15HIP_vector_typeIjLj3EESB_SB_jSB_SB_SB_SB_SB_SB_iiiiiiiiiiiDpT3_.num_vgpr, 10
	.set _ZL19k_bin_bcast_unravelIXadL_ZL6op_mulffEEfffJPKfEEvPKT0_PKT1_PT2_15HIP_vector_typeIjLj3EESB_SB_jSB_SB_SB_SB_SB_SB_iiiiiiiiiiiDpT3_.num_agpr, 0
	.set _ZL19k_bin_bcast_unravelIXadL_ZL6op_mulffEEfffJPKfEEvPKT0_PKT1_PT2_15HIP_vector_typeIjLj3EESB_SB_jSB_SB_SB_SB_SB_SB_iiiiiiiiiiiDpT3_.numbered_sgpr, 27
	.set _ZL19k_bin_bcast_unravelIXadL_ZL6op_mulffEEfffJPKfEEvPKT0_PKT1_PT2_15HIP_vector_typeIjLj3EESB_SB_jSB_SB_SB_SB_SB_SB_iiiiiiiiiiiDpT3_.num_named_barrier, 0
	.set _ZL19k_bin_bcast_unravelIXadL_ZL6op_mulffEEfffJPKfEEvPKT0_PKT1_PT2_15HIP_vector_typeIjLj3EESB_SB_jSB_SB_SB_SB_SB_SB_iiiiiiiiiiiDpT3_.private_seg_size, 0
	.set _ZL19k_bin_bcast_unravelIXadL_ZL6op_mulffEEfffJPKfEEvPKT0_PKT1_PT2_15HIP_vector_typeIjLj3EESB_SB_jSB_SB_SB_SB_SB_SB_iiiiiiiiiiiDpT3_.uses_vcc, 1
	.set _ZL19k_bin_bcast_unravelIXadL_ZL6op_mulffEEfffJPKfEEvPKT0_PKT1_PT2_15HIP_vector_typeIjLj3EESB_SB_jSB_SB_SB_SB_SB_SB_iiiiiiiiiiiDpT3_.uses_flat_scratch, 0
	.set _ZL19k_bin_bcast_unravelIXadL_ZL6op_mulffEEfffJPKfEEvPKT0_PKT1_PT2_15HIP_vector_typeIjLj3EESB_SB_jSB_SB_SB_SB_SB_SB_iiiiiiiiiiiDpT3_.has_dyn_sized_stack, 0
	.set _ZL19k_bin_bcast_unravelIXadL_ZL6op_mulffEEfffJPKfEEvPKT0_PKT1_PT2_15HIP_vector_typeIjLj3EESB_SB_jSB_SB_SB_SB_SB_SB_iiiiiiiiiiiDpT3_.has_recursion, 0
	.set _ZL19k_bin_bcast_unravelIXadL_ZL6op_mulffEEfffJPKfEEvPKT0_PKT1_PT2_15HIP_vector_typeIjLj3EESB_SB_jSB_SB_SB_SB_SB_SB_iiiiiiiiiiiDpT3_.has_indirect_call, 0
	.section	.AMDGPU.csdata,"",@progbits
; Kernel info:
; codeLenInByte = 736
; TotalNumSgprs: 29
; NumVgprs: 10
; ScratchSize: 0
; MemoryBound: 0
; FloatMode: 240
; IeeeMode: 1
; LDSByteSize: 0 bytes/workgroup (compile time only)
; SGPRBlocks: 0
; VGPRBlocks: 0
; NumSGPRsForWavesPerEU: 29
; NumVGPRsForWavesPerEU: 10
; NamedBarCnt: 0
; Occupancy: 16
; WaveLimiterHint : 1
; COMPUTE_PGM_RSRC2:SCRATCH_EN: 0
; COMPUTE_PGM_RSRC2:USER_SGPR: 2
; COMPUTE_PGM_RSRC2:TRAP_HANDLER: 0
; COMPUTE_PGM_RSRC2:TGID_X_EN: 1
; COMPUTE_PGM_RSRC2:TGID_Y_EN: 0
; COMPUTE_PGM_RSRC2:TGID_Z_EN: 0
; COMPUTE_PGM_RSRC2:TIDIG_COMP_CNT: 0
	.section	.text._ZL11k_bin_bcastIXadL_ZL6op_mulffEEfffJPKfEEvPKT0_PKT1_PT2_iii15HIP_vector_typeIjLj3EESB_SB_SB_SB_iiiiiiiiiiiDpT3_,"axG",@progbits,_ZL11k_bin_bcastIXadL_ZL6op_mulffEEfffJPKfEEvPKT0_PKT1_PT2_iii15HIP_vector_typeIjLj3EESB_SB_SB_SB_iiiiiiiiiiiDpT3_,comdat
	.globl	_ZL11k_bin_bcastIXadL_ZL6op_mulffEEfffJPKfEEvPKT0_PKT1_PT2_iii15HIP_vector_typeIjLj3EESB_SB_SB_SB_iiiiiiiiiiiDpT3_ ; -- Begin function _ZL11k_bin_bcastIXadL_ZL6op_mulffEEfffJPKfEEvPKT0_PKT1_PT2_iii15HIP_vector_typeIjLj3EESB_SB_SB_SB_iiiiiiiiiiiDpT3_
	.p2align	8
	.type	_ZL11k_bin_bcastIXadL_ZL6op_mulffEEfffJPKfEEvPKT0_PKT1_PT2_iii15HIP_vector_typeIjLj3EESB_SB_SB_SB_iiiiiiiiiiiDpT3_,@function
_ZL11k_bin_bcastIXadL_ZL6op_mulffEEfffJPKfEEvPKT0_PKT1_PT2_iii15HIP_vector_typeIjLj3EESB_SB_SB_SB_iiiiiiiiiiiDpT3_: ; @_ZL11k_bin_bcastIXadL_ZL6op_mulffEEfffJPKfEEvPKT0_PKT1_PT2_iii15HIP_vector_typeIjLj3EESB_SB_SB_SB_iiiiiiiiiiiDpT3_
; %bb.0:
	s_load_b64 s[2:3], s[0:1], 0xa4
	s_bfe_u32 s5, ttmp6, 0x40014
	s_bfe_u32 s16, ttmp6, 0x40010
	;; [unrolled: 1-line block ×3, first 2 shown]
	s_lshr_b32 s4, ttmp7, 16
	s_and_b32 s7, ttmp7, 0xffff
	s_add_co_i32 s5, s5, 1
	s_add_co_i32 s16, s16, 1
	s_load_b256 s[8:15], s[0:1], 0x18
	s_add_co_i32 s19, s19, 1
	s_bfe_u32 s6, ttmp6, 0x40008
	s_bfe_u32 s17, ttmp6, 0x40004
	s_mul_i32 s5, s4, s5
	s_mul_i32 s16, s7, s16
	s_and_b32 s18, ttmp6, 15
	s_mul_i32 s19, ttmp9, s19
	s_add_co_i32 s6, s6, s5
	s_add_co_i32 s17, s17, s16
	;; [unrolled: 1-line block ×3, first 2 shown]
	v_bfe_u32 v1, v0, 20, 10
	s_wait_kmcnt 0x0
	s_lshr_b32 s16, s2, 16
	s_and_b32 s5, s2, 0xffff
	s_getreg_b32 s2, hwreg(HW_REG_IB_STS2, 6, 4)
	s_and_b32 s3, s3, 0xffff
	s_cmp_eq_u32 s2, 0
	v_and_b32_e32 v3, 0x3ff, v0
	s_cselect_b32 s2, s4, s6
	v_bfe_u32 v4, v0, 10, 10
	v_mad_u32 v2, s2, s3, v1
	s_cselect_b32 s2, ttmp9, s18
	s_cselect_b32 s3, s7, s17
	v_mad_u32 v0, s2, s5, v3
	v_mad_u32 v3, s3, s16, v4
	s_delay_alu instid0(VALU_DEP_3) | instskip(NEXT) | instid1(VALU_DEP_3)
	v_mul_hi_u32 v1, v2, s11
	v_cmp_gt_u32_e32 vcc_lo, s8, v0
	s_delay_alu instid0(VALU_DEP_3) | instskip(SKIP_2) | instid1(VALU_DEP_1)
	v_cmp_gt_u32_e64 s2, s9, v3
	s_and_b32 s2, vcc_lo, s2
	v_add_nc_u32_e32 v1, v2, v1
	v_lshrrev_b32_e32 v1, s12, v1
	s_delay_alu instid0(VALU_DEP_1) | instskip(SKIP_3) | instid1(VALU_DEP_1)
	v_mul_lo_u32 v5, v1, s13
	v_cmp_gt_u32_e64 s3, s10, v1
	s_and_b32 s2, s2, s3
	v_sub_nc_u32_e32 v2, v2, v5
	v_cmp_gt_u32_e64 s4, s13, v2
	s_and_b32 s2, s2, s4
	s_delay_alu instid0(SALU_CYCLE_1)
	s_and_saveexec_b32 s3, s2
	s_cbranch_execz .LBB25_6
; %bb.1:
	v_cmp_gt_i32_e32 vcc_lo, s8, v0
	s_and_b32 exec_lo, exec_lo, vcc_lo
	s_cbranch_execz .LBB25_6
; %bb.2:
	s_clause 0x4
	s_load_b256 s[24:31], s[0:1], 0x3c
	s_load_b32 s2, s[0:1], 0x5c
	s_load_b256 s[16:23], s[0:1], 0x60
	s_load_b96 s[36:38], s[0:1], 0x80
	s_load_b64 s[6:7], s[0:1], 0x90
	s_wait_kmcnt 0x0
	v_mul_hi_u32 v4, s30, v2
	v_mul_hi_u32 v5, s27, v1
	v_mul_hi_u32 v6, s24, v3
	v_mul_lo_u32 v7, v3, s20
	v_mul_lo_u32 v8, v3, s16
	s_delay_alu instid0(VALU_DEP_4) | instskip(NEXT) | instid1(VALU_DEP_3)
	v_dual_add_nc_u32 v4, v2, v4 :: v_dual_add_nc_u32 v5, v1, v5
	v_mad_u32 v7, v1, s21, v7
	s_delay_alu instid0(VALU_DEP_3) | instskip(NEXT) | instid1(VALU_DEP_3)
	v_mad_u32 v8, v1, s17, v8
	v_dual_lshrrev_b32 v4, s31, v4 :: v_dual_lshrrev_b32 v5, s28, v5
	s_delay_alu instid0(VALU_DEP_1) | instskip(SKIP_1) | instid1(VALU_DEP_3)
	v_mul_lo_u32 v4, v4, s2
	v_add_nc_u32_e32 v6, v3, v6
	v_mul_lo_u32 v5, v5, s29
	s_add_nc_u64 s[2:3], s[0:1], 0x98
	s_load_b64 s[10:11], s[0:1], 0x0
	s_load_b32 s4, s[2:3], 0x0
	s_clause 0x1
	s_load_b64 s[12:13], s[0:1], 0x10
	s_load_b32 s9, s[0:1], 0x38
	s_wait_xcnt 0x0
	s_mov_b32 s1, 0
	s_mov_b32 s0, s14
	v_dual_sub_nc_u32 v4, v2, v4 :: v_dual_lshrrev_b32 v6, s25, v6
	v_dual_sub_nc_u32 v5, v1, v5 :: v_dual_mov_b32 v1, 0
	s_delay_alu instid0(VALU_DEP_2) | instskip(NEXT) | instid1(VALU_DEP_3)
	v_mul_lo_u32 v4, v4, s38
	v_mul_lo_u32 v6, v6, s26
	s_delay_alu instid0(VALU_DEP_3)
	v_mov_b32_e32 v9, v1
	s_wait_kmcnt 0x0
	s_cmp_lg_u64 s[10:11], 0
	s_mul_i32 s2, s4, s5
	s_cselect_b32 s3, -1, 0
	s_mul_i32 s4, s2, s19
	s_delay_alu instid0(VALU_DEP_3) | instskip(NEXT) | instid1(VALU_DEP_3)
	v_mad_u32 v5, v5, s37, v4
	v_sub_nc_u32_e32 v3, v3, v6
	v_mad_u32 v4, v2, s22, v7
	v_mad_u32 v6, v2, s18, v8
	v_mul_lo_u32 v2, s19, v0
	s_sub_co_i32 s5, 0, s9
	v_mov_b32_e32 v7, v1
	v_mad_u32 v8, v3, s36, v5
	v_mov_b32_e32 v5, v1
	s_delay_alu instid0(VALU_DEP_3) | instskip(NEXT) | instid1(VALU_DEP_2)
	v_lshl_add_u64 v[6:7], v[6:7], 2, s[12:13]
	v_lshl_add_u64 v[4:5], v[4:5], 2, s[10:11]
	s_delay_alu instid0(VALU_DEP_4)
	v_lshl_add_u64 v[8:9], v[8:9], 2, s[6:7]
	s_mov_b32 s6, s1
	s_branch .LBB25_4
.LBB25_3:                               ;   in Loop: Header=BB25_4 Depth=1
	s_wait_xcnt 0x0
	v_mul_u64_e32 v[10:11], s[0:1], v[0:1]
	s_delay_alu instid0(VALU_DEP_1) | instskip(NEXT) | instid1(VALU_DEP_1)
	v_dual_add_nc_u32 v2, s4, v2 :: v_dual_add_nc_u32 v10, v0, v11
	v_dual_mov_b32 v11, v1 :: v_dual_lshrrev_b32 v10, s15, v10
	s_delay_alu instid0(VALU_DEP_1) | instskip(NEXT) | instid1(VALU_DEP_1)
	v_mad_u32 v10, s5, v10, v0
	v_mul_lo_u32 v10, v10, s23
	s_delay_alu instid0(VALU_DEP_1) | instskip(SKIP_4) | instid1(VALU_DEP_2)
	v_lshl_add_u64 v[10:11], v[10:11], 2, v[8:9]
	global_load_b32 v12, v[10:11], off
	s_wait_xcnt 0x0
	v_dual_mov_b32 v10, v0 :: v_dual_ashrrev_i32 v11, 31, v0
	v_add_nc_u32_e32 v0, s2, v0
	v_lshl_add_u64 v[10:11], v[10:11], 2, v[6:7]
	s_delay_alu instid0(VALU_DEP_2)
	v_cmp_le_i32_e32 vcc_lo, s8, v0
	s_or_b32 s6, vcc_lo, s6
	s_wait_loadcnt 0x0
	v_mul_f32_e32 v3, v3, v12
	global_store_b32 v[10:11], v3, off
	s_wait_xcnt 0x0
	s_and_not1_b32 exec_lo, exec_lo, s6
	s_cbranch_execz .LBB25_6
.LBB25_4:                               ; =>This Inner Loop Header: Depth=1
	v_mov_b32_e32 v3, 0
	s_and_not1_b32 vcc_lo, exec_lo, s3
	s_cbranch_vccnz .LBB25_3
; %bb.5:                                ;   in Loop: Header=BB25_4 Depth=1
	v_ashrrev_i32_e32 v3, 31, v2
	s_delay_alu instid0(VALU_DEP_1)
	v_lshl_add_u64 v[10:11], v[2:3], 2, v[4:5]
	global_load_b32 v3, v[10:11], off
	s_branch .LBB25_3
.LBB25_6:
	s_endpgm
	.section	.rodata,"a",@progbits
	.p2align	6, 0x0
	.amdhsa_kernel _ZL11k_bin_bcastIXadL_ZL6op_mulffEEfffJPKfEEvPKT0_PKT1_PT2_iii15HIP_vector_typeIjLj3EESB_SB_SB_SB_iiiiiiiiiiiDpT3_
		.amdhsa_group_segment_fixed_size 0
		.amdhsa_private_segment_fixed_size 0
		.amdhsa_kernarg_size 408
		.amdhsa_user_sgpr_count 2
		.amdhsa_user_sgpr_dispatch_ptr 0
		.amdhsa_user_sgpr_queue_ptr 0
		.amdhsa_user_sgpr_kernarg_segment_ptr 1
		.amdhsa_user_sgpr_dispatch_id 0
		.amdhsa_user_sgpr_kernarg_preload_length 0
		.amdhsa_user_sgpr_kernarg_preload_offset 0
		.amdhsa_user_sgpr_private_segment_size 0
		.amdhsa_wavefront_size32 1
		.amdhsa_uses_dynamic_stack 0
		.amdhsa_enable_private_segment 0
		.amdhsa_system_sgpr_workgroup_id_x 1
		.amdhsa_system_sgpr_workgroup_id_y 1
		.amdhsa_system_sgpr_workgroup_id_z 1
		.amdhsa_system_sgpr_workgroup_info 0
		.amdhsa_system_vgpr_workitem_id 2
		.amdhsa_next_free_vgpr 13
		.amdhsa_next_free_sgpr 39
		.amdhsa_named_barrier_count 0
		.amdhsa_reserve_vcc 1
		.amdhsa_float_round_mode_32 0
		.amdhsa_float_round_mode_16_64 0
		.amdhsa_float_denorm_mode_32 3
		.amdhsa_float_denorm_mode_16_64 3
		.amdhsa_fp16_overflow 0
		.amdhsa_memory_ordered 1
		.amdhsa_forward_progress 1
		.amdhsa_inst_pref_size 7
		.amdhsa_round_robin_scheduling 0
		.amdhsa_exception_fp_ieee_invalid_op 0
		.amdhsa_exception_fp_denorm_src 0
		.amdhsa_exception_fp_ieee_div_zero 0
		.amdhsa_exception_fp_ieee_overflow 0
		.amdhsa_exception_fp_ieee_underflow 0
		.amdhsa_exception_fp_ieee_inexact 0
		.amdhsa_exception_int_div_zero 0
	.end_amdhsa_kernel
	.section	.text._ZL11k_bin_bcastIXadL_ZL6op_mulffEEfffJPKfEEvPKT0_PKT1_PT2_iii15HIP_vector_typeIjLj3EESB_SB_SB_SB_iiiiiiiiiiiDpT3_,"axG",@progbits,_ZL11k_bin_bcastIXadL_ZL6op_mulffEEfffJPKfEEvPKT0_PKT1_PT2_iii15HIP_vector_typeIjLj3EESB_SB_SB_SB_iiiiiiiiiiiDpT3_,comdat
.Lfunc_end25:
	.size	_ZL11k_bin_bcastIXadL_ZL6op_mulffEEfffJPKfEEvPKT0_PKT1_PT2_iii15HIP_vector_typeIjLj3EESB_SB_SB_SB_iiiiiiiiiiiDpT3_, .Lfunc_end25-_ZL11k_bin_bcastIXadL_ZL6op_mulffEEfffJPKfEEvPKT0_PKT1_PT2_iii15HIP_vector_typeIjLj3EESB_SB_SB_SB_iiiiiiiiiiiDpT3_
                                        ; -- End function
	.set _ZL11k_bin_bcastIXadL_ZL6op_mulffEEfffJPKfEEvPKT0_PKT1_PT2_iii15HIP_vector_typeIjLj3EESB_SB_SB_SB_iiiiiiiiiiiDpT3_.num_vgpr, 13
	.set _ZL11k_bin_bcastIXadL_ZL6op_mulffEEfffJPKfEEvPKT0_PKT1_PT2_iii15HIP_vector_typeIjLj3EESB_SB_SB_SB_iiiiiiiiiiiDpT3_.num_agpr, 0
	.set _ZL11k_bin_bcastIXadL_ZL6op_mulffEEfffJPKfEEvPKT0_PKT1_PT2_iii15HIP_vector_typeIjLj3EESB_SB_SB_SB_iiiiiiiiiiiDpT3_.numbered_sgpr, 39
	.set _ZL11k_bin_bcastIXadL_ZL6op_mulffEEfffJPKfEEvPKT0_PKT1_PT2_iii15HIP_vector_typeIjLj3EESB_SB_SB_SB_iiiiiiiiiiiDpT3_.num_named_barrier, 0
	.set _ZL11k_bin_bcastIXadL_ZL6op_mulffEEfffJPKfEEvPKT0_PKT1_PT2_iii15HIP_vector_typeIjLj3EESB_SB_SB_SB_iiiiiiiiiiiDpT3_.private_seg_size, 0
	.set _ZL11k_bin_bcastIXadL_ZL6op_mulffEEfffJPKfEEvPKT0_PKT1_PT2_iii15HIP_vector_typeIjLj3EESB_SB_SB_SB_iiiiiiiiiiiDpT3_.uses_vcc, 1
	.set _ZL11k_bin_bcastIXadL_ZL6op_mulffEEfffJPKfEEvPKT0_PKT1_PT2_iii15HIP_vector_typeIjLj3EESB_SB_SB_SB_iiiiiiiiiiiDpT3_.uses_flat_scratch, 0
	.set _ZL11k_bin_bcastIXadL_ZL6op_mulffEEfffJPKfEEvPKT0_PKT1_PT2_iii15HIP_vector_typeIjLj3EESB_SB_SB_SB_iiiiiiiiiiiDpT3_.has_dyn_sized_stack, 0
	.set _ZL11k_bin_bcastIXadL_ZL6op_mulffEEfffJPKfEEvPKT0_PKT1_PT2_iii15HIP_vector_typeIjLj3EESB_SB_SB_SB_iiiiiiiiiiiDpT3_.has_recursion, 0
	.set _ZL11k_bin_bcastIXadL_ZL6op_mulffEEfffJPKfEEvPKT0_PKT1_PT2_iii15HIP_vector_typeIjLj3EESB_SB_SB_SB_iiiiiiiiiiiDpT3_.has_indirect_call, 0
	.section	.AMDGPU.csdata,"",@progbits
; Kernel info:
; codeLenInByte = 884
; TotalNumSgprs: 41
; NumVgprs: 13
; ScratchSize: 0
; MemoryBound: 0
; FloatMode: 240
; IeeeMode: 1
; LDSByteSize: 0 bytes/workgroup (compile time only)
; SGPRBlocks: 0
; VGPRBlocks: 0
; NumSGPRsForWavesPerEU: 41
; NumVGPRsForWavesPerEU: 13
; NamedBarCnt: 0
; Occupancy: 16
; WaveLimiterHint : 1
; COMPUTE_PGM_RSRC2:SCRATCH_EN: 0
; COMPUTE_PGM_RSRC2:USER_SGPR: 2
; COMPUTE_PGM_RSRC2:TRAP_HANDLER: 0
; COMPUTE_PGM_RSRC2:TGID_X_EN: 1
; COMPUTE_PGM_RSRC2:TGID_Y_EN: 1
; COMPUTE_PGM_RSRC2:TGID_Z_EN: 1
; COMPUTE_PGM_RSRC2:TIDIG_COMP_CNT: 2
	.section	.text._ZL19k_bin_bcast_unravelIXadL_ZL6op_mulffEE6__halfS0_S0_JPKS0_EEvPKT0_PKT1_PT2_15HIP_vector_typeIjLj3EESC_SC_jSC_SC_SC_SC_SC_SC_iiiiiiiiiiiDpT3_,"axG",@progbits,_ZL19k_bin_bcast_unravelIXadL_ZL6op_mulffEE6__halfS0_S0_JPKS0_EEvPKT0_PKT1_PT2_15HIP_vector_typeIjLj3EESC_SC_jSC_SC_SC_SC_SC_SC_iiiiiiiiiiiDpT3_,comdat
	.globl	_ZL19k_bin_bcast_unravelIXadL_ZL6op_mulffEE6__halfS0_S0_JPKS0_EEvPKT0_PKT1_PT2_15HIP_vector_typeIjLj3EESC_SC_jSC_SC_SC_SC_SC_SC_iiiiiiiiiiiDpT3_ ; -- Begin function _ZL19k_bin_bcast_unravelIXadL_ZL6op_mulffEE6__halfS0_S0_JPKS0_EEvPKT0_PKT1_PT2_15HIP_vector_typeIjLj3EESC_SC_jSC_SC_SC_SC_SC_SC_iiiiiiiiiiiDpT3_
	.p2align	8
	.type	_ZL19k_bin_bcast_unravelIXadL_ZL6op_mulffEE6__halfS0_S0_JPKS0_EEvPKT0_PKT1_PT2_15HIP_vector_typeIjLj3EESC_SC_jSC_SC_SC_SC_SC_SC_iiiiiiiiiiiDpT3_,@function
_ZL19k_bin_bcast_unravelIXadL_ZL6op_mulffEE6__halfS0_S0_JPKS0_EEvPKT0_PKT1_PT2_15HIP_vector_typeIjLj3EESC_SC_jSC_SC_SC_SC_SC_SC_iiiiiiiiiiiDpT3_: ; @_ZL19k_bin_bcast_unravelIXadL_ZL6op_mulffEE6__halfS0_S0_JPKS0_EEvPKT0_PKT1_PT2_15HIP_vector_typeIjLj3EESC_SC_jSC_SC_SC_SC_SC_SC_iiiiiiiiiiiDpT3_
; %bb.0:
	s_load_b32 s2, s[0:1], 0xcc
	s_bfe_u32 s3, ttmp6, 0x4000c
	s_load_b256 s[4:11], s[0:1], 0x38
	s_add_co_i32 s3, s3, 1
	s_and_b32 s12, ttmp6, 15
	s_mul_i32 s3, ttmp9, s3
	s_getreg_b32 s13, hwreg(HW_REG_IB_STS2, 6, 4)
	s_add_co_i32 s12, s12, s3
	s_wait_kmcnt 0x0
	s_and_b32 s2, s2, 0xffff
	s_cmp_eq_u32 s13, 0
	s_cselect_b32 s3, ttmp9, s12
	s_delay_alu instid0(SALU_CYCLE_1) | instskip(SKIP_1) | instid1(VALU_DEP_1)
	v_mad_u32 v0, s3, s2, v0
	s_load_b32 s2, s[0:1], 0x2c
	v_mul_hi_u32 v1, v0, s6
	s_delay_alu instid0(VALU_DEP_1) | instskip(NEXT) | instid1(VALU_DEP_1)
	v_add_nc_u32_e32 v1, v0, v1
	v_lshrrev_b32_e32 v1, s7, v1
	s_delay_alu instid0(VALU_DEP_1) | instskip(NEXT) | instid1(VALU_DEP_1)
	v_mul_lo_u32 v2, v1, s8
	v_sub_nc_u32_e32 v0, v0, v2
	s_delay_alu instid0(VALU_DEP_1) | instskip(NEXT) | instid1(VALU_DEP_1)
	v_mul_hi_u32 v2, v0, s9
	v_add_nc_u32_e32 v2, v0, v2
	s_delay_alu instid0(VALU_DEP_1) | instskip(SKIP_1) | instid1(VALU_DEP_1)
	v_lshrrev_b32_e32 v2, s10, v2
	s_load_b96 s[8:10], s[0:1], 0x18
	v_mul_lo_u32 v3, v2, s11
	s_delay_alu instid0(VALU_DEP_1) | instskip(SKIP_3) | instid1(VALU_DEP_3)
	v_sub_nc_u32_e32 v0, v0, v3
	v_cmp_gt_u32_e64 s3, s4, v2
	v_cmp_gt_u32_e64 s4, s5, v1
	s_wait_kmcnt 0x0
	v_mul_hi_u32 v3, v0, s8
	s_delay_alu instid0(VALU_DEP_1) | instskip(NEXT) | instid1(VALU_DEP_1)
	v_add_nc_u32_e32 v3, v0, v3
	v_lshrrev_b32_e32 v4, s9, v3
	s_delay_alu instid0(VALU_DEP_1) | instskip(NEXT) | instid1(VALU_DEP_1)
	v_mul_lo_u32 v3, v4, s10
	v_sub_nc_u32_e32 v0, v0, v3
	v_cmp_gt_u32_e64 s2, s2, v4
	s_delay_alu instid0(VALU_DEP_2) | instskip(SKIP_1) | instid1(SALU_CYCLE_1)
	v_cmp_gt_u32_e32 vcc_lo, s10, v0
	s_and_b32 s2, vcc_lo, s2
	s_and_b32 s2, s2, s3
	s_delay_alu instid0(SALU_CYCLE_1) | instskip(NEXT) | instid1(SALU_CYCLE_1)
	s_and_b32 s2, s4, s2
	s_and_saveexec_b32 s3, s2
	s_cbranch_execz .LBB26_4
; %bb.1:
	s_clause 0x4
	s_load_b64 s[2:3], s[0:1], 0x0
	s_load_b96 s[24:26], s[0:1], 0xa8
	s_load_b256 s[4:11], s[0:1], 0x88
	s_load_b128 s[20:23], s[0:1], 0x78
	s_load_b256 s[12:19], s[0:1], 0x58
	v_dual_mov_b32 v3, 0 :: v_dual_mov_b32 v5, 0
	s_wait_kmcnt 0x0
	s_cmp_eq_u64 s[2:3], 0
	s_cbranch_scc1 .LBB26_3
; %bb.2:
	v_mul_lo_u32 v5, v1, s10
	v_mov_b32_e32 v7, 0
	s_delay_alu instid0(VALU_DEP_2) | instskip(NEXT) | instid1(VALU_DEP_1)
	v_mad_u32 v5, v2, s9, v5
	v_mad_u32 v6, v4, s8, v5
	s_delay_alu instid0(VALU_DEP_1) | instskip(SKIP_1) | instid1(VALU_DEP_1)
	v_lshl_add_u64 v[8:9], v[6:7], 1, s[2:3]
	v_mul_lo_u32 v6, v0, s7
	v_lshl_add_u64 v[6:7], v[6:7], 1, v[8:9]
	global_load_u16 v5, v[6:7], off
	s_wait_loadcnt 0x0
	v_cvt_f32_f16_e32 v5, v5
.LBB26_3:
	v_mul_hi_u32 v6, s21, v1
	v_mul_hi_u32 v7, s18, v2
	v_mul_hi_u32 v8, s15, v4
	v_mul_hi_u32 v9, s12, v0
	s_load_b64 s[2:3], s[0:1], 0xb8
	s_delay_alu instid0(VALU_DEP_3) | instskip(SKIP_2) | instid1(VALU_DEP_3)
	v_dual_add_nc_u32 v6, v1, v6 :: v_dual_add_nc_u32 v7, v2, v7
	s_wait_xcnt 0x0
	s_load_b64 s[0:1], s[0:1], 0x10
	v_add_nc_u32_e32 v8, v4, v8
	s_delay_alu instid0(VALU_DEP_2) | instskip(NEXT) | instid1(VALU_DEP_2)
	v_dual_add_nc_u32 v9, v0, v9 :: v_dual_lshrrev_b32 v6, s22, v6
	v_dual_lshrrev_b32 v7, s19, v7 :: v_dual_lshrrev_b32 v8, s16, v8
	s_delay_alu instid0(VALU_DEP_2) | instskip(NEXT) | instid1(VALU_DEP_2)
	v_mul_lo_u32 v6, v6, s23
	v_mul_lo_u32 v7, v7, s20
	s_delay_alu instid0(VALU_DEP_4) | instskip(NEXT) | instid1(VALU_DEP_4)
	v_lshrrev_b32_e32 v9, s13, v9
	v_mul_lo_u32 v8, v8, s17
	s_delay_alu instid0(VALU_DEP_3) | instskip(NEXT) | instid1(VALU_DEP_3)
	v_dual_sub_nc_u32 v6, v1, v6 :: v_dual_sub_nc_u32 v7, v2, v7
	v_mul_lo_u32 v9, v9, s14
	v_mul_lo_u32 v1, v1, s6
	s_delay_alu instid0(VALU_DEP_3) | instskip(NEXT) | instid1(VALU_DEP_2)
	v_mul_lo_u32 v6, v6, s26
	v_mad_u32 v1, v2, s5, v1
	s_delay_alu instid0(VALU_DEP_2) | instskip(SKIP_2) | instid1(VALU_DEP_1)
	v_mad_u32 v6, v7, s25, v6
	v_sub_nc_u32_e32 v7, v4, v8
	v_sub_nc_u32_e32 v8, v0, v9
	v_mul_lo_u32 v8, v8, s11
	v_mad_u32 v2, v4, s4, v1
	s_delay_alu instid0(VALU_DEP_2) | instskip(SKIP_2) | instid1(VALU_DEP_3)
	v_dual_mov_b32 v1, v3 :: v_dual_ashrrev_i32 v9, 31, v8
	v_mad_u32 v6, v7, s24, v6
	s_wait_kmcnt 0x0
	v_lshl_add_u64 v[2:3], v[2:3], 1, s[0:1]
	s_delay_alu instid0(VALU_DEP_1) | instskip(NEXT) | instid1(VALU_DEP_3)
	v_lshl_add_u64 v[0:1], v[0:1], 1, v[2:3]
	v_ashrrev_i32_e32 v7, 31, v6
	s_delay_alu instid0(VALU_DEP_1) | instskip(NEXT) | instid1(VALU_DEP_1)
	v_lshl_add_u64 v[6:7], v[6:7], 1, s[2:3]
	v_lshl_add_u64 v[6:7], v[8:9], 1, v[6:7]
	global_load_u16 v6, v[6:7], off
	s_wait_loadcnt 0x0
	v_fma_mixlo_f16 v4, v5, v6, 0 op_sel_hi:[0,1,0]
	global_store_b16 v[0:1], v4, off
.LBB26_4:
	s_endpgm
	.section	.rodata,"a",@progbits
	.p2align	6, 0x0
	.amdhsa_kernel _ZL19k_bin_bcast_unravelIXadL_ZL6op_mulffEE6__halfS0_S0_JPKS0_EEvPKT0_PKT1_PT2_15HIP_vector_typeIjLj3EESC_SC_jSC_SC_SC_SC_SC_SC_iiiiiiiiiiiDpT3_
		.amdhsa_group_segment_fixed_size 0
		.amdhsa_private_segment_fixed_size 0
		.amdhsa_kernarg_size 448
		.amdhsa_user_sgpr_count 2
		.amdhsa_user_sgpr_dispatch_ptr 0
		.amdhsa_user_sgpr_queue_ptr 0
		.amdhsa_user_sgpr_kernarg_segment_ptr 1
		.amdhsa_user_sgpr_dispatch_id 0
		.amdhsa_user_sgpr_kernarg_preload_length 0
		.amdhsa_user_sgpr_kernarg_preload_offset 0
		.amdhsa_user_sgpr_private_segment_size 0
		.amdhsa_wavefront_size32 1
		.amdhsa_uses_dynamic_stack 0
		.amdhsa_enable_private_segment 0
		.amdhsa_system_sgpr_workgroup_id_x 1
		.amdhsa_system_sgpr_workgroup_id_y 0
		.amdhsa_system_sgpr_workgroup_id_z 0
		.amdhsa_system_sgpr_workgroup_info 0
		.amdhsa_system_vgpr_workitem_id 0
		.amdhsa_next_free_vgpr 10
		.amdhsa_next_free_sgpr 27
		.amdhsa_named_barrier_count 0
		.amdhsa_reserve_vcc 1
		.amdhsa_float_round_mode_32 0
		.amdhsa_float_round_mode_16_64 0
		.amdhsa_float_denorm_mode_32 3
		.amdhsa_float_denorm_mode_16_64 3
		.amdhsa_fp16_overflow 0
		.amdhsa_memory_ordered 1
		.amdhsa_forward_progress 1
		.amdhsa_inst_pref_size 6
		.amdhsa_round_robin_scheduling 0
		.amdhsa_exception_fp_ieee_invalid_op 0
		.amdhsa_exception_fp_denorm_src 0
		.amdhsa_exception_fp_ieee_div_zero 0
		.amdhsa_exception_fp_ieee_overflow 0
		.amdhsa_exception_fp_ieee_underflow 0
		.amdhsa_exception_fp_ieee_inexact 0
		.amdhsa_exception_int_div_zero 0
	.end_amdhsa_kernel
	.section	.text._ZL19k_bin_bcast_unravelIXadL_ZL6op_mulffEE6__halfS0_S0_JPKS0_EEvPKT0_PKT1_PT2_15HIP_vector_typeIjLj3EESC_SC_jSC_SC_SC_SC_SC_SC_iiiiiiiiiiiDpT3_,"axG",@progbits,_ZL19k_bin_bcast_unravelIXadL_ZL6op_mulffEE6__halfS0_S0_JPKS0_EEvPKT0_PKT1_PT2_15HIP_vector_typeIjLj3EESC_SC_jSC_SC_SC_SC_SC_SC_iiiiiiiiiiiDpT3_,comdat
.Lfunc_end26:
	.size	_ZL19k_bin_bcast_unravelIXadL_ZL6op_mulffEE6__halfS0_S0_JPKS0_EEvPKT0_PKT1_PT2_15HIP_vector_typeIjLj3EESC_SC_jSC_SC_SC_SC_SC_SC_iiiiiiiiiiiDpT3_, .Lfunc_end26-_ZL19k_bin_bcast_unravelIXadL_ZL6op_mulffEE6__halfS0_S0_JPKS0_EEvPKT0_PKT1_PT2_15HIP_vector_typeIjLj3EESC_SC_jSC_SC_SC_SC_SC_SC_iiiiiiiiiiiDpT3_
                                        ; -- End function
	.set _ZL19k_bin_bcast_unravelIXadL_ZL6op_mulffEE6__halfS0_S0_JPKS0_EEvPKT0_PKT1_PT2_15HIP_vector_typeIjLj3EESC_SC_jSC_SC_SC_SC_SC_SC_iiiiiiiiiiiDpT3_.num_vgpr, 10
	.set _ZL19k_bin_bcast_unravelIXadL_ZL6op_mulffEE6__halfS0_S0_JPKS0_EEvPKT0_PKT1_PT2_15HIP_vector_typeIjLj3EESC_SC_jSC_SC_SC_SC_SC_SC_iiiiiiiiiiiDpT3_.num_agpr, 0
	.set _ZL19k_bin_bcast_unravelIXadL_ZL6op_mulffEE6__halfS0_S0_JPKS0_EEvPKT0_PKT1_PT2_15HIP_vector_typeIjLj3EESC_SC_jSC_SC_SC_SC_SC_SC_iiiiiiiiiiiDpT3_.numbered_sgpr, 27
	.set _ZL19k_bin_bcast_unravelIXadL_ZL6op_mulffEE6__halfS0_S0_JPKS0_EEvPKT0_PKT1_PT2_15HIP_vector_typeIjLj3EESC_SC_jSC_SC_SC_SC_SC_SC_iiiiiiiiiiiDpT3_.num_named_barrier, 0
	.set _ZL19k_bin_bcast_unravelIXadL_ZL6op_mulffEE6__halfS0_S0_JPKS0_EEvPKT0_PKT1_PT2_15HIP_vector_typeIjLj3EESC_SC_jSC_SC_SC_SC_SC_SC_iiiiiiiiiiiDpT3_.private_seg_size, 0
	.set _ZL19k_bin_bcast_unravelIXadL_ZL6op_mulffEE6__halfS0_S0_JPKS0_EEvPKT0_PKT1_PT2_15HIP_vector_typeIjLj3EESC_SC_jSC_SC_SC_SC_SC_SC_iiiiiiiiiiiDpT3_.uses_vcc, 1
	.set _ZL19k_bin_bcast_unravelIXadL_ZL6op_mulffEE6__halfS0_S0_JPKS0_EEvPKT0_PKT1_PT2_15HIP_vector_typeIjLj3EESC_SC_jSC_SC_SC_SC_SC_SC_iiiiiiiiiiiDpT3_.uses_flat_scratch, 0
	.set _ZL19k_bin_bcast_unravelIXadL_ZL6op_mulffEE6__halfS0_S0_JPKS0_EEvPKT0_PKT1_PT2_15HIP_vector_typeIjLj3EESC_SC_jSC_SC_SC_SC_SC_SC_iiiiiiiiiiiDpT3_.has_dyn_sized_stack, 0
	.set _ZL19k_bin_bcast_unravelIXadL_ZL6op_mulffEE6__halfS0_S0_JPKS0_EEvPKT0_PKT1_PT2_15HIP_vector_typeIjLj3EESC_SC_jSC_SC_SC_SC_SC_SC_iiiiiiiiiiiDpT3_.has_recursion, 0
	.set _ZL19k_bin_bcast_unravelIXadL_ZL6op_mulffEE6__halfS0_S0_JPKS0_EEvPKT0_PKT1_PT2_15HIP_vector_typeIjLj3EESC_SC_jSC_SC_SC_SC_SC_SC_iiiiiiiiiiiDpT3_.has_indirect_call, 0
	.section	.AMDGPU.csdata,"",@progbits
; Kernel info:
; codeLenInByte = 748
; TotalNumSgprs: 29
; NumVgprs: 10
; ScratchSize: 0
; MemoryBound: 0
; FloatMode: 240
; IeeeMode: 1
; LDSByteSize: 0 bytes/workgroup (compile time only)
; SGPRBlocks: 0
; VGPRBlocks: 0
; NumSGPRsForWavesPerEU: 29
; NumVGPRsForWavesPerEU: 10
; NamedBarCnt: 0
; Occupancy: 16
; WaveLimiterHint : 1
; COMPUTE_PGM_RSRC2:SCRATCH_EN: 0
; COMPUTE_PGM_RSRC2:USER_SGPR: 2
; COMPUTE_PGM_RSRC2:TRAP_HANDLER: 0
; COMPUTE_PGM_RSRC2:TGID_X_EN: 1
; COMPUTE_PGM_RSRC2:TGID_Y_EN: 0
; COMPUTE_PGM_RSRC2:TGID_Z_EN: 0
; COMPUTE_PGM_RSRC2:TIDIG_COMP_CNT: 0
	.section	.text._ZL11k_bin_bcastIXadL_ZL6op_mulffEE6__halfS0_S0_JPKS0_EEvPKT0_PKT1_PT2_iii15HIP_vector_typeIjLj3EESC_SC_SC_SC_iiiiiiiiiiiDpT3_,"axG",@progbits,_ZL11k_bin_bcastIXadL_ZL6op_mulffEE6__halfS0_S0_JPKS0_EEvPKT0_PKT1_PT2_iii15HIP_vector_typeIjLj3EESC_SC_SC_SC_iiiiiiiiiiiDpT3_,comdat
	.globl	_ZL11k_bin_bcastIXadL_ZL6op_mulffEE6__halfS0_S0_JPKS0_EEvPKT0_PKT1_PT2_iii15HIP_vector_typeIjLj3EESC_SC_SC_SC_iiiiiiiiiiiDpT3_ ; -- Begin function _ZL11k_bin_bcastIXadL_ZL6op_mulffEE6__halfS0_S0_JPKS0_EEvPKT0_PKT1_PT2_iii15HIP_vector_typeIjLj3EESC_SC_SC_SC_iiiiiiiiiiiDpT3_
	.p2align	8
	.type	_ZL11k_bin_bcastIXadL_ZL6op_mulffEE6__halfS0_S0_JPKS0_EEvPKT0_PKT1_PT2_iii15HIP_vector_typeIjLj3EESC_SC_SC_SC_iiiiiiiiiiiDpT3_,@function
_ZL11k_bin_bcastIXadL_ZL6op_mulffEE6__halfS0_S0_JPKS0_EEvPKT0_PKT1_PT2_iii15HIP_vector_typeIjLj3EESC_SC_SC_SC_iiiiiiiiiiiDpT3_: ; @_ZL11k_bin_bcastIXadL_ZL6op_mulffEE6__halfS0_S0_JPKS0_EEvPKT0_PKT1_PT2_iii15HIP_vector_typeIjLj3EESC_SC_SC_SC_iiiiiiiiiiiDpT3_
; %bb.0:
	s_load_b64 s[2:3], s[0:1], 0xa4
	s_bfe_u32 s5, ttmp6, 0x40014
	s_bfe_u32 s16, ttmp6, 0x40010
	;; [unrolled: 1-line block ×3, first 2 shown]
	s_lshr_b32 s4, ttmp7, 16
	s_and_b32 s7, ttmp7, 0xffff
	s_add_co_i32 s5, s5, 1
	s_add_co_i32 s16, s16, 1
	s_load_b256 s[8:15], s[0:1], 0x18
	s_add_co_i32 s19, s19, 1
	s_bfe_u32 s6, ttmp6, 0x40008
	s_bfe_u32 s17, ttmp6, 0x40004
	s_mul_i32 s5, s4, s5
	s_mul_i32 s16, s7, s16
	s_and_b32 s18, ttmp6, 15
	s_mul_i32 s19, ttmp9, s19
	s_add_co_i32 s6, s6, s5
	s_add_co_i32 s17, s17, s16
	;; [unrolled: 1-line block ×3, first 2 shown]
	v_bfe_u32 v1, v0, 20, 10
	s_wait_kmcnt 0x0
	s_lshr_b32 s16, s2, 16
	s_and_b32 s5, s2, 0xffff
	s_getreg_b32 s2, hwreg(HW_REG_IB_STS2, 6, 4)
	s_and_b32 s3, s3, 0xffff
	s_cmp_eq_u32 s2, 0
	v_and_b32_e32 v3, 0x3ff, v0
	s_cselect_b32 s2, s4, s6
	v_bfe_u32 v4, v0, 10, 10
	v_mad_u32 v2, s2, s3, v1
	s_cselect_b32 s2, ttmp9, s18
	s_cselect_b32 s3, s7, s17
	v_mad_u32 v0, s2, s5, v3
	v_mad_u32 v3, s3, s16, v4
	s_delay_alu instid0(VALU_DEP_3) | instskip(NEXT) | instid1(VALU_DEP_3)
	v_mul_hi_u32 v1, v2, s11
	v_cmp_gt_u32_e32 vcc_lo, s8, v0
	s_delay_alu instid0(VALU_DEP_3) | instskip(SKIP_2) | instid1(VALU_DEP_1)
	v_cmp_gt_u32_e64 s2, s9, v3
	s_and_b32 s2, vcc_lo, s2
	v_add_nc_u32_e32 v1, v2, v1
	v_lshrrev_b32_e32 v1, s12, v1
	s_delay_alu instid0(VALU_DEP_1) | instskip(SKIP_3) | instid1(VALU_DEP_1)
	v_mul_lo_u32 v5, v1, s13
	v_cmp_gt_u32_e64 s3, s10, v1
	s_and_b32 s2, s2, s3
	v_sub_nc_u32_e32 v2, v2, v5
	v_cmp_gt_u32_e64 s4, s13, v2
	s_and_b32 s2, s2, s4
	s_delay_alu instid0(SALU_CYCLE_1)
	s_and_saveexec_b32 s3, s2
	s_cbranch_execz .LBB27_6
; %bb.1:
	v_cmp_gt_i32_e32 vcc_lo, s8, v0
	s_and_b32 exec_lo, exec_lo, vcc_lo
	s_cbranch_execz .LBB27_6
; %bb.2:
	s_clause 0x4
	s_load_b256 s[24:31], s[0:1], 0x3c
	s_load_b32 s2, s[0:1], 0x5c
	s_load_b256 s[16:23], s[0:1], 0x60
	s_load_b96 s[36:38], s[0:1], 0x80
	s_load_b64 s[6:7], s[0:1], 0x90
	s_wait_kmcnt 0x0
	v_mul_hi_u32 v4, s30, v2
	v_mul_hi_u32 v5, s27, v1
	;; [unrolled: 1-line block ×3, first 2 shown]
	v_mul_lo_u32 v7, v3, s20
	v_mul_lo_u32 v8, v3, s16
	s_delay_alu instid0(VALU_DEP_4) | instskip(NEXT) | instid1(VALU_DEP_3)
	v_dual_add_nc_u32 v4, v2, v4 :: v_dual_add_nc_u32 v5, v1, v5
	v_mad_u32 v7, v1, s21, v7
	s_delay_alu instid0(VALU_DEP_3) | instskip(NEXT) | instid1(VALU_DEP_3)
	v_mad_u32 v8, v1, s17, v8
	v_dual_lshrrev_b32 v4, s31, v4 :: v_dual_lshrrev_b32 v5, s28, v5
	s_delay_alu instid0(VALU_DEP_1) | instskip(SKIP_1) | instid1(VALU_DEP_3)
	v_mul_lo_u32 v4, v4, s2
	v_add_nc_u32_e32 v6, v3, v6
	v_mul_lo_u32 v5, v5, s29
	s_add_nc_u64 s[2:3], s[0:1], 0x98
	s_load_b64 s[10:11], s[0:1], 0x0
	s_load_b32 s4, s[2:3], 0x0
	s_clause 0x1
	s_load_b64 s[12:13], s[0:1], 0x10
	s_load_b32 s9, s[0:1], 0x38
	s_wait_xcnt 0x0
	s_mov_b32 s1, 0
	s_mov_b32 s0, s14
	v_dual_sub_nc_u32 v4, v2, v4 :: v_dual_lshrrev_b32 v6, s25, v6
	v_dual_sub_nc_u32 v5, v1, v5 :: v_dual_mov_b32 v1, 0
	s_delay_alu instid0(VALU_DEP_2) | instskip(NEXT) | instid1(VALU_DEP_3)
	v_mul_lo_u32 v4, v4, s38
	v_mul_lo_u32 v6, v6, s26
	s_delay_alu instid0(VALU_DEP_3)
	v_mov_b32_e32 v9, v1
	s_wait_kmcnt 0x0
	s_cmp_lg_u64 s[10:11], 0
	s_mul_i32 s2, s4, s5
	s_cselect_b32 s3, -1, 0
	s_mul_i32 s4, s2, s19
	s_delay_alu instid0(VALU_DEP_3) | instskip(NEXT) | instid1(VALU_DEP_3)
	v_mad_u32 v5, v5, s37, v4
	v_sub_nc_u32_e32 v3, v3, v6
	v_mad_u32 v4, v2, s22, v7
	v_mad_u32 v6, v2, s18, v8
	v_mul_lo_u32 v2, s19, v0
	s_sub_co_i32 s5, 0, s9
	v_mov_b32_e32 v7, v1
	v_mad_u32 v8, v3, s36, v5
	v_mov_b32_e32 v5, v1
	s_delay_alu instid0(VALU_DEP_3) | instskip(NEXT) | instid1(VALU_DEP_2)
	v_lshl_add_u64 v[6:7], v[6:7], 1, s[12:13]
	v_lshl_add_u64 v[4:5], v[4:5], 1, s[10:11]
	s_delay_alu instid0(VALU_DEP_4)
	v_lshl_add_u64 v[8:9], v[8:9], 1, s[6:7]
	s_mov_b32 s6, s1
	s_branch .LBB27_4
.LBB27_3:                               ;   in Loop: Header=BB27_4 Depth=1
	s_wait_xcnt 0x0
	v_mul_u64_e32 v[10:11], s[0:1], v[0:1]
	s_delay_alu instid0(VALU_DEP_1) | instskip(NEXT) | instid1(VALU_DEP_1)
	v_dual_add_nc_u32 v2, s4, v2 :: v_dual_add_nc_u32 v10, v0, v11
	v_dual_mov_b32 v11, v1 :: v_dual_lshrrev_b32 v10, s15, v10
	s_delay_alu instid0(VALU_DEP_1) | instskip(NEXT) | instid1(VALU_DEP_1)
	v_mad_u32 v10, s5, v10, v0
	v_mul_lo_u32 v10, v10, s23
	s_delay_alu instid0(VALU_DEP_1) | instskip(SKIP_4) | instid1(VALU_DEP_2)
	v_lshl_add_u64 v[10:11], v[10:11], 1, v[8:9]
	global_load_u16 v12, v[10:11], off
	s_wait_xcnt 0x0
	v_dual_mov_b32 v10, v0 :: v_dual_ashrrev_i32 v11, 31, v0
	v_add_nc_u32_e32 v0, s2, v0
	v_lshl_add_u64 v[10:11], v[10:11], 1, v[6:7]
	s_delay_alu instid0(VALU_DEP_2)
	v_cmp_le_i32_e32 vcc_lo, s8, v0
	s_or_b32 s6, vcc_lo, s6
	s_wait_loadcnt 0x0
	v_fma_mixlo_f16 v3, v3, v12, 0 op_sel_hi:[0,1,0]
	global_store_b16 v[10:11], v3, off
	s_wait_xcnt 0x0
	s_and_not1_b32 exec_lo, exec_lo, s6
	s_cbranch_execz .LBB27_6
.LBB27_4:                               ; =>This Inner Loop Header: Depth=1
	v_mov_b32_e32 v3, 0
	s_and_not1_b32 vcc_lo, exec_lo, s3
	s_cbranch_vccnz .LBB27_3
; %bb.5:                                ;   in Loop: Header=BB27_4 Depth=1
	v_ashrrev_i32_e32 v3, 31, v2
	s_delay_alu instid0(VALU_DEP_1)
	v_lshl_add_u64 v[10:11], v[2:3], 1, v[4:5]
	global_load_u16 v3, v[10:11], off
	s_wait_loadcnt 0x0
	v_cvt_f32_f16_e32 v3, v3
	s_branch .LBB27_3
.LBB27_6:
	s_endpgm
	.section	.rodata,"a",@progbits
	.p2align	6, 0x0
	.amdhsa_kernel _ZL11k_bin_bcastIXadL_ZL6op_mulffEE6__halfS0_S0_JPKS0_EEvPKT0_PKT1_PT2_iii15HIP_vector_typeIjLj3EESC_SC_SC_SC_iiiiiiiiiiiDpT3_
		.amdhsa_group_segment_fixed_size 0
		.amdhsa_private_segment_fixed_size 0
		.amdhsa_kernarg_size 408
		.amdhsa_user_sgpr_count 2
		.amdhsa_user_sgpr_dispatch_ptr 0
		.amdhsa_user_sgpr_queue_ptr 0
		.amdhsa_user_sgpr_kernarg_segment_ptr 1
		.amdhsa_user_sgpr_dispatch_id 0
		.amdhsa_user_sgpr_kernarg_preload_length 0
		.amdhsa_user_sgpr_kernarg_preload_offset 0
		.amdhsa_user_sgpr_private_segment_size 0
		.amdhsa_wavefront_size32 1
		.amdhsa_uses_dynamic_stack 0
		.amdhsa_enable_private_segment 0
		.amdhsa_system_sgpr_workgroup_id_x 1
		.amdhsa_system_sgpr_workgroup_id_y 1
		.amdhsa_system_sgpr_workgroup_id_z 1
		.amdhsa_system_sgpr_workgroup_info 0
		.amdhsa_system_vgpr_workitem_id 2
		.amdhsa_next_free_vgpr 13
		.amdhsa_next_free_sgpr 39
		.amdhsa_named_barrier_count 0
		.amdhsa_reserve_vcc 1
		.amdhsa_float_round_mode_32 0
		.amdhsa_float_round_mode_16_64 0
		.amdhsa_float_denorm_mode_32 3
		.amdhsa_float_denorm_mode_16_64 3
		.amdhsa_fp16_overflow 0
		.amdhsa_memory_ordered 1
		.amdhsa_forward_progress 1
		.amdhsa_inst_pref_size 7
		.amdhsa_round_robin_scheduling 0
		.amdhsa_exception_fp_ieee_invalid_op 0
		.amdhsa_exception_fp_denorm_src 0
		.amdhsa_exception_fp_ieee_div_zero 0
		.amdhsa_exception_fp_ieee_overflow 0
		.amdhsa_exception_fp_ieee_underflow 0
		.amdhsa_exception_fp_ieee_inexact 0
		.amdhsa_exception_int_div_zero 0
	.end_amdhsa_kernel
	.section	.text._ZL11k_bin_bcastIXadL_ZL6op_mulffEE6__halfS0_S0_JPKS0_EEvPKT0_PKT1_PT2_iii15HIP_vector_typeIjLj3EESC_SC_SC_SC_iiiiiiiiiiiDpT3_,"axG",@progbits,_ZL11k_bin_bcastIXadL_ZL6op_mulffEE6__halfS0_S0_JPKS0_EEvPKT0_PKT1_PT2_iii15HIP_vector_typeIjLj3EESC_SC_SC_SC_iiiiiiiiiiiDpT3_,comdat
.Lfunc_end27:
	.size	_ZL11k_bin_bcastIXadL_ZL6op_mulffEE6__halfS0_S0_JPKS0_EEvPKT0_PKT1_PT2_iii15HIP_vector_typeIjLj3EESC_SC_SC_SC_iiiiiiiiiiiDpT3_, .Lfunc_end27-_ZL11k_bin_bcastIXadL_ZL6op_mulffEE6__halfS0_S0_JPKS0_EEvPKT0_PKT1_PT2_iii15HIP_vector_typeIjLj3EESC_SC_SC_SC_iiiiiiiiiiiDpT3_
                                        ; -- End function
	.set _ZL11k_bin_bcastIXadL_ZL6op_mulffEE6__halfS0_S0_JPKS0_EEvPKT0_PKT1_PT2_iii15HIP_vector_typeIjLj3EESC_SC_SC_SC_iiiiiiiiiiiDpT3_.num_vgpr, 13
	.set _ZL11k_bin_bcastIXadL_ZL6op_mulffEE6__halfS0_S0_JPKS0_EEvPKT0_PKT1_PT2_iii15HIP_vector_typeIjLj3EESC_SC_SC_SC_iiiiiiiiiiiDpT3_.num_agpr, 0
	.set _ZL11k_bin_bcastIXadL_ZL6op_mulffEE6__halfS0_S0_JPKS0_EEvPKT0_PKT1_PT2_iii15HIP_vector_typeIjLj3EESC_SC_SC_SC_iiiiiiiiiiiDpT3_.numbered_sgpr, 39
	.set _ZL11k_bin_bcastIXadL_ZL6op_mulffEE6__halfS0_S0_JPKS0_EEvPKT0_PKT1_PT2_iii15HIP_vector_typeIjLj3EESC_SC_SC_SC_iiiiiiiiiiiDpT3_.num_named_barrier, 0
	.set _ZL11k_bin_bcastIXadL_ZL6op_mulffEE6__halfS0_S0_JPKS0_EEvPKT0_PKT1_PT2_iii15HIP_vector_typeIjLj3EESC_SC_SC_SC_iiiiiiiiiiiDpT3_.private_seg_size, 0
	.set _ZL11k_bin_bcastIXadL_ZL6op_mulffEE6__halfS0_S0_JPKS0_EEvPKT0_PKT1_PT2_iii15HIP_vector_typeIjLj3EESC_SC_SC_SC_iiiiiiiiiiiDpT3_.uses_vcc, 1
	.set _ZL11k_bin_bcastIXadL_ZL6op_mulffEE6__halfS0_S0_JPKS0_EEvPKT0_PKT1_PT2_iii15HIP_vector_typeIjLj3EESC_SC_SC_SC_iiiiiiiiiiiDpT3_.uses_flat_scratch, 0
	.set _ZL11k_bin_bcastIXadL_ZL6op_mulffEE6__halfS0_S0_JPKS0_EEvPKT0_PKT1_PT2_iii15HIP_vector_typeIjLj3EESC_SC_SC_SC_iiiiiiiiiiiDpT3_.has_dyn_sized_stack, 0
	.set _ZL11k_bin_bcastIXadL_ZL6op_mulffEE6__halfS0_S0_JPKS0_EEvPKT0_PKT1_PT2_iii15HIP_vector_typeIjLj3EESC_SC_SC_SC_iiiiiiiiiiiDpT3_.has_recursion, 0
	.set _ZL11k_bin_bcastIXadL_ZL6op_mulffEE6__halfS0_S0_JPKS0_EEvPKT0_PKT1_PT2_iii15HIP_vector_typeIjLj3EESC_SC_SC_SC_iiiiiiiiiiiDpT3_.has_indirect_call, 0
	.section	.AMDGPU.csdata,"",@progbits
; Kernel info:
; codeLenInByte = 896
; TotalNumSgprs: 41
; NumVgprs: 13
; ScratchSize: 0
; MemoryBound: 0
; FloatMode: 240
; IeeeMode: 1
; LDSByteSize: 0 bytes/workgroup (compile time only)
; SGPRBlocks: 0
; VGPRBlocks: 0
; NumSGPRsForWavesPerEU: 41
; NumVGPRsForWavesPerEU: 13
; NamedBarCnt: 0
; Occupancy: 16
; WaveLimiterHint : 1
; COMPUTE_PGM_RSRC2:SCRATCH_EN: 0
; COMPUTE_PGM_RSRC2:USER_SGPR: 2
; COMPUTE_PGM_RSRC2:TRAP_HANDLER: 0
; COMPUTE_PGM_RSRC2:TGID_X_EN: 1
; COMPUTE_PGM_RSRC2:TGID_Y_EN: 1
; COMPUTE_PGM_RSRC2:TGID_Z_EN: 1
; COMPUTE_PGM_RSRC2:TIDIG_COMP_CNT: 2
	.section	.text._ZL19k_bin_bcast_unravelIXadL_ZL6op_mulffEE6__halffS0_JPKfEEvPKT0_PKT1_PT2_15HIP_vector_typeIjLj3EESC_SC_jSC_SC_SC_SC_SC_SC_iiiiiiiiiiiDpT3_,"axG",@progbits,_ZL19k_bin_bcast_unravelIXadL_ZL6op_mulffEE6__halffS0_JPKfEEvPKT0_PKT1_PT2_15HIP_vector_typeIjLj3EESC_SC_jSC_SC_SC_SC_SC_SC_iiiiiiiiiiiDpT3_,comdat
	.globl	_ZL19k_bin_bcast_unravelIXadL_ZL6op_mulffEE6__halffS0_JPKfEEvPKT0_PKT1_PT2_15HIP_vector_typeIjLj3EESC_SC_jSC_SC_SC_SC_SC_SC_iiiiiiiiiiiDpT3_ ; -- Begin function _ZL19k_bin_bcast_unravelIXadL_ZL6op_mulffEE6__halffS0_JPKfEEvPKT0_PKT1_PT2_15HIP_vector_typeIjLj3EESC_SC_jSC_SC_SC_SC_SC_SC_iiiiiiiiiiiDpT3_
	.p2align	8
	.type	_ZL19k_bin_bcast_unravelIXadL_ZL6op_mulffEE6__halffS0_JPKfEEvPKT0_PKT1_PT2_15HIP_vector_typeIjLj3EESC_SC_jSC_SC_SC_SC_SC_SC_iiiiiiiiiiiDpT3_,@function
_ZL19k_bin_bcast_unravelIXadL_ZL6op_mulffEE6__halffS0_JPKfEEvPKT0_PKT1_PT2_15HIP_vector_typeIjLj3EESC_SC_jSC_SC_SC_SC_SC_SC_iiiiiiiiiiiDpT3_: ; @_ZL19k_bin_bcast_unravelIXadL_ZL6op_mulffEE6__halffS0_JPKfEEvPKT0_PKT1_PT2_15HIP_vector_typeIjLj3EESC_SC_jSC_SC_SC_SC_SC_SC_iiiiiiiiiiiDpT3_
; %bb.0:
	s_load_b32 s2, s[0:1], 0xcc
	s_bfe_u32 s3, ttmp6, 0x4000c
	s_load_b256 s[4:11], s[0:1], 0x38
	s_add_co_i32 s3, s3, 1
	s_and_b32 s12, ttmp6, 15
	s_mul_i32 s3, ttmp9, s3
	s_getreg_b32 s13, hwreg(HW_REG_IB_STS2, 6, 4)
	s_add_co_i32 s12, s12, s3
	s_wait_kmcnt 0x0
	s_and_b32 s2, s2, 0xffff
	s_cmp_eq_u32 s13, 0
	s_cselect_b32 s3, ttmp9, s12
	s_delay_alu instid0(SALU_CYCLE_1) | instskip(SKIP_1) | instid1(VALU_DEP_1)
	v_mad_u32 v0, s3, s2, v0
	s_load_b32 s2, s[0:1], 0x2c
	v_mul_hi_u32 v1, v0, s6
	s_delay_alu instid0(VALU_DEP_1) | instskip(NEXT) | instid1(VALU_DEP_1)
	v_add_nc_u32_e32 v1, v0, v1
	v_lshrrev_b32_e32 v1, s7, v1
	s_delay_alu instid0(VALU_DEP_1) | instskip(NEXT) | instid1(VALU_DEP_1)
	v_mul_lo_u32 v2, v1, s8
	v_sub_nc_u32_e32 v0, v0, v2
	s_delay_alu instid0(VALU_DEP_1) | instskip(NEXT) | instid1(VALU_DEP_1)
	v_mul_hi_u32 v2, v0, s9
	v_add_nc_u32_e32 v2, v0, v2
	s_delay_alu instid0(VALU_DEP_1) | instskip(SKIP_1) | instid1(VALU_DEP_1)
	v_lshrrev_b32_e32 v2, s10, v2
	s_load_b96 s[8:10], s[0:1], 0x18
	v_mul_lo_u32 v3, v2, s11
	s_delay_alu instid0(VALU_DEP_1) | instskip(SKIP_3) | instid1(VALU_DEP_3)
	v_sub_nc_u32_e32 v0, v0, v3
	v_cmp_gt_u32_e64 s3, s4, v2
	v_cmp_gt_u32_e64 s4, s5, v1
	s_wait_kmcnt 0x0
	v_mul_hi_u32 v3, v0, s8
	s_delay_alu instid0(VALU_DEP_1) | instskip(NEXT) | instid1(VALU_DEP_1)
	v_add_nc_u32_e32 v3, v0, v3
	v_lshrrev_b32_e32 v4, s9, v3
	s_delay_alu instid0(VALU_DEP_1) | instskip(NEXT) | instid1(VALU_DEP_1)
	v_mul_lo_u32 v3, v4, s10
	v_sub_nc_u32_e32 v0, v0, v3
	v_cmp_gt_u32_e64 s2, s2, v4
	s_delay_alu instid0(VALU_DEP_2) | instskip(SKIP_1) | instid1(SALU_CYCLE_1)
	v_cmp_gt_u32_e32 vcc_lo, s10, v0
	s_and_b32 s2, vcc_lo, s2
	s_and_b32 s2, s2, s3
	s_delay_alu instid0(SALU_CYCLE_1) | instskip(NEXT) | instid1(SALU_CYCLE_1)
	s_and_b32 s2, s4, s2
	s_and_saveexec_b32 s3, s2
	s_cbranch_execz .LBB28_4
; %bb.1:
	s_clause 0x4
	s_load_b64 s[2:3], s[0:1], 0x0
	s_load_b96 s[24:26], s[0:1], 0xa8
	s_load_b256 s[4:11], s[0:1], 0x88
	s_load_b128 s[20:23], s[0:1], 0x78
	s_load_b256 s[12:19], s[0:1], 0x58
	v_dual_mov_b32 v3, 0 :: v_dual_mov_b32 v5, 0
	s_wait_kmcnt 0x0
	s_cmp_eq_u64 s[2:3], 0
	s_cbranch_scc1 .LBB28_3
; %bb.2:
	v_mul_lo_u32 v5, v1, s10
	v_mov_b32_e32 v7, 0
	s_delay_alu instid0(VALU_DEP_2) | instskip(NEXT) | instid1(VALU_DEP_1)
	v_mad_u32 v5, v2, s9, v5
	v_mad_u32 v6, v4, s8, v5
	s_delay_alu instid0(VALU_DEP_1) | instskip(SKIP_1) | instid1(VALU_DEP_1)
	v_lshl_add_u64 v[8:9], v[6:7], 1, s[2:3]
	v_mul_lo_u32 v6, v0, s7
	v_lshl_add_u64 v[6:7], v[6:7], 1, v[8:9]
	global_load_u16 v5, v[6:7], off
	s_wait_loadcnt 0x0
	v_cvt_f32_f16_e32 v5, v5
.LBB28_3:
	v_mul_hi_u32 v6, s21, v1
	v_mul_hi_u32 v7, s18, v2
	;; [unrolled: 1-line block ×4, first 2 shown]
	s_load_b64 s[2:3], s[0:1], 0xb8
	s_delay_alu instid0(VALU_DEP_3) | instskip(SKIP_2) | instid1(VALU_DEP_3)
	v_dual_add_nc_u32 v6, v1, v6 :: v_dual_add_nc_u32 v7, v2, v7
	s_wait_xcnt 0x0
	s_load_b64 s[0:1], s[0:1], 0x10
	v_add_nc_u32_e32 v8, v4, v8
	s_delay_alu instid0(VALU_DEP_2) | instskip(NEXT) | instid1(VALU_DEP_2)
	v_dual_add_nc_u32 v9, v0, v9 :: v_dual_lshrrev_b32 v6, s22, v6
	v_dual_lshrrev_b32 v7, s19, v7 :: v_dual_lshrrev_b32 v8, s16, v8
	s_delay_alu instid0(VALU_DEP_2) | instskip(NEXT) | instid1(VALU_DEP_2)
	v_mul_lo_u32 v6, v6, s23
	v_mul_lo_u32 v7, v7, s20
	s_delay_alu instid0(VALU_DEP_4) | instskip(NEXT) | instid1(VALU_DEP_4)
	v_lshrrev_b32_e32 v9, s13, v9
	v_mul_lo_u32 v8, v8, s17
	s_delay_alu instid0(VALU_DEP_3) | instskip(NEXT) | instid1(VALU_DEP_3)
	v_dual_sub_nc_u32 v6, v1, v6 :: v_dual_sub_nc_u32 v7, v2, v7
	v_mul_lo_u32 v9, v9, s14
	v_mul_lo_u32 v1, v1, s6
	s_delay_alu instid0(VALU_DEP_3) | instskip(NEXT) | instid1(VALU_DEP_2)
	v_mul_lo_u32 v6, v6, s26
	v_mad_u32 v1, v2, s5, v1
	s_delay_alu instid0(VALU_DEP_2) | instskip(SKIP_2) | instid1(VALU_DEP_1)
	v_mad_u32 v6, v7, s25, v6
	v_sub_nc_u32_e32 v7, v4, v8
	v_sub_nc_u32_e32 v8, v0, v9
	v_mul_lo_u32 v8, v8, s11
	v_mad_u32 v2, v4, s4, v1
	s_delay_alu instid0(VALU_DEP_2) | instskip(SKIP_2) | instid1(VALU_DEP_3)
	v_dual_mov_b32 v1, v3 :: v_dual_ashrrev_i32 v9, 31, v8
	v_mad_u32 v6, v7, s24, v6
	s_wait_kmcnt 0x0
	v_lshl_add_u64 v[2:3], v[2:3], 1, s[0:1]
	s_delay_alu instid0(VALU_DEP_1) | instskip(NEXT) | instid1(VALU_DEP_3)
	v_lshl_add_u64 v[0:1], v[0:1], 1, v[2:3]
	v_ashrrev_i32_e32 v7, 31, v6
	s_delay_alu instid0(VALU_DEP_1) | instskip(NEXT) | instid1(VALU_DEP_1)
	v_lshl_add_u64 v[6:7], v[6:7], 2, s[2:3]
	v_lshl_add_u64 v[6:7], v[8:9], 2, v[6:7]
	global_load_b32 v6, v[6:7], off
	s_wait_loadcnt 0x0
	v_fma_mixlo_f16 v4, v5, v6, 0
	global_store_b16 v[0:1], v4, off
.LBB28_4:
	s_endpgm
	.section	.rodata,"a",@progbits
	.p2align	6, 0x0
	.amdhsa_kernel _ZL19k_bin_bcast_unravelIXadL_ZL6op_mulffEE6__halffS0_JPKfEEvPKT0_PKT1_PT2_15HIP_vector_typeIjLj3EESC_SC_jSC_SC_SC_SC_SC_SC_iiiiiiiiiiiDpT3_
		.amdhsa_group_segment_fixed_size 0
		.amdhsa_private_segment_fixed_size 0
		.amdhsa_kernarg_size 448
		.amdhsa_user_sgpr_count 2
		.amdhsa_user_sgpr_dispatch_ptr 0
		.amdhsa_user_sgpr_queue_ptr 0
		.amdhsa_user_sgpr_kernarg_segment_ptr 1
		.amdhsa_user_sgpr_dispatch_id 0
		.amdhsa_user_sgpr_kernarg_preload_length 0
		.amdhsa_user_sgpr_kernarg_preload_offset 0
		.amdhsa_user_sgpr_private_segment_size 0
		.amdhsa_wavefront_size32 1
		.amdhsa_uses_dynamic_stack 0
		.amdhsa_enable_private_segment 0
		.amdhsa_system_sgpr_workgroup_id_x 1
		.amdhsa_system_sgpr_workgroup_id_y 0
		.amdhsa_system_sgpr_workgroup_id_z 0
		.amdhsa_system_sgpr_workgroup_info 0
		.amdhsa_system_vgpr_workitem_id 0
		.amdhsa_next_free_vgpr 10
		.amdhsa_next_free_sgpr 27
		.amdhsa_named_barrier_count 0
		.amdhsa_reserve_vcc 1
		.amdhsa_float_round_mode_32 0
		.amdhsa_float_round_mode_16_64 0
		.amdhsa_float_denorm_mode_32 3
		.amdhsa_float_denorm_mode_16_64 3
		.amdhsa_fp16_overflow 0
		.amdhsa_memory_ordered 1
		.amdhsa_forward_progress 1
		.amdhsa_inst_pref_size 6
		.amdhsa_round_robin_scheduling 0
		.amdhsa_exception_fp_ieee_invalid_op 0
		.amdhsa_exception_fp_denorm_src 0
		.amdhsa_exception_fp_ieee_div_zero 0
		.amdhsa_exception_fp_ieee_overflow 0
		.amdhsa_exception_fp_ieee_underflow 0
		.amdhsa_exception_fp_ieee_inexact 0
		.amdhsa_exception_int_div_zero 0
	.end_amdhsa_kernel
	.section	.text._ZL19k_bin_bcast_unravelIXadL_ZL6op_mulffEE6__halffS0_JPKfEEvPKT0_PKT1_PT2_15HIP_vector_typeIjLj3EESC_SC_jSC_SC_SC_SC_SC_SC_iiiiiiiiiiiDpT3_,"axG",@progbits,_ZL19k_bin_bcast_unravelIXadL_ZL6op_mulffEE6__halffS0_JPKfEEvPKT0_PKT1_PT2_15HIP_vector_typeIjLj3EESC_SC_jSC_SC_SC_SC_SC_SC_iiiiiiiiiiiDpT3_,comdat
.Lfunc_end28:
	.size	_ZL19k_bin_bcast_unravelIXadL_ZL6op_mulffEE6__halffS0_JPKfEEvPKT0_PKT1_PT2_15HIP_vector_typeIjLj3EESC_SC_jSC_SC_SC_SC_SC_SC_iiiiiiiiiiiDpT3_, .Lfunc_end28-_ZL19k_bin_bcast_unravelIXadL_ZL6op_mulffEE6__halffS0_JPKfEEvPKT0_PKT1_PT2_15HIP_vector_typeIjLj3EESC_SC_jSC_SC_SC_SC_SC_SC_iiiiiiiiiiiDpT3_
                                        ; -- End function
	.set _ZL19k_bin_bcast_unravelIXadL_ZL6op_mulffEE6__halffS0_JPKfEEvPKT0_PKT1_PT2_15HIP_vector_typeIjLj3EESC_SC_jSC_SC_SC_SC_SC_SC_iiiiiiiiiiiDpT3_.num_vgpr, 10
	.set _ZL19k_bin_bcast_unravelIXadL_ZL6op_mulffEE6__halffS0_JPKfEEvPKT0_PKT1_PT2_15HIP_vector_typeIjLj3EESC_SC_jSC_SC_SC_SC_SC_SC_iiiiiiiiiiiDpT3_.num_agpr, 0
	.set _ZL19k_bin_bcast_unravelIXadL_ZL6op_mulffEE6__halffS0_JPKfEEvPKT0_PKT1_PT2_15HIP_vector_typeIjLj3EESC_SC_jSC_SC_SC_SC_SC_SC_iiiiiiiiiiiDpT3_.numbered_sgpr, 27
	.set _ZL19k_bin_bcast_unravelIXadL_ZL6op_mulffEE6__halffS0_JPKfEEvPKT0_PKT1_PT2_15HIP_vector_typeIjLj3EESC_SC_jSC_SC_SC_SC_SC_SC_iiiiiiiiiiiDpT3_.num_named_barrier, 0
	.set _ZL19k_bin_bcast_unravelIXadL_ZL6op_mulffEE6__halffS0_JPKfEEvPKT0_PKT1_PT2_15HIP_vector_typeIjLj3EESC_SC_jSC_SC_SC_SC_SC_SC_iiiiiiiiiiiDpT3_.private_seg_size, 0
	.set _ZL19k_bin_bcast_unravelIXadL_ZL6op_mulffEE6__halffS0_JPKfEEvPKT0_PKT1_PT2_15HIP_vector_typeIjLj3EESC_SC_jSC_SC_SC_SC_SC_SC_iiiiiiiiiiiDpT3_.uses_vcc, 1
	.set _ZL19k_bin_bcast_unravelIXadL_ZL6op_mulffEE6__halffS0_JPKfEEvPKT0_PKT1_PT2_15HIP_vector_typeIjLj3EESC_SC_jSC_SC_SC_SC_SC_SC_iiiiiiiiiiiDpT3_.uses_flat_scratch, 0
	.set _ZL19k_bin_bcast_unravelIXadL_ZL6op_mulffEE6__halffS0_JPKfEEvPKT0_PKT1_PT2_15HIP_vector_typeIjLj3EESC_SC_jSC_SC_SC_SC_SC_SC_iiiiiiiiiiiDpT3_.has_dyn_sized_stack, 0
	.set _ZL19k_bin_bcast_unravelIXadL_ZL6op_mulffEE6__halffS0_JPKfEEvPKT0_PKT1_PT2_15HIP_vector_typeIjLj3EESC_SC_jSC_SC_SC_SC_SC_SC_iiiiiiiiiiiDpT3_.has_recursion, 0
	.set _ZL19k_bin_bcast_unravelIXadL_ZL6op_mulffEE6__halffS0_JPKfEEvPKT0_PKT1_PT2_15HIP_vector_typeIjLj3EESC_SC_jSC_SC_SC_SC_SC_SC_iiiiiiiiiiiDpT3_.has_indirect_call, 0
	.section	.AMDGPU.csdata,"",@progbits
; Kernel info:
; codeLenInByte = 748
; TotalNumSgprs: 29
; NumVgprs: 10
; ScratchSize: 0
; MemoryBound: 0
; FloatMode: 240
; IeeeMode: 1
; LDSByteSize: 0 bytes/workgroup (compile time only)
; SGPRBlocks: 0
; VGPRBlocks: 0
; NumSGPRsForWavesPerEU: 29
; NumVGPRsForWavesPerEU: 10
; NamedBarCnt: 0
; Occupancy: 16
; WaveLimiterHint : 1
; COMPUTE_PGM_RSRC2:SCRATCH_EN: 0
; COMPUTE_PGM_RSRC2:USER_SGPR: 2
; COMPUTE_PGM_RSRC2:TRAP_HANDLER: 0
; COMPUTE_PGM_RSRC2:TGID_X_EN: 1
; COMPUTE_PGM_RSRC2:TGID_Y_EN: 0
; COMPUTE_PGM_RSRC2:TGID_Z_EN: 0
; COMPUTE_PGM_RSRC2:TIDIG_COMP_CNT: 0
	.section	.text._ZL11k_bin_bcastIXadL_ZL6op_mulffEE6__halffS0_JPKfEEvPKT0_PKT1_PT2_iii15HIP_vector_typeIjLj3EESC_SC_SC_SC_iiiiiiiiiiiDpT3_,"axG",@progbits,_ZL11k_bin_bcastIXadL_ZL6op_mulffEE6__halffS0_JPKfEEvPKT0_PKT1_PT2_iii15HIP_vector_typeIjLj3EESC_SC_SC_SC_iiiiiiiiiiiDpT3_,comdat
	.globl	_ZL11k_bin_bcastIXadL_ZL6op_mulffEE6__halffS0_JPKfEEvPKT0_PKT1_PT2_iii15HIP_vector_typeIjLj3EESC_SC_SC_SC_iiiiiiiiiiiDpT3_ ; -- Begin function _ZL11k_bin_bcastIXadL_ZL6op_mulffEE6__halffS0_JPKfEEvPKT0_PKT1_PT2_iii15HIP_vector_typeIjLj3EESC_SC_SC_SC_iiiiiiiiiiiDpT3_
	.p2align	8
	.type	_ZL11k_bin_bcastIXadL_ZL6op_mulffEE6__halffS0_JPKfEEvPKT0_PKT1_PT2_iii15HIP_vector_typeIjLj3EESC_SC_SC_SC_iiiiiiiiiiiDpT3_,@function
_ZL11k_bin_bcastIXadL_ZL6op_mulffEE6__halffS0_JPKfEEvPKT0_PKT1_PT2_iii15HIP_vector_typeIjLj3EESC_SC_SC_SC_iiiiiiiiiiiDpT3_: ; @_ZL11k_bin_bcastIXadL_ZL6op_mulffEE6__halffS0_JPKfEEvPKT0_PKT1_PT2_iii15HIP_vector_typeIjLj3EESC_SC_SC_SC_iiiiiiiiiiiDpT3_
; %bb.0:
	s_load_b64 s[2:3], s[0:1], 0xa4
	s_bfe_u32 s5, ttmp6, 0x40014
	s_bfe_u32 s16, ttmp6, 0x40010
	;; [unrolled: 1-line block ×3, first 2 shown]
	s_lshr_b32 s4, ttmp7, 16
	s_and_b32 s7, ttmp7, 0xffff
	s_add_co_i32 s5, s5, 1
	s_add_co_i32 s16, s16, 1
	s_load_b256 s[8:15], s[0:1], 0x18
	s_add_co_i32 s19, s19, 1
	s_bfe_u32 s6, ttmp6, 0x40008
	s_bfe_u32 s17, ttmp6, 0x40004
	s_mul_i32 s5, s4, s5
	s_mul_i32 s16, s7, s16
	s_and_b32 s18, ttmp6, 15
	s_mul_i32 s19, ttmp9, s19
	s_add_co_i32 s6, s6, s5
	s_add_co_i32 s17, s17, s16
	;; [unrolled: 1-line block ×3, first 2 shown]
	v_bfe_u32 v1, v0, 20, 10
	s_wait_kmcnt 0x0
	s_lshr_b32 s16, s2, 16
	s_and_b32 s5, s2, 0xffff
	s_getreg_b32 s2, hwreg(HW_REG_IB_STS2, 6, 4)
	s_and_b32 s3, s3, 0xffff
	s_cmp_eq_u32 s2, 0
	v_and_b32_e32 v3, 0x3ff, v0
	s_cselect_b32 s2, s4, s6
	v_bfe_u32 v4, v0, 10, 10
	v_mad_u32 v2, s2, s3, v1
	s_cselect_b32 s2, ttmp9, s18
	s_cselect_b32 s3, s7, s17
	v_mad_u32 v0, s2, s5, v3
	v_mad_u32 v3, s3, s16, v4
	s_delay_alu instid0(VALU_DEP_3) | instskip(NEXT) | instid1(VALU_DEP_3)
	v_mul_hi_u32 v1, v2, s11
	v_cmp_gt_u32_e32 vcc_lo, s8, v0
	s_delay_alu instid0(VALU_DEP_3) | instskip(SKIP_2) | instid1(VALU_DEP_1)
	v_cmp_gt_u32_e64 s2, s9, v3
	s_and_b32 s2, vcc_lo, s2
	v_add_nc_u32_e32 v1, v2, v1
	v_lshrrev_b32_e32 v1, s12, v1
	s_delay_alu instid0(VALU_DEP_1) | instskip(SKIP_3) | instid1(VALU_DEP_1)
	v_mul_lo_u32 v5, v1, s13
	v_cmp_gt_u32_e64 s3, s10, v1
	s_and_b32 s2, s2, s3
	v_sub_nc_u32_e32 v2, v2, v5
	v_cmp_gt_u32_e64 s4, s13, v2
	s_and_b32 s2, s2, s4
	s_delay_alu instid0(SALU_CYCLE_1)
	s_and_saveexec_b32 s3, s2
	s_cbranch_execz .LBB29_6
; %bb.1:
	v_cmp_gt_i32_e32 vcc_lo, s8, v0
	s_and_b32 exec_lo, exec_lo, vcc_lo
	s_cbranch_execz .LBB29_6
; %bb.2:
	s_clause 0x4
	s_load_b256 s[24:31], s[0:1], 0x3c
	s_load_b32 s2, s[0:1], 0x5c
	s_load_b256 s[16:23], s[0:1], 0x60
	s_load_b96 s[36:38], s[0:1], 0x80
	s_load_b64 s[6:7], s[0:1], 0x90
	s_wait_kmcnt 0x0
	v_mul_hi_u32 v4, s30, v2
	v_mul_hi_u32 v5, s27, v1
	;; [unrolled: 1-line block ×3, first 2 shown]
	v_mul_lo_u32 v7, v3, s20
	v_mul_lo_u32 v8, v3, s16
	s_delay_alu instid0(VALU_DEP_4) | instskip(NEXT) | instid1(VALU_DEP_3)
	v_dual_add_nc_u32 v4, v2, v4 :: v_dual_add_nc_u32 v5, v1, v5
	v_mad_u32 v7, v1, s21, v7
	s_delay_alu instid0(VALU_DEP_3) | instskip(NEXT) | instid1(VALU_DEP_3)
	v_mad_u32 v8, v1, s17, v8
	v_dual_lshrrev_b32 v4, s31, v4 :: v_dual_lshrrev_b32 v5, s28, v5
	s_delay_alu instid0(VALU_DEP_1) | instskip(SKIP_1) | instid1(VALU_DEP_3)
	v_mul_lo_u32 v4, v4, s2
	v_add_nc_u32_e32 v6, v3, v6
	v_mul_lo_u32 v5, v5, s29
	s_add_nc_u64 s[2:3], s[0:1], 0x98
	s_load_b64 s[10:11], s[0:1], 0x0
	s_load_b32 s4, s[2:3], 0x0
	s_clause 0x1
	s_load_b64 s[12:13], s[0:1], 0x10
	s_load_b32 s9, s[0:1], 0x38
	s_wait_xcnt 0x0
	s_mov_b32 s1, 0
	s_mov_b32 s0, s14
	v_dual_sub_nc_u32 v4, v2, v4 :: v_dual_lshrrev_b32 v6, s25, v6
	v_dual_sub_nc_u32 v5, v1, v5 :: v_dual_mov_b32 v1, 0
	s_delay_alu instid0(VALU_DEP_2) | instskip(NEXT) | instid1(VALU_DEP_3)
	v_mul_lo_u32 v4, v4, s38
	v_mul_lo_u32 v6, v6, s26
	s_delay_alu instid0(VALU_DEP_3)
	v_mov_b32_e32 v9, v1
	s_wait_kmcnt 0x0
	s_cmp_lg_u64 s[10:11], 0
	s_mul_i32 s2, s4, s5
	s_cselect_b32 s3, -1, 0
	s_mul_i32 s4, s2, s19
	s_delay_alu instid0(VALU_DEP_3) | instskip(NEXT) | instid1(VALU_DEP_3)
	v_mad_u32 v5, v5, s37, v4
	v_sub_nc_u32_e32 v3, v3, v6
	v_mad_u32 v4, v2, s22, v7
	v_mad_u32 v6, v2, s18, v8
	v_mul_lo_u32 v2, s19, v0
	s_sub_co_i32 s5, 0, s9
	v_mov_b32_e32 v7, v1
	v_mad_u32 v8, v3, s36, v5
	v_mov_b32_e32 v5, v1
	s_delay_alu instid0(VALU_DEP_3) | instskip(NEXT) | instid1(VALU_DEP_2)
	v_lshl_add_u64 v[6:7], v[6:7], 1, s[12:13]
	v_lshl_add_u64 v[4:5], v[4:5], 1, s[10:11]
	s_delay_alu instid0(VALU_DEP_4)
	v_lshl_add_u64 v[8:9], v[8:9], 2, s[6:7]
	s_mov_b32 s6, s1
	s_branch .LBB29_4
.LBB29_3:                               ;   in Loop: Header=BB29_4 Depth=1
	s_wait_xcnt 0x0
	v_mul_u64_e32 v[10:11], s[0:1], v[0:1]
	s_delay_alu instid0(VALU_DEP_1) | instskip(NEXT) | instid1(VALU_DEP_1)
	v_dual_add_nc_u32 v2, s4, v2 :: v_dual_add_nc_u32 v10, v0, v11
	v_dual_mov_b32 v11, v1 :: v_dual_lshrrev_b32 v10, s15, v10
	s_delay_alu instid0(VALU_DEP_1) | instskip(NEXT) | instid1(VALU_DEP_1)
	v_mad_u32 v10, s5, v10, v0
	v_mul_lo_u32 v10, v10, s23
	s_delay_alu instid0(VALU_DEP_1) | instskip(SKIP_4) | instid1(VALU_DEP_2)
	v_lshl_add_u64 v[10:11], v[10:11], 2, v[8:9]
	global_load_b32 v12, v[10:11], off
	s_wait_xcnt 0x0
	v_dual_mov_b32 v10, v0 :: v_dual_ashrrev_i32 v11, 31, v0
	v_add_nc_u32_e32 v0, s2, v0
	v_lshl_add_u64 v[10:11], v[10:11], 1, v[6:7]
	s_delay_alu instid0(VALU_DEP_2)
	v_cmp_le_i32_e32 vcc_lo, s8, v0
	s_or_b32 s6, vcc_lo, s6
	s_wait_loadcnt 0x0
	v_fma_mixlo_f16 v3, v3, v12, 0
	global_store_b16 v[10:11], v3, off
	s_wait_xcnt 0x0
	s_and_not1_b32 exec_lo, exec_lo, s6
	s_cbranch_execz .LBB29_6
.LBB29_4:                               ; =>This Inner Loop Header: Depth=1
	v_mov_b32_e32 v3, 0
	s_and_not1_b32 vcc_lo, exec_lo, s3
	s_cbranch_vccnz .LBB29_3
; %bb.5:                                ;   in Loop: Header=BB29_4 Depth=1
	v_ashrrev_i32_e32 v3, 31, v2
	s_delay_alu instid0(VALU_DEP_1)
	v_lshl_add_u64 v[10:11], v[2:3], 1, v[4:5]
	global_load_u16 v3, v[10:11], off
	s_wait_loadcnt 0x0
	v_cvt_f32_f16_e32 v3, v3
	s_branch .LBB29_3
.LBB29_6:
	s_endpgm
	.section	.rodata,"a",@progbits
	.p2align	6, 0x0
	.amdhsa_kernel _ZL11k_bin_bcastIXadL_ZL6op_mulffEE6__halffS0_JPKfEEvPKT0_PKT1_PT2_iii15HIP_vector_typeIjLj3EESC_SC_SC_SC_iiiiiiiiiiiDpT3_
		.amdhsa_group_segment_fixed_size 0
		.amdhsa_private_segment_fixed_size 0
		.amdhsa_kernarg_size 408
		.amdhsa_user_sgpr_count 2
		.amdhsa_user_sgpr_dispatch_ptr 0
		.amdhsa_user_sgpr_queue_ptr 0
		.amdhsa_user_sgpr_kernarg_segment_ptr 1
		.amdhsa_user_sgpr_dispatch_id 0
		.amdhsa_user_sgpr_kernarg_preload_length 0
		.amdhsa_user_sgpr_kernarg_preload_offset 0
		.amdhsa_user_sgpr_private_segment_size 0
		.amdhsa_wavefront_size32 1
		.amdhsa_uses_dynamic_stack 0
		.amdhsa_enable_private_segment 0
		.amdhsa_system_sgpr_workgroup_id_x 1
		.amdhsa_system_sgpr_workgroup_id_y 1
		.amdhsa_system_sgpr_workgroup_id_z 1
		.amdhsa_system_sgpr_workgroup_info 0
		.amdhsa_system_vgpr_workitem_id 2
		.amdhsa_next_free_vgpr 13
		.amdhsa_next_free_sgpr 39
		.amdhsa_named_barrier_count 0
		.amdhsa_reserve_vcc 1
		.amdhsa_float_round_mode_32 0
		.amdhsa_float_round_mode_16_64 0
		.amdhsa_float_denorm_mode_32 3
		.amdhsa_float_denorm_mode_16_64 3
		.amdhsa_fp16_overflow 0
		.amdhsa_memory_ordered 1
		.amdhsa_forward_progress 1
		.amdhsa_inst_pref_size 7
		.amdhsa_round_robin_scheduling 0
		.amdhsa_exception_fp_ieee_invalid_op 0
		.amdhsa_exception_fp_denorm_src 0
		.amdhsa_exception_fp_ieee_div_zero 0
		.amdhsa_exception_fp_ieee_overflow 0
		.amdhsa_exception_fp_ieee_underflow 0
		.amdhsa_exception_fp_ieee_inexact 0
		.amdhsa_exception_int_div_zero 0
	.end_amdhsa_kernel
	.section	.text._ZL11k_bin_bcastIXadL_ZL6op_mulffEE6__halffS0_JPKfEEvPKT0_PKT1_PT2_iii15HIP_vector_typeIjLj3EESC_SC_SC_SC_iiiiiiiiiiiDpT3_,"axG",@progbits,_ZL11k_bin_bcastIXadL_ZL6op_mulffEE6__halffS0_JPKfEEvPKT0_PKT1_PT2_iii15HIP_vector_typeIjLj3EESC_SC_SC_SC_iiiiiiiiiiiDpT3_,comdat
.Lfunc_end29:
	.size	_ZL11k_bin_bcastIXadL_ZL6op_mulffEE6__halffS0_JPKfEEvPKT0_PKT1_PT2_iii15HIP_vector_typeIjLj3EESC_SC_SC_SC_iiiiiiiiiiiDpT3_, .Lfunc_end29-_ZL11k_bin_bcastIXadL_ZL6op_mulffEE6__halffS0_JPKfEEvPKT0_PKT1_PT2_iii15HIP_vector_typeIjLj3EESC_SC_SC_SC_iiiiiiiiiiiDpT3_
                                        ; -- End function
	.set _ZL11k_bin_bcastIXadL_ZL6op_mulffEE6__halffS0_JPKfEEvPKT0_PKT1_PT2_iii15HIP_vector_typeIjLj3EESC_SC_SC_SC_iiiiiiiiiiiDpT3_.num_vgpr, 13
	.set _ZL11k_bin_bcastIXadL_ZL6op_mulffEE6__halffS0_JPKfEEvPKT0_PKT1_PT2_iii15HIP_vector_typeIjLj3EESC_SC_SC_SC_iiiiiiiiiiiDpT3_.num_agpr, 0
	.set _ZL11k_bin_bcastIXadL_ZL6op_mulffEE6__halffS0_JPKfEEvPKT0_PKT1_PT2_iii15HIP_vector_typeIjLj3EESC_SC_SC_SC_iiiiiiiiiiiDpT3_.numbered_sgpr, 39
	.set _ZL11k_bin_bcastIXadL_ZL6op_mulffEE6__halffS0_JPKfEEvPKT0_PKT1_PT2_iii15HIP_vector_typeIjLj3EESC_SC_SC_SC_iiiiiiiiiiiDpT3_.num_named_barrier, 0
	.set _ZL11k_bin_bcastIXadL_ZL6op_mulffEE6__halffS0_JPKfEEvPKT0_PKT1_PT2_iii15HIP_vector_typeIjLj3EESC_SC_SC_SC_iiiiiiiiiiiDpT3_.private_seg_size, 0
	.set _ZL11k_bin_bcastIXadL_ZL6op_mulffEE6__halffS0_JPKfEEvPKT0_PKT1_PT2_iii15HIP_vector_typeIjLj3EESC_SC_SC_SC_iiiiiiiiiiiDpT3_.uses_vcc, 1
	.set _ZL11k_bin_bcastIXadL_ZL6op_mulffEE6__halffS0_JPKfEEvPKT0_PKT1_PT2_iii15HIP_vector_typeIjLj3EESC_SC_SC_SC_iiiiiiiiiiiDpT3_.uses_flat_scratch, 0
	.set _ZL11k_bin_bcastIXadL_ZL6op_mulffEE6__halffS0_JPKfEEvPKT0_PKT1_PT2_iii15HIP_vector_typeIjLj3EESC_SC_SC_SC_iiiiiiiiiiiDpT3_.has_dyn_sized_stack, 0
	.set _ZL11k_bin_bcastIXadL_ZL6op_mulffEE6__halffS0_JPKfEEvPKT0_PKT1_PT2_iii15HIP_vector_typeIjLj3EESC_SC_SC_SC_iiiiiiiiiiiDpT3_.has_recursion, 0
	.set _ZL11k_bin_bcastIXadL_ZL6op_mulffEE6__halffS0_JPKfEEvPKT0_PKT1_PT2_iii15HIP_vector_typeIjLj3EESC_SC_SC_SC_iiiiiiiiiiiDpT3_.has_indirect_call, 0
	.section	.AMDGPU.csdata,"",@progbits
; Kernel info:
; codeLenInByte = 896
; TotalNumSgprs: 41
; NumVgprs: 13
; ScratchSize: 0
; MemoryBound: 0
; FloatMode: 240
; IeeeMode: 1
; LDSByteSize: 0 bytes/workgroup (compile time only)
; SGPRBlocks: 0
; VGPRBlocks: 0
; NumSGPRsForWavesPerEU: 41
; NumVGPRsForWavesPerEU: 13
; NamedBarCnt: 0
; Occupancy: 16
; WaveLimiterHint : 1
; COMPUTE_PGM_RSRC2:SCRATCH_EN: 0
; COMPUTE_PGM_RSRC2:USER_SGPR: 2
; COMPUTE_PGM_RSRC2:TRAP_HANDLER: 0
; COMPUTE_PGM_RSRC2:TGID_X_EN: 1
; COMPUTE_PGM_RSRC2:TGID_Y_EN: 1
; COMPUTE_PGM_RSRC2:TGID_Z_EN: 1
; COMPUTE_PGM_RSRC2:TIDIG_COMP_CNT: 2
	.section	.text._ZL19k_bin_bcast_unravelIXadL_ZL6op_mulffEE6__halfffJPKfEEvPKT0_PKT1_PT2_15HIP_vector_typeIjLj3EESC_SC_jSC_SC_SC_SC_SC_SC_iiiiiiiiiiiDpT3_,"axG",@progbits,_ZL19k_bin_bcast_unravelIXadL_ZL6op_mulffEE6__halfffJPKfEEvPKT0_PKT1_PT2_15HIP_vector_typeIjLj3EESC_SC_jSC_SC_SC_SC_SC_SC_iiiiiiiiiiiDpT3_,comdat
	.globl	_ZL19k_bin_bcast_unravelIXadL_ZL6op_mulffEE6__halfffJPKfEEvPKT0_PKT1_PT2_15HIP_vector_typeIjLj3EESC_SC_jSC_SC_SC_SC_SC_SC_iiiiiiiiiiiDpT3_ ; -- Begin function _ZL19k_bin_bcast_unravelIXadL_ZL6op_mulffEE6__halfffJPKfEEvPKT0_PKT1_PT2_15HIP_vector_typeIjLj3EESC_SC_jSC_SC_SC_SC_SC_SC_iiiiiiiiiiiDpT3_
	.p2align	8
	.type	_ZL19k_bin_bcast_unravelIXadL_ZL6op_mulffEE6__halfffJPKfEEvPKT0_PKT1_PT2_15HIP_vector_typeIjLj3EESC_SC_jSC_SC_SC_SC_SC_SC_iiiiiiiiiiiDpT3_,@function
_ZL19k_bin_bcast_unravelIXadL_ZL6op_mulffEE6__halfffJPKfEEvPKT0_PKT1_PT2_15HIP_vector_typeIjLj3EESC_SC_jSC_SC_SC_SC_SC_SC_iiiiiiiiiiiDpT3_: ; @_ZL19k_bin_bcast_unravelIXadL_ZL6op_mulffEE6__halfffJPKfEEvPKT0_PKT1_PT2_15HIP_vector_typeIjLj3EESC_SC_jSC_SC_SC_SC_SC_SC_iiiiiiiiiiiDpT3_
; %bb.0:
	s_load_b32 s2, s[0:1], 0xcc
	s_bfe_u32 s3, ttmp6, 0x4000c
	s_load_b256 s[4:11], s[0:1], 0x38
	s_add_co_i32 s3, s3, 1
	s_and_b32 s12, ttmp6, 15
	s_mul_i32 s3, ttmp9, s3
	s_getreg_b32 s13, hwreg(HW_REG_IB_STS2, 6, 4)
	s_add_co_i32 s12, s12, s3
	s_wait_kmcnt 0x0
	s_and_b32 s2, s2, 0xffff
	s_cmp_eq_u32 s13, 0
	s_cselect_b32 s3, ttmp9, s12
	s_delay_alu instid0(SALU_CYCLE_1) | instskip(SKIP_1) | instid1(VALU_DEP_1)
	v_mad_u32 v0, s3, s2, v0
	s_load_b32 s2, s[0:1], 0x2c
	v_mul_hi_u32 v1, v0, s6
	s_delay_alu instid0(VALU_DEP_1) | instskip(NEXT) | instid1(VALU_DEP_1)
	v_add_nc_u32_e32 v1, v0, v1
	v_lshrrev_b32_e32 v1, s7, v1
	s_delay_alu instid0(VALU_DEP_1) | instskip(NEXT) | instid1(VALU_DEP_1)
	v_mul_lo_u32 v2, v1, s8
	v_sub_nc_u32_e32 v0, v0, v2
	s_delay_alu instid0(VALU_DEP_1) | instskip(NEXT) | instid1(VALU_DEP_1)
	v_mul_hi_u32 v2, v0, s9
	v_add_nc_u32_e32 v2, v0, v2
	s_delay_alu instid0(VALU_DEP_1) | instskip(SKIP_1) | instid1(VALU_DEP_1)
	v_lshrrev_b32_e32 v2, s10, v2
	s_load_b96 s[8:10], s[0:1], 0x18
	v_mul_lo_u32 v3, v2, s11
	s_delay_alu instid0(VALU_DEP_1) | instskip(SKIP_3) | instid1(VALU_DEP_3)
	v_sub_nc_u32_e32 v0, v0, v3
	v_cmp_gt_u32_e64 s3, s4, v2
	v_cmp_gt_u32_e64 s4, s5, v1
	s_wait_kmcnt 0x0
	v_mul_hi_u32 v3, v0, s8
	s_delay_alu instid0(VALU_DEP_1) | instskip(NEXT) | instid1(VALU_DEP_1)
	v_add_nc_u32_e32 v3, v0, v3
	v_lshrrev_b32_e32 v4, s9, v3
	s_delay_alu instid0(VALU_DEP_1) | instskip(NEXT) | instid1(VALU_DEP_1)
	v_mul_lo_u32 v3, v4, s10
	v_sub_nc_u32_e32 v0, v0, v3
	v_cmp_gt_u32_e64 s2, s2, v4
	s_delay_alu instid0(VALU_DEP_2) | instskip(SKIP_1) | instid1(SALU_CYCLE_1)
	v_cmp_gt_u32_e32 vcc_lo, s10, v0
	s_and_b32 s2, vcc_lo, s2
	s_and_b32 s2, s2, s3
	s_delay_alu instid0(SALU_CYCLE_1) | instskip(NEXT) | instid1(SALU_CYCLE_1)
	s_and_b32 s2, s4, s2
	s_and_saveexec_b32 s3, s2
	s_cbranch_execz .LBB30_4
; %bb.1:
	s_clause 0x4
	s_load_b64 s[2:3], s[0:1], 0x0
	s_load_b96 s[24:26], s[0:1], 0xa8
	s_load_b256 s[4:11], s[0:1], 0x88
	s_load_b128 s[20:23], s[0:1], 0x78
	s_load_b256 s[12:19], s[0:1], 0x58
	v_dual_mov_b32 v3, 0 :: v_dual_mov_b32 v5, 0
	s_wait_kmcnt 0x0
	s_cmp_eq_u64 s[2:3], 0
	s_cbranch_scc1 .LBB30_3
; %bb.2:
	v_mul_lo_u32 v5, v1, s10
	v_mov_b32_e32 v7, 0
	s_delay_alu instid0(VALU_DEP_2) | instskip(NEXT) | instid1(VALU_DEP_1)
	v_mad_u32 v5, v2, s9, v5
	v_mad_u32 v6, v4, s8, v5
	s_delay_alu instid0(VALU_DEP_1) | instskip(SKIP_1) | instid1(VALU_DEP_1)
	v_lshl_add_u64 v[8:9], v[6:7], 1, s[2:3]
	v_mul_lo_u32 v6, v0, s7
	v_lshl_add_u64 v[6:7], v[6:7], 1, v[8:9]
	global_load_u16 v5, v[6:7], off
	s_wait_loadcnt 0x0
	v_cvt_f32_f16_e32 v5, v5
.LBB30_3:
	v_mul_hi_u32 v6, s21, v1
	v_mul_hi_u32 v7, s18, v2
	v_mul_hi_u32 v8, s15, v4
	v_mul_hi_u32 v9, s12, v0
	s_load_b64 s[2:3], s[0:1], 0xb8
	s_delay_alu instid0(VALU_DEP_3) | instskip(SKIP_2) | instid1(VALU_DEP_3)
	v_dual_add_nc_u32 v6, v1, v6 :: v_dual_add_nc_u32 v7, v2, v7
	s_wait_xcnt 0x0
	s_load_b64 s[0:1], s[0:1], 0x10
	v_add_nc_u32_e32 v8, v4, v8
	s_delay_alu instid0(VALU_DEP_2) | instskip(NEXT) | instid1(VALU_DEP_2)
	v_dual_add_nc_u32 v9, v0, v9 :: v_dual_lshrrev_b32 v6, s22, v6
	v_dual_lshrrev_b32 v7, s19, v7 :: v_dual_lshrrev_b32 v8, s16, v8
	s_delay_alu instid0(VALU_DEP_2) | instskip(NEXT) | instid1(VALU_DEP_2)
	v_mul_lo_u32 v6, v6, s23
	v_mul_lo_u32 v7, v7, s20
	s_delay_alu instid0(VALU_DEP_4) | instskip(NEXT) | instid1(VALU_DEP_4)
	v_lshrrev_b32_e32 v9, s13, v9
	v_mul_lo_u32 v8, v8, s17
	s_delay_alu instid0(VALU_DEP_3) | instskip(NEXT) | instid1(VALU_DEP_3)
	v_dual_sub_nc_u32 v6, v1, v6 :: v_dual_sub_nc_u32 v7, v2, v7
	v_mul_lo_u32 v9, v9, s14
	v_mul_lo_u32 v1, v1, s6
	s_delay_alu instid0(VALU_DEP_3) | instskip(NEXT) | instid1(VALU_DEP_2)
	v_mul_lo_u32 v6, v6, s26
	v_mad_u32 v1, v2, s5, v1
	s_delay_alu instid0(VALU_DEP_2) | instskip(SKIP_2) | instid1(VALU_DEP_1)
	v_mad_u32 v6, v7, s25, v6
	v_sub_nc_u32_e32 v7, v4, v8
	v_sub_nc_u32_e32 v8, v0, v9
	v_mul_lo_u32 v8, v8, s11
	v_mad_u32 v2, v4, s4, v1
	s_delay_alu instid0(VALU_DEP_2) | instskip(SKIP_1) | instid1(VALU_DEP_1)
	v_ashrrev_i32_e32 v9, 31, v8
	v_mad_u32 v6, v7, s24, v6
	v_ashrrev_i32_e32 v7, 31, v6
	s_wait_kmcnt 0x0
	s_delay_alu instid0(VALU_DEP_1) | instskip(NEXT) | instid1(VALU_DEP_1)
	v_lshl_add_u64 v[6:7], v[6:7], 2, s[2:3]
	v_lshl_add_u64 v[6:7], v[8:9], 2, v[6:7]
	global_load_b32 v6, v[6:7], off
	v_mov_b32_e32 v1, v3
	v_lshl_add_u64 v[2:3], v[2:3], 2, s[0:1]
	s_wait_loadcnt 0x0
	v_mul_f32_e32 v4, v5, v6
	s_delay_alu instid0(VALU_DEP_2)
	v_lshl_add_u64 v[0:1], v[0:1], 2, v[2:3]
	global_store_b32 v[0:1], v4, off
.LBB30_4:
	s_endpgm
	.section	.rodata,"a",@progbits
	.p2align	6, 0x0
	.amdhsa_kernel _ZL19k_bin_bcast_unravelIXadL_ZL6op_mulffEE6__halfffJPKfEEvPKT0_PKT1_PT2_15HIP_vector_typeIjLj3EESC_SC_jSC_SC_SC_SC_SC_SC_iiiiiiiiiiiDpT3_
		.amdhsa_group_segment_fixed_size 0
		.amdhsa_private_segment_fixed_size 0
		.amdhsa_kernarg_size 448
		.amdhsa_user_sgpr_count 2
		.amdhsa_user_sgpr_dispatch_ptr 0
		.amdhsa_user_sgpr_queue_ptr 0
		.amdhsa_user_sgpr_kernarg_segment_ptr 1
		.amdhsa_user_sgpr_dispatch_id 0
		.amdhsa_user_sgpr_kernarg_preload_length 0
		.amdhsa_user_sgpr_kernarg_preload_offset 0
		.amdhsa_user_sgpr_private_segment_size 0
		.amdhsa_wavefront_size32 1
		.amdhsa_uses_dynamic_stack 0
		.amdhsa_enable_private_segment 0
		.amdhsa_system_sgpr_workgroup_id_x 1
		.amdhsa_system_sgpr_workgroup_id_y 0
		.amdhsa_system_sgpr_workgroup_id_z 0
		.amdhsa_system_sgpr_workgroup_info 0
		.amdhsa_system_vgpr_workitem_id 0
		.amdhsa_next_free_vgpr 10
		.amdhsa_next_free_sgpr 27
		.amdhsa_named_barrier_count 0
		.amdhsa_reserve_vcc 1
		.amdhsa_float_round_mode_32 0
		.amdhsa_float_round_mode_16_64 0
		.amdhsa_float_denorm_mode_32 3
		.amdhsa_float_denorm_mode_16_64 3
		.amdhsa_fp16_overflow 0
		.amdhsa_memory_ordered 1
		.amdhsa_forward_progress 1
		.amdhsa_inst_pref_size 6
		.amdhsa_round_robin_scheduling 0
		.amdhsa_exception_fp_ieee_invalid_op 0
		.amdhsa_exception_fp_denorm_src 0
		.amdhsa_exception_fp_ieee_div_zero 0
		.amdhsa_exception_fp_ieee_overflow 0
		.amdhsa_exception_fp_ieee_underflow 0
		.amdhsa_exception_fp_ieee_inexact 0
		.amdhsa_exception_int_div_zero 0
	.end_amdhsa_kernel
	.section	.text._ZL19k_bin_bcast_unravelIXadL_ZL6op_mulffEE6__halfffJPKfEEvPKT0_PKT1_PT2_15HIP_vector_typeIjLj3EESC_SC_jSC_SC_SC_SC_SC_SC_iiiiiiiiiiiDpT3_,"axG",@progbits,_ZL19k_bin_bcast_unravelIXadL_ZL6op_mulffEE6__halfffJPKfEEvPKT0_PKT1_PT2_15HIP_vector_typeIjLj3EESC_SC_jSC_SC_SC_SC_SC_SC_iiiiiiiiiiiDpT3_,comdat
.Lfunc_end30:
	.size	_ZL19k_bin_bcast_unravelIXadL_ZL6op_mulffEE6__halfffJPKfEEvPKT0_PKT1_PT2_15HIP_vector_typeIjLj3EESC_SC_jSC_SC_SC_SC_SC_SC_iiiiiiiiiiiDpT3_, .Lfunc_end30-_ZL19k_bin_bcast_unravelIXadL_ZL6op_mulffEE6__halfffJPKfEEvPKT0_PKT1_PT2_15HIP_vector_typeIjLj3EESC_SC_jSC_SC_SC_SC_SC_SC_iiiiiiiiiiiDpT3_
                                        ; -- End function
	.set _ZL19k_bin_bcast_unravelIXadL_ZL6op_mulffEE6__halfffJPKfEEvPKT0_PKT1_PT2_15HIP_vector_typeIjLj3EESC_SC_jSC_SC_SC_SC_SC_SC_iiiiiiiiiiiDpT3_.num_vgpr, 10
	.set _ZL19k_bin_bcast_unravelIXadL_ZL6op_mulffEE6__halfffJPKfEEvPKT0_PKT1_PT2_15HIP_vector_typeIjLj3EESC_SC_jSC_SC_SC_SC_SC_SC_iiiiiiiiiiiDpT3_.num_agpr, 0
	.set _ZL19k_bin_bcast_unravelIXadL_ZL6op_mulffEE6__halfffJPKfEEvPKT0_PKT1_PT2_15HIP_vector_typeIjLj3EESC_SC_jSC_SC_SC_SC_SC_SC_iiiiiiiiiiiDpT3_.numbered_sgpr, 27
	.set _ZL19k_bin_bcast_unravelIXadL_ZL6op_mulffEE6__halfffJPKfEEvPKT0_PKT1_PT2_15HIP_vector_typeIjLj3EESC_SC_jSC_SC_SC_SC_SC_SC_iiiiiiiiiiiDpT3_.num_named_barrier, 0
	.set _ZL19k_bin_bcast_unravelIXadL_ZL6op_mulffEE6__halfffJPKfEEvPKT0_PKT1_PT2_15HIP_vector_typeIjLj3EESC_SC_jSC_SC_SC_SC_SC_SC_iiiiiiiiiiiDpT3_.private_seg_size, 0
	.set _ZL19k_bin_bcast_unravelIXadL_ZL6op_mulffEE6__halfffJPKfEEvPKT0_PKT1_PT2_15HIP_vector_typeIjLj3EESC_SC_jSC_SC_SC_SC_SC_SC_iiiiiiiiiiiDpT3_.uses_vcc, 1
	.set _ZL19k_bin_bcast_unravelIXadL_ZL6op_mulffEE6__halfffJPKfEEvPKT0_PKT1_PT2_15HIP_vector_typeIjLj3EESC_SC_jSC_SC_SC_SC_SC_SC_iiiiiiiiiiiDpT3_.uses_flat_scratch, 0
	.set _ZL19k_bin_bcast_unravelIXadL_ZL6op_mulffEE6__halfffJPKfEEvPKT0_PKT1_PT2_15HIP_vector_typeIjLj3EESC_SC_jSC_SC_SC_SC_SC_SC_iiiiiiiiiiiDpT3_.has_dyn_sized_stack, 0
	.set _ZL19k_bin_bcast_unravelIXadL_ZL6op_mulffEE6__halfffJPKfEEvPKT0_PKT1_PT2_15HIP_vector_typeIjLj3EESC_SC_jSC_SC_SC_SC_SC_SC_iiiiiiiiiiiDpT3_.has_recursion, 0
	.set _ZL19k_bin_bcast_unravelIXadL_ZL6op_mulffEE6__halfffJPKfEEvPKT0_PKT1_PT2_15HIP_vector_typeIjLj3EESC_SC_jSC_SC_SC_SC_SC_SC_iiiiiiiiiiiDpT3_.has_indirect_call, 0
	.section	.AMDGPU.csdata,"",@progbits
; Kernel info:
; codeLenInByte = 740
; TotalNumSgprs: 29
; NumVgprs: 10
; ScratchSize: 0
; MemoryBound: 0
; FloatMode: 240
; IeeeMode: 1
; LDSByteSize: 0 bytes/workgroup (compile time only)
; SGPRBlocks: 0
; VGPRBlocks: 0
; NumSGPRsForWavesPerEU: 29
; NumVGPRsForWavesPerEU: 10
; NamedBarCnt: 0
; Occupancy: 16
; WaveLimiterHint : 1
; COMPUTE_PGM_RSRC2:SCRATCH_EN: 0
; COMPUTE_PGM_RSRC2:USER_SGPR: 2
; COMPUTE_PGM_RSRC2:TRAP_HANDLER: 0
; COMPUTE_PGM_RSRC2:TGID_X_EN: 1
; COMPUTE_PGM_RSRC2:TGID_Y_EN: 0
; COMPUTE_PGM_RSRC2:TGID_Z_EN: 0
; COMPUTE_PGM_RSRC2:TIDIG_COMP_CNT: 0
	.section	.text._ZL11k_bin_bcastIXadL_ZL6op_mulffEE6__halfffJPKfEEvPKT0_PKT1_PT2_iii15HIP_vector_typeIjLj3EESC_SC_SC_SC_iiiiiiiiiiiDpT3_,"axG",@progbits,_ZL11k_bin_bcastIXadL_ZL6op_mulffEE6__halfffJPKfEEvPKT0_PKT1_PT2_iii15HIP_vector_typeIjLj3EESC_SC_SC_SC_iiiiiiiiiiiDpT3_,comdat
	.globl	_ZL11k_bin_bcastIXadL_ZL6op_mulffEE6__halfffJPKfEEvPKT0_PKT1_PT2_iii15HIP_vector_typeIjLj3EESC_SC_SC_SC_iiiiiiiiiiiDpT3_ ; -- Begin function _ZL11k_bin_bcastIXadL_ZL6op_mulffEE6__halfffJPKfEEvPKT0_PKT1_PT2_iii15HIP_vector_typeIjLj3EESC_SC_SC_SC_iiiiiiiiiiiDpT3_
	.p2align	8
	.type	_ZL11k_bin_bcastIXadL_ZL6op_mulffEE6__halfffJPKfEEvPKT0_PKT1_PT2_iii15HIP_vector_typeIjLj3EESC_SC_SC_SC_iiiiiiiiiiiDpT3_,@function
_ZL11k_bin_bcastIXadL_ZL6op_mulffEE6__halfffJPKfEEvPKT0_PKT1_PT2_iii15HIP_vector_typeIjLj3EESC_SC_SC_SC_iiiiiiiiiiiDpT3_: ; @_ZL11k_bin_bcastIXadL_ZL6op_mulffEE6__halfffJPKfEEvPKT0_PKT1_PT2_iii15HIP_vector_typeIjLj3EESC_SC_SC_SC_iiiiiiiiiiiDpT3_
; %bb.0:
	s_load_b64 s[2:3], s[0:1], 0xa4
	s_bfe_u32 s5, ttmp6, 0x40014
	s_bfe_u32 s16, ttmp6, 0x40010
	;; [unrolled: 1-line block ×3, first 2 shown]
	s_lshr_b32 s4, ttmp7, 16
	s_and_b32 s7, ttmp7, 0xffff
	s_add_co_i32 s5, s5, 1
	s_add_co_i32 s16, s16, 1
	s_load_b256 s[8:15], s[0:1], 0x18
	s_add_co_i32 s19, s19, 1
	s_bfe_u32 s6, ttmp6, 0x40008
	s_bfe_u32 s17, ttmp6, 0x40004
	s_mul_i32 s5, s4, s5
	s_mul_i32 s16, s7, s16
	s_and_b32 s18, ttmp6, 15
	s_mul_i32 s19, ttmp9, s19
	s_add_co_i32 s6, s6, s5
	s_add_co_i32 s17, s17, s16
	;; [unrolled: 1-line block ×3, first 2 shown]
	v_bfe_u32 v1, v0, 20, 10
	s_wait_kmcnt 0x0
	s_lshr_b32 s16, s2, 16
	s_and_b32 s5, s2, 0xffff
	s_getreg_b32 s2, hwreg(HW_REG_IB_STS2, 6, 4)
	s_and_b32 s3, s3, 0xffff
	s_cmp_eq_u32 s2, 0
	v_and_b32_e32 v3, 0x3ff, v0
	s_cselect_b32 s2, s4, s6
	v_bfe_u32 v4, v0, 10, 10
	v_mad_u32 v2, s2, s3, v1
	s_cselect_b32 s2, ttmp9, s18
	s_cselect_b32 s3, s7, s17
	v_mad_u32 v0, s2, s5, v3
	v_mad_u32 v3, s3, s16, v4
	s_delay_alu instid0(VALU_DEP_3) | instskip(NEXT) | instid1(VALU_DEP_3)
	v_mul_hi_u32 v1, v2, s11
	v_cmp_gt_u32_e32 vcc_lo, s8, v0
	s_delay_alu instid0(VALU_DEP_3) | instskip(SKIP_2) | instid1(VALU_DEP_1)
	v_cmp_gt_u32_e64 s2, s9, v3
	s_and_b32 s2, vcc_lo, s2
	v_add_nc_u32_e32 v1, v2, v1
	v_lshrrev_b32_e32 v1, s12, v1
	s_delay_alu instid0(VALU_DEP_1) | instskip(SKIP_3) | instid1(VALU_DEP_1)
	v_mul_lo_u32 v5, v1, s13
	v_cmp_gt_u32_e64 s3, s10, v1
	s_and_b32 s2, s2, s3
	v_sub_nc_u32_e32 v2, v2, v5
	v_cmp_gt_u32_e64 s4, s13, v2
	s_and_b32 s2, s2, s4
	s_delay_alu instid0(SALU_CYCLE_1)
	s_and_saveexec_b32 s3, s2
	s_cbranch_execz .LBB31_6
; %bb.1:
	v_cmp_gt_i32_e32 vcc_lo, s8, v0
	s_and_b32 exec_lo, exec_lo, vcc_lo
	s_cbranch_execz .LBB31_6
; %bb.2:
	s_clause 0x4
	s_load_b256 s[24:31], s[0:1], 0x3c
	s_load_b32 s2, s[0:1], 0x5c
	s_load_b256 s[16:23], s[0:1], 0x60
	s_load_b96 s[36:38], s[0:1], 0x80
	s_load_b64 s[6:7], s[0:1], 0x90
	s_wait_kmcnt 0x0
	v_mul_hi_u32 v4, s30, v2
	v_mul_hi_u32 v5, s27, v1
	v_mul_hi_u32 v6, s24, v3
	v_mul_lo_u32 v7, v3, s20
	v_mul_lo_u32 v8, v3, s16
	s_delay_alu instid0(VALU_DEP_4) | instskip(NEXT) | instid1(VALU_DEP_3)
	v_dual_add_nc_u32 v4, v2, v4 :: v_dual_add_nc_u32 v5, v1, v5
	v_mad_u32 v7, v1, s21, v7
	s_delay_alu instid0(VALU_DEP_3) | instskip(NEXT) | instid1(VALU_DEP_3)
	v_mad_u32 v8, v1, s17, v8
	v_dual_lshrrev_b32 v4, s31, v4 :: v_dual_lshrrev_b32 v5, s28, v5
	s_delay_alu instid0(VALU_DEP_1) | instskip(SKIP_1) | instid1(VALU_DEP_3)
	v_mul_lo_u32 v4, v4, s2
	v_add_nc_u32_e32 v6, v3, v6
	v_mul_lo_u32 v5, v5, s29
	s_add_nc_u64 s[2:3], s[0:1], 0x98
	s_load_b64 s[10:11], s[0:1], 0x0
	s_load_b32 s4, s[2:3], 0x0
	s_clause 0x1
	s_load_b64 s[12:13], s[0:1], 0x10
	s_load_b32 s9, s[0:1], 0x38
	s_wait_xcnt 0x0
	s_mov_b32 s1, 0
	s_mov_b32 s0, s14
	v_dual_sub_nc_u32 v4, v2, v4 :: v_dual_lshrrev_b32 v6, s25, v6
	v_dual_sub_nc_u32 v5, v1, v5 :: v_dual_mov_b32 v1, 0
	s_delay_alu instid0(VALU_DEP_2) | instskip(NEXT) | instid1(VALU_DEP_3)
	v_mul_lo_u32 v4, v4, s38
	v_mul_lo_u32 v6, v6, s26
	s_delay_alu instid0(VALU_DEP_3)
	v_mov_b32_e32 v9, v1
	s_wait_kmcnt 0x0
	s_cmp_lg_u64 s[10:11], 0
	s_mul_i32 s2, s4, s5
	s_cselect_b32 s3, -1, 0
	s_mul_i32 s4, s2, s19
	s_delay_alu instid0(VALU_DEP_3) | instskip(NEXT) | instid1(VALU_DEP_3)
	v_mad_u32 v5, v5, s37, v4
	v_sub_nc_u32_e32 v3, v3, v6
	v_mad_u32 v4, v2, s22, v7
	v_mad_u32 v6, v2, s18, v8
	v_mul_lo_u32 v2, s19, v0
	s_sub_co_i32 s5, 0, s9
	v_mov_b32_e32 v7, v1
	v_mad_u32 v8, v3, s36, v5
	v_mov_b32_e32 v5, v1
	s_delay_alu instid0(VALU_DEP_3) | instskip(NEXT) | instid1(VALU_DEP_2)
	v_lshl_add_u64 v[6:7], v[6:7], 2, s[12:13]
	v_lshl_add_u64 v[4:5], v[4:5], 1, s[10:11]
	s_delay_alu instid0(VALU_DEP_4)
	v_lshl_add_u64 v[8:9], v[8:9], 2, s[6:7]
	s_mov_b32 s6, s1
	s_branch .LBB31_4
.LBB31_3:                               ;   in Loop: Header=BB31_4 Depth=1
	s_wait_xcnt 0x0
	v_mul_u64_e32 v[10:11], s[0:1], v[0:1]
	s_delay_alu instid0(VALU_DEP_1) | instskip(NEXT) | instid1(VALU_DEP_1)
	v_dual_add_nc_u32 v2, s4, v2 :: v_dual_add_nc_u32 v10, v0, v11
	v_dual_mov_b32 v11, v1 :: v_dual_lshrrev_b32 v10, s15, v10
	s_delay_alu instid0(VALU_DEP_1) | instskip(NEXT) | instid1(VALU_DEP_1)
	v_mad_u32 v10, s5, v10, v0
	v_mul_lo_u32 v10, v10, s23
	s_delay_alu instid0(VALU_DEP_1) | instskip(SKIP_4) | instid1(VALU_DEP_2)
	v_lshl_add_u64 v[10:11], v[10:11], 2, v[8:9]
	global_load_b32 v12, v[10:11], off
	s_wait_xcnt 0x0
	v_dual_mov_b32 v10, v0 :: v_dual_ashrrev_i32 v11, 31, v0
	v_add_nc_u32_e32 v0, s2, v0
	v_lshl_add_u64 v[10:11], v[10:11], 2, v[6:7]
	s_delay_alu instid0(VALU_DEP_2)
	v_cmp_le_i32_e32 vcc_lo, s8, v0
	s_or_b32 s6, vcc_lo, s6
	s_wait_loadcnt 0x0
	v_mul_f32_e32 v3, v3, v12
	global_store_b32 v[10:11], v3, off
	s_wait_xcnt 0x0
	s_and_not1_b32 exec_lo, exec_lo, s6
	s_cbranch_execz .LBB31_6
.LBB31_4:                               ; =>This Inner Loop Header: Depth=1
	v_mov_b32_e32 v3, 0
	s_and_not1_b32 vcc_lo, exec_lo, s3
	s_cbranch_vccnz .LBB31_3
; %bb.5:                                ;   in Loop: Header=BB31_4 Depth=1
	v_ashrrev_i32_e32 v3, 31, v2
	s_delay_alu instid0(VALU_DEP_1)
	v_lshl_add_u64 v[10:11], v[2:3], 1, v[4:5]
	global_load_u16 v3, v[10:11], off
	s_wait_loadcnt 0x0
	v_cvt_f32_f16_e32 v3, v3
	s_branch .LBB31_3
.LBB31_6:
	s_endpgm
	.section	.rodata,"a",@progbits
	.p2align	6, 0x0
	.amdhsa_kernel _ZL11k_bin_bcastIXadL_ZL6op_mulffEE6__halfffJPKfEEvPKT0_PKT1_PT2_iii15HIP_vector_typeIjLj3EESC_SC_SC_SC_iiiiiiiiiiiDpT3_
		.amdhsa_group_segment_fixed_size 0
		.amdhsa_private_segment_fixed_size 0
		.amdhsa_kernarg_size 408
		.amdhsa_user_sgpr_count 2
		.amdhsa_user_sgpr_dispatch_ptr 0
		.amdhsa_user_sgpr_queue_ptr 0
		.amdhsa_user_sgpr_kernarg_segment_ptr 1
		.amdhsa_user_sgpr_dispatch_id 0
		.amdhsa_user_sgpr_kernarg_preload_length 0
		.amdhsa_user_sgpr_kernarg_preload_offset 0
		.amdhsa_user_sgpr_private_segment_size 0
		.amdhsa_wavefront_size32 1
		.amdhsa_uses_dynamic_stack 0
		.amdhsa_enable_private_segment 0
		.amdhsa_system_sgpr_workgroup_id_x 1
		.amdhsa_system_sgpr_workgroup_id_y 1
		.amdhsa_system_sgpr_workgroup_id_z 1
		.amdhsa_system_sgpr_workgroup_info 0
		.amdhsa_system_vgpr_workitem_id 2
		.amdhsa_next_free_vgpr 13
		.amdhsa_next_free_sgpr 39
		.amdhsa_named_barrier_count 0
		.amdhsa_reserve_vcc 1
		.amdhsa_float_round_mode_32 0
		.amdhsa_float_round_mode_16_64 0
		.amdhsa_float_denorm_mode_32 3
		.amdhsa_float_denorm_mode_16_64 3
		.amdhsa_fp16_overflow 0
		.amdhsa_memory_ordered 1
		.amdhsa_forward_progress 1
		.amdhsa_inst_pref_size 7
		.amdhsa_round_robin_scheduling 0
		.amdhsa_exception_fp_ieee_invalid_op 0
		.amdhsa_exception_fp_denorm_src 0
		.amdhsa_exception_fp_ieee_div_zero 0
		.amdhsa_exception_fp_ieee_overflow 0
		.amdhsa_exception_fp_ieee_underflow 0
		.amdhsa_exception_fp_ieee_inexact 0
		.amdhsa_exception_int_div_zero 0
	.end_amdhsa_kernel
	.section	.text._ZL11k_bin_bcastIXadL_ZL6op_mulffEE6__halfffJPKfEEvPKT0_PKT1_PT2_iii15HIP_vector_typeIjLj3EESC_SC_SC_SC_iiiiiiiiiiiDpT3_,"axG",@progbits,_ZL11k_bin_bcastIXadL_ZL6op_mulffEE6__halfffJPKfEEvPKT0_PKT1_PT2_iii15HIP_vector_typeIjLj3EESC_SC_SC_SC_iiiiiiiiiiiDpT3_,comdat
.Lfunc_end31:
	.size	_ZL11k_bin_bcastIXadL_ZL6op_mulffEE6__halfffJPKfEEvPKT0_PKT1_PT2_iii15HIP_vector_typeIjLj3EESC_SC_SC_SC_iiiiiiiiiiiDpT3_, .Lfunc_end31-_ZL11k_bin_bcastIXadL_ZL6op_mulffEE6__halfffJPKfEEvPKT0_PKT1_PT2_iii15HIP_vector_typeIjLj3EESC_SC_SC_SC_iiiiiiiiiiiDpT3_
                                        ; -- End function
	.set _ZL11k_bin_bcastIXadL_ZL6op_mulffEE6__halfffJPKfEEvPKT0_PKT1_PT2_iii15HIP_vector_typeIjLj3EESC_SC_SC_SC_iiiiiiiiiiiDpT3_.num_vgpr, 13
	.set _ZL11k_bin_bcastIXadL_ZL6op_mulffEE6__halfffJPKfEEvPKT0_PKT1_PT2_iii15HIP_vector_typeIjLj3EESC_SC_SC_SC_iiiiiiiiiiiDpT3_.num_agpr, 0
	.set _ZL11k_bin_bcastIXadL_ZL6op_mulffEE6__halfffJPKfEEvPKT0_PKT1_PT2_iii15HIP_vector_typeIjLj3EESC_SC_SC_SC_iiiiiiiiiiiDpT3_.numbered_sgpr, 39
	.set _ZL11k_bin_bcastIXadL_ZL6op_mulffEE6__halfffJPKfEEvPKT0_PKT1_PT2_iii15HIP_vector_typeIjLj3EESC_SC_SC_SC_iiiiiiiiiiiDpT3_.num_named_barrier, 0
	.set _ZL11k_bin_bcastIXadL_ZL6op_mulffEE6__halfffJPKfEEvPKT0_PKT1_PT2_iii15HIP_vector_typeIjLj3EESC_SC_SC_SC_iiiiiiiiiiiDpT3_.private_seg_size, 0
	.set _ZL11k_bin_bcastIXadL_ZL6op_mulffEE6__halfffJPKfEEvPKT0_PKT1_PT2_iii15HIP_vector_typeIjLj3EESC_SC_SC_SC_iiiiiiiiiiiDpT3_.uses_vcc, 1
	.set _ZL11k_bin_bcastIXadL_ZL6op_mulffEE6__halfffJPKfEEvPKT0_PKT1_PT2_iii15HIP_vector_typeIjLj3EESC_SC_SC_SC_iiiiiiiiiiiDpT3_.uses_flat_scratch, 0
	.set _ZL11k_bin_bcastIXadL_ZL6op_mulffEE6__halfffJPKfEEvPKT0_PKT1_PT2_iii15HIP_vector_typeIjLj3EESC_SC_SC_SC_iiiiiiiiiiiDpT3_.has_dyn_sized_stack, 0
	.set _ZL11k_bin_bcastIXadL_ZL6op_mulffEE6__halfffJPKfEEvPKT0_PKT1_PT2_iii15HIP_vector_typeIjLj3EESC_SC_SC_SC_iiiiiiiiiiiDpT3_.has_recursion, 0
	.set _ZL11k_bin_bcastIXadL_ZL6op_mulffEE6__halfffJPKfEEvPKT0_PKT1_PT2_iii15HIP_vector_typeIjLj3EESC_SC_SC_SC_iiiiiiiiiiiDpT3_.has_indirect_call, 0
	.section	.AMDGPU.csdata,"",@progbits
; Kernel info:
; codeLenInByte = 892
; TotalNumSgprs: 41
; NumVgprs: 13
; ScratchSize: 0
; MemoryBound: 0
; FloatMode: 240
; IeeeMode: 1
; LDSByteSize: 0 bytes/workgroup (compile time only)
; SGPRBlocks: 0
; VGPRBlocks: 0
; NumSGPRsForWavesPerEU: 41
; NumVGPRsForWavesPerEU: 13
; NamedBarCnt: 0
; Occupancy: 16
; WaveLimiterHint : 1
; COMPUTE_PGM_RSRC2:SCRATCH_EN: 0
; COMPUTE_PGM_RSRC2:USER_SGPR: 2
; COMPUTE_PGM_RSRC2:TRAP_HANDLER: 0
; COMPUTE_PGM_RSRC2:TGID_X_EN: 1
; COMPUTE_PGM_RSRC2:TGID_Y_EN: 1
; COMPUTE_PGM_RSRC2:TGID_Z_EN: 1
; COMPUTE_PGM_RSRC2:TIDIG_COMP_CNT: 2
	.section	.text._ZL19k_bin_bcast_unravelIXadL_ZL6op_divffEEfffJPKfEEvPKT0_PKT1_PT2_15HIP_vector_typeIjLj3EESB_SB_jSB_SB_SB_SB_SB_SB_iiiiiiiiiiiDpT3_,"axG",@progbits,_ZL19k_bin_bcast_unravelIXadL_ZL6op_divffEEfffJPKfEEvPKT0_PKT1_PT2_15HIP_vector_typeIjLj3EESB_SB_jSB_SB_SB_SB_SB_SB_iiiiiiiiiiiDpT3_,comdat
	.globl	_ZL19k_bin_bcast_unravelIXadL_ZL6op_divffEEfffJPKfEEvPKT0_PKT1_PT2_15HIP_vector_typeIjLj3EESB_SB_jSB_SB_SB_SB_SB_SB_iiiiiiiiiiiDpT3_ ; -- Begin function _ZL19k_bin_bcast_unravelIXadL_ZL6op_divffEEfffJPKfEEvPKT0_PKT1_PT2_15HIP_vector_typeIjLj3EESB_SB_jSB_SB_SB_SB_SB_SB_iiiiiiiiiiiDpT3_
	.p2align	8
	.type	_ZL19k_bin_bcast_unravelIXadL_ZL6op_divffEEfffJPKfEEvPKT0_PKT1_PT2_15HIP_vector_typeIjLj3EESB_SB_jSB_SB_SB_SB_SB_SB_iiiiiiiiiiiDpT3_,@function
_ZL19k_bin_bcast_unravelIXadL_ZL6op_divffEEfffJPKfEEvPKT0_PKT1_PT2_15HIP_vector_typeIjLj3EESB_SB_jSB_SB_SB_SB_SB_SB_iiiiiiiiiiiDpT3_: ; @_ZL19k_bin_bcast_unravelIXadL_ZL6op_divffEEfffJPKfEEvPKT0_PKT1_PT2_15HIP_vector_typeIjLj3EESB_SB_jSB_SB_SB_SB_SB_SB_iiiiiiiiiiiDpT3_
; %bb.0:
	s_load_b32 s2, s[0:1], 0xcc
	s_bfe_u32 s3, ttmp6, 0x4000c
	s_load_b256 s[4:11], s[0:1], 0x38
	s_add_co_i32 s3, s3, 1
	s_and_b32 s12, ttmp6, 15
	s_mul_i32 s3, ttmp9, s3
	s_getreg_b32 s13, hwreg(HW_REG_IB_STS2, 6, 4)
	s_add_co_i32 s12, s12, s3
	s_wait_kmcnt 0x0
	s_and_b32 s2, s2, 0xffff
	s_cmp_eq_u32 s13, 0
	s_cselect_b32 s3, ttmp9, s12
	s_delay_alu instid0(SALU_CYCLE_1) | instskip(SKIP_1) | instid1(VALU_DEP_1)
	v_mad_u32 v0, s3, s2, v0
	s_load_b32 s2, s[0:1], 0x2c
	v_mul_hi_u32 v1, v0, s6
	s_delay_alu instid0(VALU_DEP_1) | instskip(NEXT) | instid1(VALU_DEP_1)
	v_add_nc_u32_e32 v1, v0, v1
	v_lshrrev_b32_e32 v2, s7, v1
	s_delay_alu instid0(VALU_DEP_1) | instskip(NEXT) | instid1(VALU_DEP_1)
	v_mul_lo_u32 v1, v2, s8
	v_sub_nc_u32_e32 v0, v0, v1
	s_delay_alu instid0(VALU_DEP_1) | instskip(NEXT) | instid1(VALU_DEP_1)
	v_mul_hi_u32 v1, v0, s9
	v_add_nc_u32_e32 v1, v0, v1
	s_delay_alu instid0(VALU_DEP_1) | instskip(SKIP_1) | instid1(VALU_DEP_1)
	v_lshrrev_b32_e32 v1, s10, v1
	s_load_b96 s[8:10], s[0:1], 0x18
	v_mul_lo_u32 v3, v1, s11
	s_delay_alu instid0(VALU_DEP_1) | instskip(SKIP_1) | instid1(VALU_DEP_1)
	v_sub_nc_u32_e32 v0, v0, v3
	s_wait_kmcnt 0x0
	v_mul_hi_u32 v3, v0, s8
	s_delay_alu instid0(VALU_DEP_1) | instskip(NEXT) | instid1(VALU_DEP_1)
	v_add_nc_u32_e32 v3, v0, v3
	v_lshrrev_b32_e32 v4, s9, v3
	v_cmp_gt_u32_e64 s3, s4, v1
	v_cmp_gt_u32_e64 s4, s5, v2
	s_delay_alu instid0(VALU_DEP_3) | instskip(SKIP_1) | instid1(VALU_DEP_2)
	v_mul_lo_u32 v3, v4, s10
	v_cmp_gt_u32_e64 s2, s2, v4
	v_sub_nc_u32_e32 v0, v0, v3
	s_delay_alu instid0(VALU_DEP_1) | instskip(SKIP_1) | instid1(SALU_CYCLE_1)
	v_cmp_gt_u32_e32 vcc_lo, s10, v0
	s_and_b32 s2, vcc_lo, s2
	s_and_b32 s2, s2, s3
	s_delay_alu instid0(SALU_CYCLE_1) | instskip(NEXT) | instid1(SALU_CYCLE_1)
	s_and_b32 s2, s4, s2
	s_and_saveexec_b32 s3, s2
	s_cbranch_execz .LBB32_4
; %bb.1:
	s_clause 0x4
	s_load_b64 s[2:3], s[0:1], 0x0
	s_load_b96 s[24:26], s[0:1], 0xa8
	s_load_b256 s[4:11], s[0:1], 0x88
	s_load_b128 s[20:23], s[0:1], 0x78
	s_load_b256 s[12:19], s[0:1], 0x58
	v_dual_mov_b32 v3, 0 :: v_dual_mov_b32 v5, 0
	s_wait_kmcnt 0x0
	s_cmp_eq_u64 s[2:3], 0
	s_cbranch_scc1 .LBB32_3
; %bb.2:
	v_mul_lo_u32 v5, v2, s10
	v_mov_b32_e32 v7, 0
	s_delay_alu instid0(VALU_DEP_2) | instskip(NEXT) | instid1(VALU_DEP_1)
	v_mad_u32 v5, v1, s9, v5
	v_mad_u32 v6, v4, s8, v5
	s_delay_alu instid0(VALU_DEP_1) | instskip(SKIP_1) | instid1(VALU_DEP_1)
	v_lshl_add_u64 v[8:9], v[6:7], 2, s[2:3]
	v_mul_lo_u32 v6, v0, s7
	v_lshl_add_u64 v[6:7], v[6:7], 2, v[8:9]
	global_load_b32 v5, v[6:7], off
.LBB32_3:
	s_wait_xcnt 0x0
	v_mul_hi_u32 v6, s21, v2
	v_mul_hi_u32 v7, s18, v1
	;; [unrolled: 1-line block ×4, first 2 shown]
	s_load_b64 s[2:3], s[0:1], 0xb8
	s_delay_alu instid0(VALU_DEP_3) | instskip(SKIP_2) | instid1(VALU_DEP_3)
	v_dual_add_nc_u32 v6, v2, v6 :: v_dual_add_nc_u32 v7, v1, v7
	s_wait_xcnt 0x0
	s_load_b64 s[0:1], s[0:1], 0x10
	v_add_nc_u32_e32 v8, v4, v8
	s_delay_alu instid0(VALU_DEP_2) | instskip(NEXT) | instid1(VALU_DEP_2)
	v_dual_add_nc_u32 v9, v0, v9 :: v_dual_lshrrev_b32 v6, s22, v6
	v_dual_lshrrev_b32 v7, s19, v7 :: v_dual_lshrrev_b32 v8, s16, v8
	s_delay_alu instid0(VALU_DEP_2) | instskip(NEXT) | instid1(VALU_DEP_2)
	v_mul_lo_u32 v6, v6, s23
	v_mul_lo_u32 v7, v7, s20
	s_delay_alu instid0(VALU_DEP_4) | instskip(NEXT) | instid1(VALU_DEP_4)
	v_lshrrev_b32_e32 v9, s13, v9
	v_mul_lo_u32 v8, v8, s17
	s_delay_alu instid0(VALU_DEP_3) | instskip(NEXT) | instid1(VALU_DEP_3)
	v_dual_sub_nc_u32 v6, v2, v6 :: v_dual_sub_nc_u32 v7, v1, v7
	v_mul_lo_u32 v9, v9, s14
	v_mul_lo_u32 v2, v2, s6
	s_delay_alu instid0(VALU_DEP_3) | instskip(NEXT) | instid1(VALU_DEP_2)
	v_mul_lo_u32 v6, v6, s26
	v_mad_u32 v1, v1, s5, v2
	s_delay_alu instid0(VALU_DEP_2) | instskip(SKIP_2) | instid1(VALU_DEP_1)
	v_mad_u32 v6, v7, s25, v6
	v_sub_nc_u32_e32 v7, v4, v8
	v_sub_nc_u32_e32 v8, v0, v9
	v_mul_lo_u32 v8, v8, s11
	v_mad_u32 v2, v4, s4, v1
	s_delay_alu instid0(VALU_DEP_2) | instskip(SKIP_2) | instid1(VALU_DEP_3)
	v_dual_mov_b32 v1, v3 :: v_dual_ashrrev_i32 v9, 31, v8
	v_mad_u32 v6, v7, s24, v6
	s_wait_kmcnt 0x0
	v_lshl_add_u64 v[2:3], v[2:3], 2, s[0:1]
	s_delay_alu instid0(VALU_DEP_1) | instskip(NEXT) | instid1(VALU_DEP_3)
	v_lshl_add_u64 v[0:1], v[0:1], 2, v[2:3]
	v_ashrrev_i32_e32 v7, 31, v6
	s_delay_alu instid0(VALU_DEP_1) | instskip(NEXT) | instid1(VALU_DEP_1)
	v_lshl_add_u64 v[6:7], v[6:7], 2, s[2:3]
	v_lshl_add_u64 v[6:7], v[8:9], 2, v[6:7]
	global_load_b32 v6, v[6:7], off
	s_wait_loadcnt 0x0
	v_div_scale_f32 v7, null, v6, v6, v5
	v_div_scale_f32 v10, vcc_lo, v5, v6, v5
	s_delay_alu instid0(VALU_DEP_2) | instskip(SKIP_1) | instid1(TRANS32_DEP_1)
	v_rcp_f32_e32 v8, v7
	v_nop
	v_fma_f32 v9, -v7, v8, 1.0
	s_delay_alu instid0(VALU_DEP_1) | instskip(NEXT) | instid1(VALU_DEP_1)
	v_fmac_f32_e32 v8, v9, v8
	v_mul_f32_e32 v9, v10, v8
	s_delay_alu instid0(VALU_DEP_1) | instskip(NEXT) | instid1(VALU_DEP_1)
	v_fma_f32 v11, -v7, v9, v10
	v_fmac_f32_e32 v9, v11, v8
	s_delay_alu instid0(VALU_DEP_1) | instskip(NEXT) | instid1(VALU_DEP_1)
	v_fma_f32 v4, -v7, v9, v10
	v_div_fmas_f32 v4, v4, v8, v9
	s_delay_alu instid0(VALU_DEP_1)
	v_div_fixup_f32 v4, v4, v6, v5
	global_store_b32 v[0:1], v4, off
.LBB32_4:
	s_endpgm
	.section	.rodata,"a",@progbits
	.p2align	6, 0x0
	.amdhsa_kernel _ZL19k_bin_bcast_unravelIXadL_ZL6op_divffEEfffJPKfEEvPKT0_PKT1_PT2_15HIP_vector_typeIjLj3EESB_SB_jSB_SB_SB_SB_SB_SB_iiiiiiiiiiiDpT3_
		.amdhsa_group_segment_fixed_size 0
		.amdhsa_private_segment_fixed_size 0
		.amdhsa_kernarg_size 448
		.amdhsa_user_sgpr_count 2
		.amdhsa_user_sgpr_dispatch_ptr 0
		.amdhsa_user_sgpr_queue_ptr 0
		.amdhsa_user_sgpr_kernarg_segment_ptr 1
		.amdhsa_user_sgpr_dispatch_id 0
		.amdhsa_user_sgpr_kernarg_preload_length 0
		.amdhsa_user_sgpr_kernarg_preload_offset 0
		.amdhsa_user_sgpr_private_segment_size 0
		.amdhsa_wavefront_size32 1
		.amdhsa_uses_dynamic_stack 0
		.amdhsa_enable_private_segment 0
		.amdhsa_system_sgpr_workgroup_id_x 1
		.amdhsa_system_sgpr_workgroup_id_y 0
		.amdhsa_system_sgpr_workgroup_id_z 0
		.amdhsa_system_sgpr_workgroup_info 0
		.amdhsa_system_vgpr_workitem_id 0
		.amdhsa_next_free_vgpr 12
		.amdhsa_next_free_sgpr 27
		.amdhsa_named_barrier_count 0
		.amdhsa_reserve_vcc 1
		.amdhsa_float_round_mode_32 0
		.amdhsa_float_round_mode_16_64 0
		.amdhsa_float_denorm_mode_32 3
		.amdhsa_float_denorm_mode_16_64 3
		.amdhsa_fp16_overflow 0
		.amdhsa_memory_ordered 1
		.amdhsa_forward_progress 1
		.amdhsa_inst_pref_size 7
		.amdhsa_round_robin_scheduling 0
		.amdhsa_exception_fp_ieee_invalid_op 0
		.amdhsa_exception_fp_denorm_src 0
		.amdhsa_exception_fp_ieee_div_zero 0
		.amdhsa_exception_fp_ieee_overflow 0
		.amdhsa_exception_fp_ieee_underflow 0
		.amdhsa_exception_fp_ieee_inexact 0
		.amdhsa_exception_int_div_zero 0
	.end_amdhsa_kernel
	.section	.text._ZL19k_bin_bcast_unravelIXadL_ZL6op_divffEEfffJPKfEEvPKT0_PKT1_PT2_15HIP_vector_typeIjLj3EESB_SB_jSB_SB_SB_SB_SB_SB_iiiiiiiiiiiDpT3_,"axG",@progbits,_ZL19k_bin_bcast_unravelIXadL_ZL6op_divffEEfffJPKfEEvPKT0_PKT1_PT2_15HIP_vector_typeIjLj3EESB_SB_jSB_SB_SB_SB_SB_SB_iiiiiiiiiiiDpT3_,comdat
.Lfunc_end32:
	.size	_ZL19k_bin_bcast_unravelIXadL_ZL6op_divffEEfffJPKfEEvPKT0_PKT1_PT2_15HIP_vector_typeIjLj3EESB_SB_jSB_SB_SB_SB_SB_SB_iiiiiiiiiiiDpT3_, .Lfunc_end32-_ZL19k_bin_bcast_unravelIXadL_ZL6op_divffEEfffJPKfEEvPKT0_PKT1_PT2_15HIP_vector_typeIjLj3EESB_SB_jSB_SB_SB_SB_SB_SB_iiiiiiiiiiiDpT3_
                                        ; -- End function
	.set _ZL19k_bin_bcast_unravelIXadL_ZL6op_divffEEfffJPKfEEvPKT0_PKT1_PT2_15HIP_vector_typeIjLj3EESB_SB_jSB_SB_SB_SB_SB_SB_iiiiiiiiiiiDpT3_.num_vgpr, 12
	.set _ZL19k_bin_bcast_unravelIXadL_ZL6op_divffEEfffJPKfEEvPKT0_PKT1_PT2_15HIP_vector_typeIjLj3EESB_SB_jSB_SB_SB_SB_SB_SB_iiiiiiiiiiiDpT3_.num_agpr, 0
	.set _ZL19k_bin_bcast_unravelIXadL_ZL6op_divffEEfffJPKfEEvPKT0_PKT1_PT2_15HIP_vector_typeIjLj3EESB_SB_jSB_SB_SB_SB_SB_SB_iiiiiiiiiiiDpT3_.numbered_sgpr, 27
	.set _ZL19k_bin_bcast_unravelIXadL_ZL6op_divffEEfffJPKfEEvPKT0_PKT1_PT2_15HIP_vector_typeIjLj3EESB_SB_jSB_SB_SB_SB_SB_SB_iiiiiiiiiiiDpT3_.num_named_barrier, 0
	.set _ZL19k_bin_bcast_unravelIXadL_ZL6op_divffEEfffJPKfEEvPKT0_PKT1_PT2_15HIP_vector_typeIjLj3EESB_SB_jSB_SB_SB_SB_SB_SB_iiiiiiiiiiiDpT3_.private_seg_size, 0
	.set _ZL19k_bin_bcast_unravelIXadL_ZL6op_divffEEfffJPKfEEvPKT0_PKT1_PT2_15HIP_vector_typeIjLj3EESB_SB_jSB_SB_SB_SB_SB_SB_iiiiiiiiiiiDpT3_.uses_vcc, 1
	.set _ZL19k_bin_bcast_unravelIXadL_ZL6op_divffEEfffJPKfEEvPKT0_PKT1_PT2_15HIP_vector_typeIjLj3EESB_SB_jSB_SB_SB_SB_SB_SB_iiiiiiiiiiiDpT3_.uses_flat_scratch, 0
	.set _ZL19k_bin_bcast_unravelIXadL_ZL6op_divffEEfffJPKfEEvPKT0_PKT1_PT2_15HIP_vector_typeIjLj3EESB_SB_jSB_SB_SB_SB_SB_SB_iiiiiiiiiiiDpT3_.has_dyn_sized_stack, 0
	.set _ZL19k_bin_bcast_unravelIXadL_ZL6op_divffEEfffJPKfEEvPKT0_PKT1_PT2_15HIP_vector_typeIjLj3EESB_SB_jSB_SB_SB_SB_SB_SB_iiiiiiiiiiiDpT3_.has_recursion, 0
	.set _ZL19k_bin_bcast_unravelIXadL_ZL6op_divffEEfffJPKfEEvPKT0_PKT1_PT2_15HIP_vector_typeIjLj3EESB_SB_jSB_SB_SB_SB_SB_SB_iiiiiiiiiiiDpT3_.has_indirect_call, 0
	.section	.AMDGPU.csdata,"",@progbits
; Kernel info:
; codeLenInByte = 832
; TotalNumSgprs: 29
; NumVgprs: 12
; ScratchSize: 0
; MemoryBound: 0
; FloatMode: 240
; IeeeMode: 1
; LDSByteSize: 0 bytes/workgroup (compile time only)
; SGPRBlocks: 0
; VGPRBlocks: 0
; NumSGPRsForWavesPerEU: 29
; NumVGPRsForWavesPerEU: 12
; NamedBarCnt: 0
; Occupancy: 16
; WaveLimiterHint : 1
; COMPUTE_PGM_RSRC2:SCRATCH_EN: 0
; COMPUTE_PGM_RSRC2:USER_SGPR: 2
; COMPUTE_PGM_RSRC2:TRAP_HANDLER: 0
; COMPUTE_PGM_RSRC2:TGID_X_EN: 1
; COMPUTE_PGM_RSRC2:TGID_Y_EN: 0
; COMPUTE_PGM_RSRC2:TGID_Z_EN: 0
; COMPUTE_PGM_RSRC2:TIDIG_COMP_CNT: 0
	.section	.text._ZL11k_bin_bcastIXadL_ZL6op_divffEEfffJPKfEEvPKT0_PKT1_PT2_iii15HIP_vector_typeIjLj3EESB_SB_SB_SB_iiiiiiiiiiiDpT3_,"axG",@progbits,_ZL11k_bin_bcastIXadL_ZL6op_divffEEfffJPKfEEvPKT0_PKT1_PT2_iii15HIP_vector_typeIjLj3EESB_SB_SB_SB_iiiiiiiiiiiDpT3_,comdat
	.globl	_ZL11k_bin_bcastIXadL_ZL6op_divffEEfffJPKfEEvPKT0_PKT1_PT2_iii15HIP_vector_typeIjLj3EESB_SB_SB_SB_iiiiiiiiiiiDpT3_ ; -- Begin function _ZL11k_bin_bcastIXadL_ZL6op_divffEEfffJPKfEEvPKT0_PKT1_PT2_iii15HIP_vector_typeIjLj3EESB_SB_SB_SB_iiiiiiiiiiiDpT3_
	.p2align	8
	.type	_ZL11k_bin_bcastIXadL_ZL6op_divffEEfffJPKfEEvPKT0_PKT1_PT2_iii15HIP_vector_typeIjLj3EESB_SB_SB_SB_iiiiiiiiiiiDpT3_,@function
_ZL11k_bin_bcastIXadL_ZL6op_divffEEfffJPKfEEvPKT0_PKT1_PT2_iii15HIP_vector_typeIjLj3EESB_SB_SB_SB_iiiiiiiiiiiDpT3_: ; @_ZL11k_bin_bcastIXadL_ZL6op_divffEEfffJPKfEEvPKT0_PKT1_PT2_iii15HIP_vector_typeIjLj3EESB_SB_SB_SB_iiiiiiiiiiiDpT3_
; %bb.0:
	s_load_b64 s[2:3], s[0:1], 0xa4
	s_bfe_u32 s5, ttmp6, 0x40014
	s_bfe_u32 s16, ttmp6, 0x40010
	;; [unrolled: 1-line block ×3, first 2 shown]
	s_lshr_b32 s4, ttmp7, 16
	s_and_b32 s7, ttmp7, 0xffff
	s_add_co_i32 s5, s5, 1
	s_add_co_i32 s16, s16, 1
	s_load_b256 s[8:15], s[0:1], 0x18
	s_add_co_i32 s19, s19, 1
	s_bfe_u32 s6, ttmp6, 0x40008
	s_bfe_u32 s17, ttmp6, 0x40004
	s_mul_i32 s5, s4, s5
	s_mul_i32 s16, s7, s16
	s_and_b32 s18, ttmp6, 15
	s_mul_i32 s19, ttmp9, s19
	s_add_co_i32 s6, s6, s5
	s_add_co_i32 s17, s17, s16
	;; [unrolled: 1-line block ×3, first 2 shown]
	v_bfe_u32 v1, v0, 20, 10
	s_wait_kmcnt 0x0
	s_lshr_b32 s16, s2, 16
	s_and_b32 s5, s2, 0xffff
	s_getreg_b32 s2, hwreg(HW_REG_IB_STS2, 6, 4)
	s_and_b32 s3, s3, 0xffff
	s_cmp_eq_u32 s2, 0
	v_and_b32_e32 v3, 0x3ff, v0
	s_cselect_b32 s2, s4, s6
	v_bfe_u32 v4, v0, 10, 10
	v_mad_u32 v2, s2, s3, v1
	s_cselect_b32 s2, ttmp9, s18
	s_cselect_b32 s3, s7, s17
	v_mad_u32 v0, s2, s5, v3
	v_mad_u32 v3, s3, s16, v4
	s_delay_alu instid0(VALU_DEP_3) | instskip(NEXT) | instid1(VALU_DEP_3)
	v_mul_hi_u32 v1, v2, s11
	v_cmp_gt_u32_e32 vcc_lo, s8, v0
	s_delay_alu instid0(VALU_DEP_3) | instskip(SKIP_2) | instid1(VALU_DEP_1)
	v_cmp_gt_u32_e64 s2, s9, v3
	s_and_b32 s2, vcc_lo, s2
	v_add_nc_u32_e32 v1, v2, v1
	v_lshrrev_b32_e32 v1, s12, v1
	s_delay_alu instid0(VALU_DEP_1) | instskip(SKIP_3) | instid1(VALU_DEP_1)
	v_mul_lo_u32 v5, v1, s13
	v_cmp_gt_u32_e64 s3, s10, v1
	s_and_b32 s2, s2, s3
	v_sub_nc_u32_e32 v2, v2, v5
	v_cmp_gt_u32_e64 s4, s13, v2
	s_and_b32 s2, s2, s4
	s_delay_alu instid0(SALU_CYCLE_1)
	s_and_saveexec_b32 s3, s2
	s_cbranch_execz .LBB33_6
; %bb.1:
	v_cmp_gt_i32_e32 vcc_lo, s8, v0
	s_and_b32 exec_lo, exec_lo, vcc_lo
	s_cbranch_execz .LBB33_6
; %bb.2:
	s_clause 0x4
	s_load_b256 s[24:31], s[0:1], 0x3c
	s_load_b32 s2, s[0:1], 0x5c
	s_load_b256 s[16:23], s[0:1], 0x60
	s_load_b96 s[36:38], s[0:1], 0x80
	s_load_b64 s[6:7], s[0:1], 0x90
	s_wait_kmcnt 0x0
	v_mul_hi_u32 v4, s30, v2
	v_mul_hi_u32 v5, s27, v1
	;; [unrolled: 1-line block ×3, first 2 shown]
	v_mul_lo_u32 v7, v3, s20
	v_mul_lo_u32 v8, v3, s16
	s_delay_alu instid0(VALU_DEP_4) | instskip(NEXT) | instid1(VALU_DEP_3)
	v_dual_add_nc_u32 v4, v2, v4 :: v_dual_add_nc_u32 v5, v1, v5
	v_mad_u32 v7, v1, s21, v7
	s_delay_alu instid0(VALU_DEP_3) | instskip(NEXT) | instid1(VALU_DEP_3)
	v_mad_u32 v8, v1, s17, v8
	v_dual_lshrrev_b32 v4, s31, v4 :: v_dual_lshrrev_b32 v5, s28, v5
	s_delay_alu instid0(VALU_DEP_1) | instskip(SKIP_1) | instid1(VALU_DEP_3)
	v_mul_lo_u32 v4, v4, s2
	v_add_nc_u32_e32 v6, v3, v6
	v_mul_lo_u32 v5, v5, s29
	s_add_nc_u64 s[2:3], s[0:1], 0x98
	s_load_b64 s[10:11], s[0:1], 0x0
	s_load_b32 s4, s[2:3], 0x0
	s_clause 0x1
	s_load_b64 s[12:13], s[0:1], 0x10
	s_load_b32 s9, s[0:1], 0x38
	s_wait_xcnt 0x0
	s_mov_b32 s1, 0
	s_mov_b32 s0, s14
	v_dual_sub_nc_u32 v4, v2, v4 :: v_dual_lshrrev_b32 v6, s25, v6
	v_dual_sub_nc_u32 v5, v1, v5 :: v_dual_mov_b32 v1, 0
	s_delay_alu instid0(VALU_DEP_2) | instskip(NEXT) | instid1(VALU_DEP_3)
	v_mul_lo_u32 v4, v4, s38
	v_mul_lo_u32 v6, v6, s26
	s_delay_alu instid0(VALU_DEP_3)
	v_mov_b32_e32 v9, v1
	s_wait_kmcnt 0x0
	s_cmp_lg_u64 s[10:11], 0
	s_mul_i32 s2, s4, s5
	s_cselect_b32 s3, -1, 0
	s_mul_i32 s4, s2, s19
	s_delay_alu instid0(VALU_DEP_3) | instskip(NEXT) | instid1(VALU_DEP_3)
	v_mad_u32 v5, v5, s37, v4
	v_sub_nc_u32_e32 v3, v3, v6
	v_mad_u32 v4, v2, s22, v7
	v_mad_u32 v6, v2, s18, v8
	v_mul_lo_u32 v2, s19, v0
	s_sub_co_i32 s5, 0, s9
	v_mov_b32_e32 v7, v1
	v_mad_u32 v8, v3, s36, v5
	v_mov_b32_e32 v5, v1
	s_delay_alu instid0(VALU_DEP_3) | instskip(NEXT) | instid1(VALU_DEP_2)
	v_lshl_add_u64 v[6:7], v[6:7], 2, s[12:13]
	v_lshl_add_u64 v[4:5], v[4:5], 2, s[10:11]
	s_delay_alu instid0(VALU_DEP_4)
	v_lshl_add_u64 v[8:9], v[8:9], 2, s[6:7]
	s_mov_b32 s6, s1
	s_branch .LBB33_4
.LBB33_3:                               ;   in Loop: Header=BB33_4 Depth=1
	s_wait_xcnt 0x0
	v_mul_u64_e32 v[10:11], s[0:1], v[0:1]
	s_delay_alu instid0(VALU_DEP_1) | instskip(NEXT) | instid1(VALU_DEP_1)
	v_dual_add_nc_u32 v2, s4, v2 :: v_dual_add_nc_u32 v10, v0, v11
	v_dual_mov_b32 v11, v1 :: v_dual_lshrrev_b32 v10, s15, v10
	s_delay_alu instid0(VALU_DEP_1) | instskip(NEXT) | instid1(VALU_DEP_1)
	v_mad_u32 v10, s5, v10, v0
	v_mul_lo_u32 v10, v10, s23
	s_delay_alu instid0(VALU_DEP_1)
	v_lshl_add_u64 v[10:11], v[10:11], 2, v[8:9]
	global_load_b32 v12, v[10:11], off
	s_wait_loadcnt 0x0
	s_wait_xcnt 0x0
	v_div_scale_f32 v10, null, v12, v12, v3
	v_div_scale_f32 v14, vcc_lo, v3, v12, v3
	s_delay_alu instid0(VALU_DEP_2) | instskip(SKIP_1) | instid1(TRANS32_DEP_1)
	v_rcp_f32_e32 v13, v10
	v_nop
	v_fma_f32 v11, -v10, v13, 1.0
	s_delay_alu instid0(VALU_DEP_1) | instskip(NEXT) | instid1(VALU_DEP_1)
	v_fmac_f32_e32 v13, v11, v13
	v_mul_f32_e32 v15, v14, v13
	s_delay_alu instid0(VALU_DEP_1) | instskip(NEXT) | instid1(VALU_DEP_1)
	v_fma_f32 v11, -v10, v15, v14
	v_dual_fmac_f32 v15, v11, v13 :: v_dual_ashrrev_i32 v11, 31, v0
	s_delay_alu instid0(VALU_DEP_1) | instskip(SKIP_1) | instid1(VALU_DEP_2)
	v_dual_fma_f32 v14, -v10, v15, v14 :: v_dual_mov_b32 v10, v0
	v_add_nc_u32_e32 v0, s2, v0
	v_div_fmas_f32 v13, v14, v13, v15
	s_delay_alu instid0(VALU_DEP_3) | instskip(NEXT) | instid1(VALU_DEP_3)
	v_lshl_add_u64 v[10:11], v[10:11], 2, v[6:7]
	v_cmp_le_i32_e32 vcc_lo, s8, v0
	s_delay_alu instid0(VALU_DEP_3)
	v_div_fixup_f32 v3, v13, v12, v3
	s_or_b32 s6, vcc_lo, s6
	global_store_b32 v[10:11], v3, off
	s_wait_xcnt 0x0
	s_and_not1_b32 exec_lo, exec_lo, s6
	s_cbranch_execz .LBB33_6
.LBB33_4:                               ; =>This Inner Loop Header: Depth=1
	v_mov_b32_e32 v3, 0
	s_and_not1_b32 vcc_lo, exec_lo, s3
	s_cbranch_vccnz .LBB33_3
; %bb.5:                                ;   in Loop: Header=BB33_4 Depth=1
	v_ashrrev_i32_e32 v3, 31, v2
	s_delay_alu instid0(VALU_DEP_1)
	v_lshl_add_u64 v[10:11], v[2:3], 2, v[4:5]
	global_load_b32 v3, v[10:11], off
	s_branch .LBB33_3
.LBB33_6:
	s_endpgm
	.section	.rodata,"a",@progbits
	.p2align	6, 0x0
	.amdhsa_kernel _ZL11k_bin_bcastIXadL_ZL6op_divffEEfffJPKfEEvPKT0_PKT1_PT2_iii15HIP_vector_typeIjLj3EESB_SB_SB_SB_iiiiiiiiiiiDpT3_
		.amdhsa_group_segment_fixed_size 0
		.amdhsa_private_segment_fixed_size 0
		.amdhsa_kernarg_size 408
		.amdhsa_user_sgpr_count 2
		.amdhsa_user_sgpr_dispatch_ptr 0
		.amdhsa_user_sgpr_queue_ptr 0
		.amdhsa_user_sgpr_kernarg_segment_ptr 1
		.amdhsa_user_sgpr_dispatch_id 0
		.amdhsa_user_sgpr_kernarg_preload_length 0
		.amdhsa_user_sgpr_kernarg_preload_offset 0
		.amdhsa_user_sgpr_private_segment_size 0
		.amdhsa_wavefront_size32 1
		.amdhsa_uses_dynamic_stack 0
		.amdhsa_enable_private_segment 0
		.amdhsa_system_sgpr_workgroup_id_x 1
		.amdhsa_system_sgpr_workgroup_id_y 1
		.amdhsa_system_sgpr_workgroup_id_z 1
		.amdhsa_system_sgpr_workgroup_info 0
		.amdhsa_system_vgpr_workitem_id 2
		.amdhsa_next_free_vgpr 16
		.amdhsa_next_free_sgpr 39
		.amdhsa_named_barrier_count 0
		.amdhsa_reserve_vcc 1
		.amdhsa_float_round_mode_32 0
		.amdhsa_float_round_mode_16_64 0
		.amdhsa_float_denorm_mode_32 3
		.amdhsa_float_denorm_mode_16_64 3
		.amdhsa_fp16_overflow 0
		.amdhsa_memory_ordered 1
		.amdhsa_forward_progress 1
		.amdhsa_inst_pref_size 8
		.amdhsa_round_robin_scheduling 0
		.amdhsa_exception_fp_ieee_invalid_op 0
		.amdhsa_exception_fp_denorm_src 0
		.amdhsa_exception_fp_ieee_div_zero 0
		.amdhsa_exception_fp_ieee_overflow 0
		.amdhsa_exception_fp_ieee_underflow 0
		.amdhsa_exception_fp_ieee_inexact 0
		.amdhsa_exception_int_div_zero 0
	.end_amdhsa_kernel
	.section	.text._ZL11k_bin_bcastIXadL_ZL6op_divffEEfffJPKfEEvPKT0_PKT1_PT2_iii15HIP_vector_typeIjLj3EESB_SB_SB_SB_iiiiiiiiiiiDpT3_,"axG",@progbits,_ZL11k_bin_bcastIXadL_ZL6op_divffEEfffJPKfEEvPKT0_PKT1_PT2_iii15HIP_vector_typeIjLj3EESB_SB_SB_SB_iiiiiiiiiiiDpT3_,comdat
.Lfunc_end33:
	.size	_ZL11k_bin_bcastIXadL_ZL6op_divffEEfffJPKfEEvPKT0_PKT1_PT2_iii15HIP_vector_typeIjLj3EESB_SB_SB_SB_iiiiiiiiiiiDpT3_, .Lfunc_end33-_ZL11k_bin_bcastIXadL_ZL6op_divffEEfffJPKfEEvPKT0_PKT1_PT2_iii15HIP_vector_typeIjLj3EESB_SB_SB_SB_iiiiiiiiiiiDpT3_
                                        ; -- End function
	.set _ZL11k_bin_bcastIXadL_ZL6op_divffEEfffJPKfEEvPKT0_PKT1_PT2_iii15HIP_vector_typeIjLj3EESB_SB_SB_SB_iiiiiiiiiiiDpT3_.num_vgpr, 16
	.set _ZL11k_bin_bcastIXadL_ZL6op_divffEEfffJPKfEEvPKT0_PKT1_PT2_iii15HIP_vector_typeIjLj3EESB_SB_SB_SB_iiiiiiiiiiiDpT3_.num_agpr, 0
	.set _ZL11k_bin_bcastIXadL_ZL6op_divffEEfffJPKfEEvPKT0_PKT1_PT2_iii15HIP_vector_typeIjLj3EESB_SB_SB_SB_iiiiiiiiiiiDpT3_.numbered_sgpr, 39
	.set _ZL11k_bin_bcastIXadL_ZL6op_divffEEfffJPKfEEvPKT0_PKT1_PT2_iii15HIP_vector_typeIjLj3EESB_SB_SB_SB_iiiiiiiiiiiDpT3_.num_named_barrier, 0
	.set _ZL11k_bin_bcastIXadL_ZL6op_divffEEfffJPKfEEvPKT0_PKT1_PT2_iii15HIP_vector_typeIjLj3EESB_SB_SB_SB_iiiiiiiiiiiDpT3_.private_seg_size, 0
	.set _ZL11k_bin_bcastIXadL_ZL6op_divffEEfffJPKfEEvPKT0_PKT1_PT2_iii15HIP_vector_typeIjLj3EESB_SB_SB_SB_iiiiiiiiiiiDpT3_.uses_vcc, 1
	.set _ZL11k_bin_bcastIXadL_ZL6op_divffEEfffJPKfEEvPKT0_PKT1_PT2_iii15HIP_vector_typeIjLj3EESB_SB_SB_SB_iiiiiiiiiiiDpT3_.uses_flat_scratch, 0
	.set _ZL11k_bin_bcastIXadL_ZL6op_divffEEfffJPKfEEvPKT0_PKT1_PT2_iii15HIP_vector_typeIjLj3EESB_SB_SB_SB_iiiiiiiiiiiDpT3_.has_dyn_sized_stack, 0
	.set _ZL11k_bin_bcastIXadL_ZL6op_divffEEfffJPKfEEvPKT0_PKT1_PT2_iii15HIP_vector_typeIjLj3EESB_SB_SB_SB_iiiiiiiiiiiDpT3_.has_recursion, 0
	.set _ZL11k_bin_bcastIXadL_ZL6op_divffEEfffJPKfEEvPKT0_PKT1_PT2_iii15HIP_vector_typeIjLj3EESB_SB_SB_SB_iiiiiiiiiiiDpT3_.has_indirect_call, 0
	.section	.AMDGPU.csdata,"",@progbits
; Kernel info:
; codeLenInByte = 980
; TotalNumSgprs: 41
; NumVgprs: 16
; ScratchSize: 0
; MemoryBound: 0
; FloatMode: 240
; IeeeMode: 1
; LDSByteSize: 0 bytes/workgroup (compile time only)
; SGPRBlocks: 0
; VGPRBlocks: 0
; NumSGPRsForWavesPerEU: 41
; NumVGPRsForWavesPerEU: 16
; NamedBarCnt: 0
; Occupancy: 16
; WaveLimiterHint : 1
; COMPUTE_PGM_RSRC2:SCRATCH_EN: 0
; COMPUTE_PGM_RSRC2:USER_SGPR: 2
; COMPUTE_PGM_RSRC2:TRAP_HANDLER: 0
; COMPUTE_PGM_RSRC2:TGID_X_EN: 1
; COMPUTE_PGM_RSRC2:TGID_Y_EN: 1
; COMPUTE_PGM_RSRC2:TGID_Z_EN: 1
; COMPUTE_PGM_RSRC2:TIDIG_COMP_CNT: 2
	.section	.text._ZL19k_bin_bcast_unravelIXadL_ZL6op_divffEE6__halfS0_S0_JPKS0_EEvPKT0_PKT1_PT2_15HIP_vector_typeIjLj3EESC_SC_jSC_SC_SC_SC_SC_SC_iiiiiiiiiiiDpT3_,"axG",@progbits,_ZL19k_bin_bcast_unravelIXadL_ZL6op_divffEE6__halfS0_S0_JPKS0_EEvPKT0_PKT1_PT2_15HIP_vector_typeIjLj3EESC_SC_jSC_SC_SC_SC_SC_SC_iiiiiiiiiiiDpT3_,comdat
	.globl	_ZL19k_bin_bcast_unravelIXadL_ZL6op_divffEE6__halfS0_S0_JPKS0_EEvPKT0_PKT1_PT2_15HIP_vector_typeIjLj3EESC_SC_jSC_SC_SC_SC_SC_SC_iiiiiiiiiiiDpT3_ ; -- Begin function _ZL19k_bin_bcast_unravelIXadL_ZL6op_divffEE6__halfS0_S0_JPKS0_EEvPKT0_PKT1_PT2_15HIP_vector_typeIjLj3EESC_SC_jSC_SC_SC_SC_SC_SC_iiiiiiiiiiiDpT3_
	.p2align	8
	.type	_ZL19k_bin_bcast_unravelIXadL_ZL6op_divffEE6__halfS0_S0_JPKS0_EEvPKT0_PKT1_PT2_15HIP_vector_typeIjLj3EESC_SC_jSC_SC_SC_SC_SC_SC_iiiiiiiiiiiDpT3_,@function
_ZL19k_bin_bcast_unravelIXadL_ZL6op_divffEE6__halfS0_S0_JPKS0_EEvPKT0_PKT1_PT2_15HIP_vector_typeIjLj3EESC_SC_jSC_SC_SC_SC_SC_SC_iiiiiiiiiiiDpT3_: ; @_ZL19k_bin_bcast_unravelIXadL_ZL6op_divffEE6__halfS0_S0_JPKS0_EEvPKT0_PKT1_PT2_15HIP_vector_typeIjLj3EESC_SC_jSC_SC_SC_SC_SC_SC_iiiiiiiiiiiDpT3_
; %bb.0:
	s_load_b32 s2, s[0:1], 0xcc
	s_bfe_u32 s3, ttmp6, 0x4000c
	s_load_b256 s[4:11], s[0:1], 0x38
	s_add_co_i32 s3, s3, 1
	s_and_b32 s12, ttmp6, 15
	s_mul_i32 s3, ttmp9, s3
	s_getreg_b32 s13, hwreg(HW_REG_IB_STS2, 6, 4)
	s_add_co_i32 s12, s12, s3
	s_wait_kmcnt 0x0
	s_and_b32 s2, s2, 0xffff
	s_cmp_eq_u32 s13, 0
	s_cselect_b32 s3, ttmp9, s12
	s_delay_alu instid0(SALU_CYCLE_1) | instskip(SKIP_1) | instid1(VALU_DEP_1)
	v_mad_u32 v0, s3, s2, v0
	s_load_b32 s2, s[0:1], 0x2c
	v_mul_hi_u32 v1, v0, s6
	s_delay_alu instid0(VALU_DEP_1) | instskip(NEXT) | instid1(VALU_DEP_1)
	v_add_nc_u32_e32 v1, v0, v1
	v_lshrrev_b32_e32 v2, s7, v1
	s_delay_alu instid0(VALU_DEP_1) | instskip(NEXT) | instid1(VALU_DEP_1)
	v_mul_lo_u32 v1, v2, s8
	v_sub_nc_u32_e32 v0, v0, v1
	s_delay_alu instid0(VALU_DEP_1) | instskip(NEXT) | instid1(VALU_DEP_1)
	v_mul_hi_u32 v1, v0, s9
	v_add_nc_u32_e32 v1, v0, v1
	s_delay_alu instid0(VALU_DEP_1) | instskip(SKIP_1) | instid1(VALU_DEP_1)
	v_lshrrev_b32_e32 v1, s10, v1
	s_load_b96 s[8:10], s[0:1], 0x18
	v_mul_lo_u32 v3, v1, s11
	s_delay_alu instid0(VALU_DEP_1) | instskip(SKIP_1) | instid1(VALU_DEP_1)
	v_sub_nc_u32_e32 v0, v0, v3
	s_wait_kmcnt 0x0
	v_mul_hi_u32 v3, v0, s8
	s_delay_alu instid0(VALU_DEP_1) | instskip(NEXT) | instid1(VALU_DEP_1)
	v_add_nc_u32_e32 v3, v0, v3
	v_lshrrev_b32_e32 v4, s9, v3
	v_cmp_gt_u32_e64 s3, s4, v1
	v_cmp_gt_u32_e64 s4, s5, v2
	s_delay_alu instid0(VALU_DEP_3) | instskip(SKIP_1) | instid1(VALU_DEP_2)
	v_mul_lo_u32 v3, v4, s10
	v_cmp_gt_u32_e64 s2, s2, v4
	v_sub_nc_u32_e32 v0, v0, v3
	s_delay_alu instid0(VALU_DEP_1) | instskip(SKIP_1) | instid1(SALU_CYCLE_1)
	v_cmp_gt_u32_e32 vcc_lo, s10, v0
	s_and_b32 s2, vcc_lo, s2
	s_and_b32 s2, s2, s3
	s_delay_alu instid0(SALU_CYCLE_1) | instskip(NEXT) | instid1(SALU_CYCLE_1)
	s_and_b32 s2, s4, s2
	s_and_saveexec_b32 s3, s2
	s_cbranch_execz .LBB34_4
; %bb.1:
	s_clause 0x4
	s_load_b64 s[2:3], s[0:1], 0x0
	s_load_b96 s[24:26], s[0:1], 0xa8
	s_load_b256 s[4:11], s[0:1], 0x88
	s_load_b128 s[20:23], s[0:1], 0x78
	s_load_b256 s[12:19], s[0:1], 0x58
	v_dual_mov_b32 v3, 0 :: v_dual_mov_b32 v5, 0
	s_wait_kmcnt 0x0
	s_cmp_eq_u64 s[2:3], 0
	s_cbranch_scc1 .LBB34_3
; %bb.2:
	v_mul_lo_u32 v5, v2, s10
	v_mov_b32_e32 v7, 0
	s_delay_alu instid0(VALU_DEP_2) | instskip(NEXT) | instid1(VALU_DEP_1)
	v_mad_u32 v5, v1, s9, v5
	v_mad_u32 v6, v4, s8, v5
	s_delay_alu instid0(VALU_DEP_1) | instskip(SKIP_1) | instid1(VALU_DEP_1)
	v_lshl_add_u64 v[8:9], v[6:7], 1, s[2:3]
	v_mul_lo_u32 v6, v0, s7
	v_lshl_add_u64 v[6:7], v[6:7], 1, v[8:9]
	global_load_u16 v5, v[6:7], off
	s_wait_loadcnt 0x0
	v_cvt_f32_f16_e32 v5, v5
.LBB34_3:
	v_mul_hi_u32 v6, s21, v2
	v_mul_hi_u32 v7, s18, v1
	v_mul_hi_u32 v8, s15, v4
	v_mul_hi_u32 v9, s12, v0
	s_load_b64 s[2:3], s[0:1], 0xb8
	s_delay_alu instid0(VALU_DEP_3) | instskip(SKIP_2) | instid1(VALU_DEP_3)
	v_dual_add_nc_u32 v6, v2, v6 :: v_dual_add_nc_u32 v7, v1, v7
	s_wait_xcnt 0x0
	s_load_b64 s[0:1], s[0:1], 0x10
	v_add_nc_u32_e32 v8, v4, v8
	s_delay_alu instid0(VALU_DEP_2) | instskip(NEXT) | instid1(VALU_DEP_2)
	v_dual_add_nc_u32 v9, v0, v9 :: v_dual_lshrrev_b32 v6, s22, v6
	v_dual_lshrrev_b32 v7, s19, v7 :: v_dual_lshrrev_b32 v8, s16, v8
	s_delay_alu instid0(VALU_DEP_2) | instskip(NEXT) | instid1(VALU_DEP_2)
	v_mul_lo_u32 v6, v6, s23
	v_mul_lo_u32 v7, v7, s20
	s_delay_alu instid0(VALU_DEP_4) | instskip(NEXT) | instid1(VALU_DEP_4)
	v_lshrrev_b32_e32 v9, s13, v9
	v_mul_lo_u32 v8, v8, s17
	s_delay_alu instid0(VALU_DEP_3) | instskip(NEXT) | instid1(VALU_DEP_3)
	v_dual_sub_nc_u32 v6, v2, v6 :: v_dual_sub_nc_u32 v7, v1, v7
	v_mul_lo_u32 v9, v9, s14
	v_mul_lo_u32 v2, v2, s6
	s_delay_alu instid0(VALU_DEP_3) | instskip(NEXT) | instid1(VALU_DEP_2)
	v_mul_lo_u32 v6, v6, s26
	v_mad_u32 v1, v1, s5, v2
	s_delay_alu instid0(VALU_DEP_2) | instskip(SKIP_2) | instid1(VALU_DEP_1)
	v_mad_u32 v6, v7, s25, v6
	v_sub_nc_u32_e32 v7, v4, v8
	v_sub_nc_u32_e32 v8, v0, v9
	v_mul_lo_u32 v8, v8, s11
	s_delay_alu instid0(VALU_DEP_1) | instskip(NEXT) | instid1(VALU_DEP_4)
	v_ashrrev_i32_e32 v9, 31, v8
	v_mad_u32 v6, v7, s24, v6
	s_delay_alu instid0(VALU_DEP_1) | instskip(SKIP_1) | instid1(VALU_DEP_1)
	v_ashrrev_i32_e32 v7, 31, v6
	s_wait_kmcnt 0x0
	v_lshl_add_u64 v[6:7], v[6:7], 1, s[2:3]
	s_delay_alu instid0(VALU_DEP_1) | instskip(SKIP_3) | instid1(VALU_DEP_1)
	v_lshl_add_u64 v[6:7], v[8:9], 1, v[6:7]
	global_load_u16 v6, v[6:7], off
	s_wait_loadcnt 0x0
	v_cvt_f32_f16_e32 v6, v6
	v_div_scale_f32 v7, null, v6, v6, v5
	v_div_scale_f32 v10, vcc_lo, v5, v6, v5
	s_delay_alu instid0(VALU_DEP_2) | instskip(SKIP_1) | instid1(TRANS32_DEP_1)
	v_rcp_f32_e32 v8, v7
	v_nop
	v_fma_f32 v9, -v7, v8, 1.0
	s_delay_alu instid0(VALU_DEP_1) | instskip(NEXT) | instid1(VALU_DEP_1)
	v_fmac_f32_e32 v8, v9, v8
	v_mul_f32_e32 v9, v10, v8
	s_delay_alu instid0(VALU_DEP_1) | instskip(NEXT) | instid1(VALU_DEP_1)
	v_fma_f32 v2, -v7, v9, v10
	v_fmac_f32_e32 v9, v2, v8
	v_mad_u32 v2, v4, s4, v1
	s_delay_alu instid0(VALU_DEP_2) | instskip(NEXT) | instid1(VALU_DEP_1)
	v_fma_f32 v1, -v7, v9, v10
	v_div_fmas_f32 v4, v1, v8, v9
	v_mov_b32_e32 v1, v3
	s_delay_alu instid0(VALU_DEP_4) | instskip(NEXT) | instid1(VALU_DEP_3)
	v_lshl_add_u64 v[2:3], v[2:3], 1, s[0:1]
	v_div_fixup_f32 v4, v4, v6, v5
	s_delay_alu instid0(VALU_DEP_2) | instskip(NEXT) | instid1(VALU_DEP_2)
	v_lshl_add_u64 v[0:1], v[0:1], 1, v[2:3]
	v_cvt_f16_f32_e32 v4, v4
	global_store_b16 v[0:1], v4, off
.LBB34_4:
	s_endpgm
	.section	.rodata,"a",@progbits
	.p2align	6, 0x0
	.amdhsa_kernel _ZL19k_bin_bcast_unravelIXadL_ZL6op_divffEE6__halfS0_S0_JPKS0_EEvPKT0_PKT1_PT2_15HIP_vector_typeIjLj3EESC_SC_jSC_SC_SC_SC_SC_SC_iiiiiiiiiiiDpT3_
		.amdhsa_group_segment_fixed_size 0
		.amdhsa_private_segment_fixed_size 0
		.amdhsa_kernarg_size 448
		.amdhsa_user_sgpr_count 2
		.amdhsa_user_sgpr_dispatch_ptr 0
		.amdhsa_user_sgpr_queue_ptr 0
		.amdhsa_user_sgpr_kernarg_segment_ptr 1
		.amdhsa_user_sgpr_dispatch_id 0
		.amdhsa_user_sgpr_kernarg_preload_length 0
		.amdhsa_user_sgpr_kernarg_preload_offset 0
		.amdhsa_user_sgpr_private_segment_size 0
		.amdhsa_wavefront_size32 1
		.amdhsa_uses_dynamic_stack 0
		.amdhsa_enable_private_segment 0
		.amdhsa_system_sgpr_workgroup_id_x 1
		.amdhsa_system_sgpr_workgroup_id_y 0
		.amdhsa_system_sgpr_workgroup_id_z 0
		.amdhsa_system_sgpr_workgroup_info 0
		.amdhsa_system_vgpr_workitem_id 0
		.amdhsa_next_free_vgpr 11
		.amdhsa_next_free_sgpr 27
		.amdhsa_named_barrier_count 0
		.amdhsa_reserve_vcc 1
		.amdhsa_float_round_mode_32 0
		.amdhsa_float_round_mode_16_64 0
		.amdhsa_float_denorm_mode_32 3
		.amdhsa_float_denorm_mode_16_64 3
		.amdhsa_fp16_overflow 0
		.amdhsa_memory_ordered 1
		.amdhsa_forward_progress 1
		.amdhsa_inst_pref_size 7
		.amdhsa_round_robin_scheduling 0
		.amdhsa_exception_fp_ieee_invalid_op 0
		.amdhsa_exception_fp_denorm_src 0
		.amdhsa_exception_fp_ieee_div_zero 0
		.amdhsa_exception_fp_ieee_overflow 0
		.amdhsa_exception_fp_ieee_underflow 0
		.amdhsa_exception_fp_ieee_inexact 0
		.amdhsa_exception_int_div_zero 0
	.end_amdhsa_kernel
	.section	.text._ZL19k_bin_bcast_unravelIXadL_ZL6op_divffEE6__halfS0_S0_JPKS0_EEvPKT0_PKT1_PT2_15HIP_vector_typeIjLj3EESC_SC_jSC_SC_SC_SC_SC_SC_iiiiiiiiiiiDpT3_,"axG",@progbits,_ZL19k_bin_bcast_unravelIXadL_ZL6op_divffEE6__halfS0_S0_JPKS0_EEvPKT0_PKT1_PT2_15HIP_vector_typeIjLj3EESC_SC_jSC_SC_SC_SC_SC_SC_iiiiiiiiiiiDpT3_,comdat
.Lfunc_end34:
	.size	_ZL19k_bin_bcast_unravelIXadL_ZL6op_divffEE6__halfS0_S0_JPKS0_EEvPKT0_PKT1_PT2_15HIP_vector_typeIjLj3EESC_SC_jSC_SC_SC_SC_SC_SC_iiiiiiiiiiiDpT3_, .Lfunc_end34-_ZL19k_bin_bcast_unravelIXadL_ZL6op_divffEE6__halfS0_S0_JPKS0_EEvPKT0_PKT1_PT2_15HIP_vector_typeIjLj3EESC_SC_jSC_SC_SC_SC_SC_SC_iiiiiiiiiiiDpT3_
                                        ; -- End function
	.set _ZL19k_bin_bcast_unravelIXadL_ZL6op_divffEE6__halfS0_S0_JPKS0_EEvPKT0_PKT1_PT2_15HIP_vector_typeIjLj3EESC_SC_jSC_SC_SC_SC_SC_SC_iiiiiiiiiiiDpT3_.num_vgpr, 11
	.set _ZL19k_bin_bcast_unravelIXadL_ZL6op_divffEE6__halfS0_S0_JPKS0_EEvPKT0_PKT1_PT2_15HIP_vector_typeIjLj3EESC_SC_jSC_SC_SC_SC_SC_SC_iiiiiiiiiiiDpT3_.num_agpr, 0
	.set _ZL19k_bin_bcast_unravelIXadL_ZL6op_divffEE6__halfS0_S0_JPKS0_EEvPKT0_PKT1_PT2_15HIP_vector_typeIjLj3EESC_SC_jSC_SC_SC_SC_SC_SC_iiiiiiiiiiiDpT3_.numbered_sgpr, 27
	.set _ZL19k_bin_bcast_unravelIXadL_ZL6op_divffEE6__halfS0_S0_JPKS0_EEvPKT0_PKT1_PT2_15HIP_vector_typeIjLj3EESC_SC_jSC_SC_SC_SC_SC_SC_iiiiiiiiiiiDpT3_.num_named_barrier, 0
	.set _ZL19k_bin_bcast_unravelIXadL_ZL6op_divffEE6__halfS0_S0_JPKS0_EEvPKT0_PKT1_PT2_15HIP_vector_typeIjLj3EESC_SC_jSC_SC_SC_SC_SC_SC_iiiiiiiiiiiDpT3_.private_seg_size, 0
	.set _ZL19k_bin_bcast_unravelIXadL_ZL6op_divffEE6__halfS0_S0_JPKS0_EEvPKT0_PKT1_PT2_15HIP_vector_typeIjLj3EESC_SC_jSC_SC_SC_SC_SC_SC_iiiiiiiiiiiDpT3_.uses_vcc, 1
	.set _ZL19k_bin_bcast_unravelIXadL_ZL6op_divffEE6__halfS0_S0_JPKS0_EEvPKT0_PKT1_PT2_15HIP_vector_typeIjLj3EESC_SC_jSC_SC_SC_SC_SC_SC_iiiiiiiiiiiDpT3_.uses_flat_scratch, 0
	.set _ZL19k_bin_bcast_unravelIXadL_ZL6op_divffEE6__halfS0_S0_JPKS0_EEvPKT0_PKT1_PT2_15HIP_vector_typeIjLj3EESC_SC_jSC_SC_SC_SC_SC_SC_iiiiiiiiiiiDpT3_.has_dyn_sized_stack, 0
	.set _ZL19k_bin_bcast_unravelIXadL_ZL6op_divffEE6__halfS0_S0_JPKS0_EEvPKT0_PKT1_PT2_15HIP_vector_typeIjLj3EESC_SC_jSC_SC_SC_SC_SC_SC_iiiiiiiiiiiDpT3_.has_recursion, 0
	.set _ZL19k_bin_bcast_unravelIXadL_ZL6op_divffEE6__halfS0_S0_JPKS0_EEvPKT0_PKT1_PT2_15HIP_vector_typeIjLj3EESC_SC_jSC_SC_SC_SC_SC_SC_iiiiiiiiiiiDpT3_.has_indirect_call, 0
	.section	.AMDGPU.csdata,"",@progbits
; Kernel info:
; codeLenInByte = 844
; TotalNumSgprs: 29
; NumVgprs: 11
; ScratchSize: 0
; MemoryBound: 0
; FloatMode: 240
; IeeeMode: 1
; LDSByteSize: 0 bytes/workgroup (compile time only)
; SGPRBlocks: 0
; VGPRBlocks: 0
; NumSGPRsForWavesPerEU: 29
; NumVGPRsForWavesPerEU: 11
; NamedBarCnt: 0
; Occupancy: 16
; WaveLimiterHint : 1
; COMPUTE_PGM_RSRC2:SCRATCH_EN: 0
; COMPUTE_PGM_RSRC2:USER_SGPR: 2
; COMPUTE_PGM_RSRC2:TRAP_HANDLER: 0
; COMPUTE_PGM_RSRC2:TGID_X_EN: 1
; COMPUTE_PGM_RSRC2:TGID_Y_EN: 0
; COMPUTE_PGM_RSRC2:TGID_Z_EN: 0
; COMPUTE_PGM_RSRC2:TIDIG_COMP_CNT: 0
	.section	.text._ZL11k_bin_bcastIXadL_ZL6op_divffEE6__halfS0_S0_JPKS0_EEvPKT0_PKT1_PT2_iii15HIP_vector_typeIjLj3EESC_SC_SC_SC_iiiiiiiiiiiDpT3_,"axG",@progbits,_ZL11k_bin_bcastIXadL_ZL6op_divffEE6__halfS0_S0_JPKS0_EEvPKT0_PKT1_PT2_iii15HIP_vector_typeIjLj3EESC_SC_SC_SC_iiiiiiiiiiiDpT3_,comdat
	.globl	_ZL11k_bin_bcastIXadL_ZL6op_divffEE6__halfS0_S0_JPKS0_EEvPKT0_PKT1_PT2_iii15HIP_vector_typeIjLj3EESC_SC_SC_SC_iiiiiiiiiiiDpT3_ ; -- Begin function _ZL11k_bin_bcastIXadL_ZL6op_divffEE6__halfS0_S0_JPKS0_EEvPKT0_PKT1_PT2_iii15HIP_vector_typeIjLj3EESC_SC_SC_SC_iiiiiiiiiiiDpT3_
	.p2align	8
	.type	_ZL11k_bin_bcastIXadL_ZL6op_divffEE6__halfS0_S0_JPKS0_EEvPKT0_PKT1_PT2_iii15HIP_vector_typeIjLj3EESC_SC_SC_SC_iiiiiiiiiiiDpT3_,@function
_ZL11k_bin_bcastIXadL_ZL6op_divffEE6__halfS0_S0_JPKS0_EEvPKT0_PKT1_PT2_iii15HIP_vector_typeIjLj3EESC_SC_SC_SC_iiiiiiiiiiiDpT3_: ; @_ZL11k_bin_bcastIXadL_ZL6op_divffEE6__halfS0_S0_JPKS0_EEvPKT0_PKT1_PT2_iii15HIP_vector_typeIjLj3EESC_SC_SC_SC_iiiiiiiiiiiDpT3_
; %bb.0:
	s_load_b64 s[2:3], s[0:1], 0xa4
	s_bfe_u32 s5, ttmp6, 0x40014
	s_bfe_u32 s16, ttmp6, 0x40010
	s_bfe_u32 s19, ttmp6, 0x4000c
	s_lshr_b32 s4, ttmp7, 16
	s_and_b32 s7, ttmp7, 0xffff
	s_add_co_i32 s5, s5, 1
	s_add_co_i32 s16, s16, 1
	s_load_b256 s[8:15], s[0:1], 0x18
	s_add_co_i32 s19, s19, 1
	s_bfe_u32 s6, ttmp6, 0x40008
	s_bfe_u32 s17, ttmp6, 0x40004
	s_mul_i32 s5, s4, s5
	s_mul_i32 s16, s7, s16
	s_and_b32 s18, ttmp6, 15
	s_mul_i32 s19, ttmp9, s19
	s_add_co_i32 s6, s6, s5
	s_add_co_i32 s17, s17, s16
	;; [unrolled: 1-line block ×3, first 2 shown]
	v_bfe_u32 v1, v0, 20, 10
	s_wait_kmcnt 0x0
	s_lshr_b32 s16, s2, 16
	s_and_b32 s5, s2, 0xffff
	s_getreg_b32 s2, hwreg(HW_REG_IB_STS2, 6, 4)
	s_and_b32 s3, s3, 0xffff
	s_cmp_eq_u32 s2, 0
	v_and_b32_e32 v3, 0x3ff, v0
	s_cselect_b32 s2, s4, s6
	v_bfe_u32 v4, v0, 10, 10
	v_mad_u32 v2, s2, s3, v1
	s_cselect_b32 s2, ttmp9, s18
	s_cselect_b32 s3, s7, s17
	v_mad_u32 v0, s2, s5, v3
	v_mad_u32 v3, s3, s16, v4
	s_delay_alu instid0(VALU_DEP_3) | instskip(NEXT) | instid1(VALU_DEP_3)
	v_mul_hi_u32 v1, v2, s11
	v_cmp_gt_u32_e32 vcc_lo, s8, v0
	s_delay_alu instid0(VALU_DEP_3) | instskip(SKIP_2) | instid1(VALU_DEP_1)
	v_cmp_gt_u32_e64 s2, s9, v3
	s_and_b32 s2, vcc_lo, s2
	v_add_nc_u32_e32 v1, v2, v1
	v_lshrrev_b32_e32 v1, s12, v1
	s_delay_alu instid0(VALU_DEP_1) | instskip(SKIP_3) | instid1(VALU_DEP_1)
	v_mul_lo_u32 v5, v1, s13
	v_cmp_gt_u32_e64 s3, s10, v1
	s_and_b32 s2, s2, s3
	v_sub_nc_u32_e32 v2, v2, v5
	v_cmp_gt_u32_e64 s4, s13, v2
	s_and_b32 s2, s2, s4
	s_delay_alu instid0(SALU_CYCLE_1)
	s_and_saveexec_b32 s3, s2
	s_cbranch_execz .LBB35_6
; %bb.1:
	v_cmp_gt_i32_e32 vcc_lo, s8, v0
	s_and_b32 exec_lo, exec_lo, vcc_lo
	s_cbranch_execz .LBB35_6
; %bb.2:
	s_clause 0x4
	s_load_b256 s[24:31], s[0:1], 0x3c
	s_load_b32 s2, s[0:1], 0x5c
	s_load_b256 s[16:23], s[0:1], 0x60
	s_load_b96 s[36:38], s[0:1], 0x80
	s_load_b64 s[6:7], s[0:1], 0x90
	s_wait_kmcnt 0x0
	v_mul_hi_u32 v4, s30, v2
	v_mul_hi_u32 v5, s27, v1
	;; [unrolled: 1-line block ×3, first 2 shown]
	v_mul_lo_u32 v7, v3, s20
	v_mul_lo_u32 v8, v3, s16
	s_delay_alu instid0(VALU_DEP_4) | instskip(NEXT) | instid1(VALU_DEP_3)
	v_dual_add_nc_u32 v4, v2, v4 :: v_dual_add_nc_u32 v5, v1, v5
	v_mad_u32 v7, v1, s21, v7
	s_delay_alu instid0(VALU_DEP_3) | instskip(NEXT) | instid1(VALU_DEP_3)
	v_mad_u32 v8, v1, s17, v8
	v_dual_lshrrev_b32 v4, s31, v4 :: v_dual_lshrrev_b32 v5, s28, v5
	s_delay_alu instid0(VALU_DEP_1) | instskip(SKIP_1) | instid1(VALU_DEP_3)
	v_mul_lo_u32 v4, v4, s2
	v_add_nc_u32_e32 v6, v3, v6
	v_mul_lo_u32 v5, v5, s29
	s_add_nc_u64 s[2:3], s[0:1], 0x98
	s_load_b64 s[10:11], s[0:1], 0x0
	s_load_b32 s4, s[2:3], 0x0
	s_clause 0x1
	s_load_b64 s[12:13], s[0:1], 0x10
	s_load_b32 s9, s[0:1], 0x38
	s_wait_xcnt 0x0
	s_mov_b32 s1, 0
	s_mov_b32 s0, s14
	v_dual_sub_nc_u32 v4, v2, v4 :: v_dual_lshrrev_b32 v6, s25, v6
	v_dual_sub_nc_u32 v5, v1, v5 :: v_dual_mov_b32 v1, 0
	s_delay_alu instid0(VALU_DEP_2) | instskip(NEXT) | instid1(VALU_DEP_3)
	v_mul_lo_u32 v4, v4, s38
	v_mul_lo_u32 v6, v6, s26
	s_delay_alu instid0(VALU_DEP_3)
	v_mov_b32_e32 v9, v1
	s_wait_kmcnt 0x0
	s_cmp_lg_u64 s[10:11], 0
	s_mul_i32 s2, s4, s5
	s_cselect_b32 s3, -1, 0
	s_mul_i32 s4, s2, s19
	s_delay_alu instid0(VALU_DEP_3) | instskip(NEXT) | instid1(VALU_DEP_3)
	v_mad_u32 v5, v5, s37, v4
	v_sub_nc_u32_e32 v3, v3, v6
	v_mad_u32 v4, v2, s22, v7
	v_mad_u32 v6, v2, s18, v8
	v_mul_lo_u32 v2, s19, v0
	s_sub_co_i32 s5, 0, s9
	v_mov_b32_e32 v7, v1
	v_mad_u32 v8, v3, s36, v5
	v_mov_b32_e32 v5, v1
	s_delay_alu instid0(VALU_DEP_3) | instskip(NEXT) | instid1(VALU_DEP_2)
	v_lshl_add_u64 v[6:7], v[6:7], 1, s[12:13]
	v_lshl_add_u64 v[4:5], v[4:5], 1, s[10:11]
	s_delay_alu instid0(VALU_DEP_4)
	v_lshl_add_u64 v[8:9], v[8:9], 1, s[6:7]
	s_mov_b32 s6, s1
	s_branch .LBB35_4
.LBB35_3:                               ;   in Loop: Header=BB35_4 Depth=1
	s_wait_xcnt 0x0
	v_mul_u64_e32 v[10:11], s[0:1], v[0:1]
	s_delay_alu instid0(VALU_DEP_1) | instskip(NEXT) | instid1(VALU_DEP_1)
	v_dual_add_nc_u32 v2, s4, v2 :: v_dual_add_nc_u32 v10, v0, v11
	v_dual_mov_b32 v11, v1 :: v_dual_lshrrev_b32 v10, s15, v10
	s_delay_alu instid0(VALU_DEP_1) | instskip(NEXT) | instid1(VALU_DEP_1)
	v_mad_u32 v10, s5, v10, v0
	v_mul_lo_u32 v10, v10, s23
	s_delay_alu instid0(VALU_DEP_1) | instskip(SKIP_4) | instid1(VALU_DEP_1)
	v_lshl_add_u64 v[10:11], v[10:11], 1, v[8:9]
	global_load_u16 v10, v[10:11], off
	s_wait_loadcnt 0x0
	v_cvt_f32_f16_e32 v12, v10
	s_wait_xcnt 0x0
	v_div_scale_f32 v10, null, v12, v12, v3
	v_div_scale_f32 v14, vcc_lo, v3, v12, v3
	s_delay_alu instid0(VALU_DEP_2) | instskip(SKIP_1) | instid1(TRANS32_DEP_1)
	v_rcp_f32_e32 v11, v10
	v_nop
	v_fma_f32 v13, -v10, v11, 1.0
	s_delay_alu instid0(VALU_DEP_1) | instskip(NEXT) | instid1(VALU_DEP_1)
	v_fmac_f32_e32 v11, v13, v11
	v_mul_f32_e32 v13, v14, v11
	s_delay_alu instid0(VALU_DEP_1) | instskip(NEXT) | instid1(VALU_DEP_1)
	v_fma_f32 v15, -v10, v13, v14
	v_fmac_f32_e32 v13, v15, v11
	s_delay_alu instid0(VALU_DEP_1) | instskip(NEXT) | instid1(VALU_DEP_1)
	v_fma_f32 v10, -v10, v13, v14
	v_div_fmas_f32 v13, v10, v11, v13
	v_dual_mov_b32 v10, v0 :: v_dual_ashrrev_i32 v11, 31, v0
	v_add_nc_u32_e32 v0, s2, v0
	s_delay_alu instid0(VALU_DEP_3) | instskip(NEXT) | instid1(VALU_DEP_3)
	v_div_fixup_f32 v3, v13, v12, v3
	v_lshl_add_u64 v[10:11], v[10:11], 1, v[6:7]
	s_delay_alu instid0(VALU_DEP_3) | instskip(NEXT) | instid1(VALU_DEP_3)
	v_cmp_le_i32_e32 vcc_lo, s8, v0
	v_cvt_f16_f32_e32 v3, v3
	s_or_b32 s6, vcc_lo, s6
	global_store_b16 v[10:11], v3, off
	s_wait_xcnt 0x0
	s_and_not1_b32 exec_lo, exec_lo, s6
	s_cbranch_execz .LBB35_6
.LBB35_4:                               ; =>This Inner Loop Header: Depth=1
	v_mov_b32_e32 v3, 0
	s_and_not1_b32 vcc_lo, exec_lo, s3
	s_cbranch_vccnz .LBB35_3
; %bb.5:                                ;   in Loop: Header=BB35_4 Depth=1
	v_ashrrev_i32_e32 v3, 31, v2
	s_delay_alu instid0(VALU_DEP_1)
	v_lshl_add_u64 v[10:11], v[2:3], 1, v[4:5]
	global_load_u16 v3, v[10:11], off
	s_wait_loadcnt 0x0
	v_cvt_f32_f16_e32 v3, v3
	s_branch .LBB35_3
.LBB35_6:
	s_endpgm
	.section	.rodata,"a",@progbits
	.p2align	6, 0x0
	.amdhsa_kernel _ZL11k_bin_bcastIXadL_ZL6op_divffEE6__halfS0_S0_JPKS0_EEvPKT0_PKT1_PT2_iii15HIP_vector_typeIjLj3EESC_SC_SC_SC_iiiiiiiiiiiDpT3_
		.amdhsa_group_segment_fixed_size 0
		.amdhsa_private_segment_fixed_size 0
		.amdhsa_kernarg_size 408
		.amdhsa_user_sgpr_count 2
		.amdhsa_user_sgpr_dispatch_ptr 0
		.amdhsa_user_sgpr_queue_ptr 0
		.amdhsa_user_sgpr_kernarg_segment_ptr 1
		.amdhsa_user_sgpr_dispatch_id 0
		.amdhsa_user_sgpr_kernarg_preload_length 0
		.amdhsa_user_sgpr_kernarg_preload_offset 0
		.amdhsa_user_sgpr_private_segment_size 0
		.amdhsa_wavefront_size32 1
		.amdhsa_uses_dynamic_stack 0
		.amdhsa_enable_private_segment 0
		.amdhsa_system_sgpr_workgroup_id_x 1
		.amdhsa_system_sgpr_workgroup_id_y 1
		.amdhsa_system_sgpr_workgroup_id_z 1
		.amdhsa_system_sgpr_workgroup_info 0
		.amdhsa_system_vgpr_workitem_id 2
		.amdhsa_next_free_vgpr 16
		.amdhsa_next_free_sgpr 39
		.amdhsa_named_barrier_count 0
		.amdhsa_reserve_vcc 1
		.amdhsa_float_round_mode_32 0
		.amdhsa_float_round_mode_16_64 0
		.amdhsa_float_denorm_mode_32 3
		.amdhsa_float_denorm_mode_16_64 3
		.amdhsa_fp16_overflow 0
		.amdhsa_memory_ordered 1
		.amdhsa_forward_progress 1
		.amdhsa_inst_pref_size 8
		.amdhsa_round_robin_scheduling 0
		.amdhsa_exception_fp_ieee_invalid_op 0
		.amdhsa_exception_fp_denorm_src 0
		.amdhsa_exception_fp_ieee_div_zero 0
		.amdhsa_exception_fp_ieee_overflow 0
		.amdhsa_exception_fp_ieee_underflow 0
		.amdhsa_exception_fp_ieee_inexact 0
		.amdhsa_exception_int_div_zero 0
	.end_amdhsa_kernel
	.section	.text._ZL11k_bin_bcastIXadL_ZL6op_divffEE6__halfS0_S0_JPKS0_EEvPKT0_PKT1_PT2_iii15HIP_vector_typeIjLj3EESC_SC_SC_SC_iiiiiiiiiiiDpT3_,"axG",@progbits,_ZL11k_bin_bcastIXadL_ZL6op_divffEE6__halfS0_S0_JPKS0_EEvPKT0_PKT1_PT2_iii15HIP_vector_typeIjLj3EESC_SC_SC_SC_iiiiiiiiiiiDpT3_,comdat
.Lfunc_end35:
	.size	_ZL11k_bin_bcastIXadL_ZL6op_divffEE6__halfS0_S0_JPKS0_EEvPKT0_PKT1_PT2_iii15HIP_vector_typeIjLj3EESC_SC_SC_SC_iiiiiiiiiiiDpT3_, .Lfunc_end35-_ZL11k_bin_bcastIXadL_ZL6op_divffEE6__halfS0_S0_JPKS0_EEvPKT0_PKT1_PT2_iii15HIP_vector_typeIjLj3EESC_SC_SC_SC_iiiiiiiiiiiDpT3_
                                        ; -- End function
	.set _ZL11k_bin_bcastIXadL_ZL6op_divffEE6__halfS0_S0_JPKS0_EEvPKT0_PKT1_PT2_iii15HIP_vector_typeIjLj3EESC_SC_SC_SC_iiiiiiiiiiiDpT3_.num_vgpr, 16
	.set _ZL11k_bin_bcastIXadL_ZL6op_divffEE6__halfS0_S0_JPKS0_EEvPKT0_PKT1_PT2_iii15HIP_vector_typeIjLj3EESC_SC_SC_SC_iiiiiiiiiiiDpT3_.num_agpr, 0
	.set _ZL11k_bin_bcastIXadL_ZL6op_divffEE6__halfS0_S0_JPKS0_EEvPKT0_PKT1_PT2_iii15HIP_vector_typeIjLj3EESC_SC_SC_SC_iiiiiiiiiiiDpT3_.numbered_sgpr, 39
	.set _ZL11k_bin_bcastIXadL_ZL6op_divffEE6__halfS0_S0_JPKS0_EEvPKT0_PKT1_PT2_iii15HIP_vector_typeIjLj3EESC_SC_SC_SC_iiiiiiiiiiiDpT3_.num_named_barrier, 0
	.set _ZL11k_bin_bcastIXadL_ZL6op_divffEE6__halfS0_S0_JPKS0_EEvPKT0_PKT1_PT2_iii15HIP_vector_typeIjLj3EESC_SC_SC_SC_iiiiiiiiiiiDpT3_.private_seg_size, 0
	.set _ZL11k_bin_bcastIXadL_ZL6op_divffEE6__halfS0_S0_JPKS0_EEvPKT0_PKT1_PT2_iii15HIP_vector_typeIjLj3EESC_SC_SC_SC_iiiiiiiiiiiDpT3_.uses_vcc, 1
	.set _ZL11k_bin_bcastIXadL_ZL6op_divffEE6__halfS0_S0_JPKS0_EEvPKT0_PKT1_PT2_iii15HIP_vector_typeIjLj3EESC_SC_SC_SC_iiiiiiiiiiiDpT3_.uses_flat_scratch, 0
	.set _ZL11k_bin_bcastIXadL_ZL6op_divffEE6__halfS0_S0_JPKS0_EEvPKT0_PKT1_PT2_iii15HIP_vector_typeIjLj3EESC_SC_SC_SC_iiiiiiiiiiiDpT3_.has_dyn_sized_stack, 0
	.set _ZL11k_bin_bcastIXadL_ZL6op_divffEE6__halfS0_S0_JPKS0_EEvPKT0_PKT1_PT2_iii15HIP_vector_typeIjLj3EESC_SC_SC_SC_iiiiiiiiiiiDpT3_.has_recursion, 0
	.set _ZL11k_bin_bcastIXadL_ZL6op_divffEE6__halfS0_S0_JPKS0_EEvPKT0_PKT1_PT2_iii15HIP_vector_typeIjLj3EESC_SC_SC_SC_iiiiiiiiiiiDpT3_.has_indirect_call, 0
	.section	.AMDGPU.csdata,"",@progbits
; Kernel info:
; codeLenInByte = 992
; TotalNumSgprs: 41
; NumVgprs: 16
; ScratchSize: 0
; MemoryBound: 0
; FloatMode: 240
; IeeeMode: 1
; LDSByteSize: 0 bytes/workgroup (compile time only)
; SGPRBlocks: 0
; VGPRBlocks: 0
; NumSGPRsForWavesPerEU: 41
; NumVGPRsForWavesPerEU: 16
; NamedBarCnt: 0
; Occupancy: 16
; WaveLimiterHint : 1
; COMPUTE_PGM_RSRC2:SCRATCH_EN: 0
; COMPUTE_PGM_RSRC2:USER_SGPR: 2
; COMPUTE_PGM_RSRC2:TRAP_HANDLER: 0
; COMPUTE_PGM_RSRC2:TGID_X_EN: 1
; COMPUTE_PGM_RSRC2:TGID_Y_EN: 1
; COMPUTE_PGM_RSRC2:TGID_Z_EN: 1
; COMPUTE_PGM_RSRC2:TIDIG_COMP_CNT: 2
	.section	.text._ZL19k_bin_bcast_unravelIXadL_ZL6op_divffEE6__halffS0_JPKfEEvPKT0_PKT1_PT2_15HIP_vector_typeIjLj3EESC_SC_jSC_SC_SC_SC_SC_SC_iiiiiiiiiiiDpT3_,"axG",@progbits,_ZL19k_bin_bcast_unravelIXadL_ZL6op_divffEE6__halffS0_JPKfEEvPKT0_PKT1_PT2_15HIP_vector_typeIjLj3EESC_SC_jSC_SC_SC_SC_SC_SC_iiiiiiiiiiiDpT3_,comdat
	.globl	_ZL19k_bin_bcast_unravelIXadL_ZL6op_divffEE6__halffS0_JPKfEEvPKT0_PKT1_PT2_15HIP_vector_typeIjLj3EESC_SC_jSC_SC_SC_SC_SC_SC_iiiiiiiiiiiDpT3_ ; -- Begin function _ZL19k_bin_bcast_unravelIXadL_ZL6op_divffEE6__halffS0_JPKfEEvPKT0_PKT1_PT2_15HIP_vector_typeIjLj3EESC_SC_jSC_SC_SC_SC_SC_SC_iiiiiiiiiiiDpT3_
	.p2align	8
	.type	_ZL19k_bin_bcast_unravelIXadL_ZL6op_divffEE6__halffS0_JPKfEEvPKT0_PKT1_PT2_15HIP_vector_typeIjLj3EESC_SC_jSC_SC_SC_SC_SC_SC_iiiiiiiiiiiDpT3_,@function
_ZL19k_bin_bcast_unravelIXadL_ZL6op_divffEE6__halffS0_JPKfEEvPKT0_PKT1_PT2_15HIP_vector_typeIjLj3EESC_SC_jSC_SC_SC_SC_SC_SC_iiiiiiiiiiiDpT3_: ; @_ZL19k_bin_bcast_unravelIXadL_ZL6op_divffEE6__halffS0_JPKfEEvPKT0_PKT1_PT2_15HIP_vector_typeIjLj3EESC_SC_jSC_SC_SC_SC_SC_SC_iiiiiiiiiiiDpT3_
; %bb.0:
	s_load_b32 s2, s[0:1], 0xcc
	s_bfe_u32 s3, ttmp6, 0x4000c
	s_load_b256 s[4:11], s[0:1], 0x38
	s_add_co_i32 s3, s3, 1
	s_and_b32 s12, ttmp6, 15
	s_mul_i32 s3, ttmp9, s3
	s_getreg_b32 s13, hwreg(HW_REG_IB_STS2, 6, 4)
	s_add_co_i32 s12, s12, s3
	s_wait_kmcnt 0x0
	s_and_b32 s2, s2, 0xffff
	s_cmp_eq_u32 s13, 0
	s_cselect_b32 s3, ttmp9, s12
	s_delay_alu instid0(SALU_CYCLE_1) | instskip(SKIP_1) | instid1(VALU_DEP_1)
	v_mad_u32 v0, s3, s2, v0
	s_load_b32 s2, s[0:1], 0x2c
	v_mul_hi_u32 v1, v0, s6
	s_delay_alu instid0(VALU_DEP_1) | instskip(NEXT) | instid1(VALU_DEP_1)
	v_add_nc_u32_e32 v1, v0, v1
	v_lshrrev_b32_e32 v2, s7, v1
	s_delay_alu instid0(VALU_DEP_1) | instskip(NEXT) | instid1(VALU_DEP_1)
	v_mul_lo_u32 v1, v2, s8
	v_sub_nc_u32_e32 v0, v0, v1
	s_delay_alu instid0(VALU_DEP_1) | instskip(NEXT) | instid1(VALU_DEP_1)
	v_mul_hi_u32 v1, v0, s9
	v_add_nc_u32_e32 v1, v0, v1
	s_delay_alu instid0(VALU_DEP_1) | instskip(SKIP_1) | instid1(VALU_DEP_1)
	v_lshrrev_b32_e32 v1, s10, v1
	s_load_b96 s[8:10], s[0:1], 0x18
	v_mul_lo_u32 v3, v1, s11
	s_delay_alu instid0(VALU_DEP_1) | instskip(SKIP_1) | instid1(VALU_DEP_1)
	v_sub_nc_u32_e32 v0, v0, v3
	s_wait_kmcnt 0x0
	v_mul_hi_u32 v3, v0, s8
	s_delay_alu instid0(VALU_DEP_1) | instskip(NEXT) | instid1(VALU_DEP_1)
	v_add_nc_u32_e32 v3, v0, v3
	v_lshrrev_b32_e32 v4, s9, v3
	v_cmp_gt_u32_e64 s3, s4, v1
	v_cmp_gt_u32_e64 s4, s5, v2
	s_delay_alu instid0(VALU_DEP_3) | instskip(SKIP_1) | instid1(VALU_DEP_2)
	v_mul_lo_u32 v3, v4, s10
	v_cmp_gt_u32_e64 s2, s2, v4
	v_sub_nc_u32_e32 v0, v0, v3
	s_delay_alu instid0(VALU_DEP_1) | instskip(SKIP_1) | instid1(SALU_CYCLE_1)
	v_cmp_gt_u32_e32 vcc_lo, s10, v0
	s_and_b32 s2, vcc_lo, s2
	s_and_b32 s2, s2, s3
	s_delay_alu instid0(SALU_CYCLE_1) | instskip(NEXT) | instid1(SALU_CYCLE_1)
	s_and_b32 s2, s4, s2
	s_and_saveexec_b32 s3, s2
	s_cbranch_execz .LBB36_4
; %bb.1:
	s_clause 0x4
	s_load_b64 s[2:3], s[0:1], 0x0
	s_load_b96 s[24:26], s[0:1], 0xa8
	s_load_b256 s[4:11], s[0:1], 0x88
	s_load_b128 s[20:23], s[0:1], 0x78
	s_load_b256 s[12:19], s[0:1], 0x58
	v_dual_mov_b32 v3, 0 :: v_dual_mov_b32 v5, 0
	s_wait_kmcnt 0x0
	s_cmp_eq_u64 s[2:3], 0
	s_cbranch_scc1 .LBB36_3
; %bb.2:
	v_mul_lo_u32 v5, v2, s10
	v_mov_b32_e32 v7, 0
	s_delay_alu instid0(VALU_DEP_2) | instskip(NEXT) | instid1(VALU_DEP_1)
	v_mad_u32 v5, v1, s9, v5
	v_mad_u32 v6, v4, s8, v5
	s_delay_alu instid0(VALU_DEP_1) | instskip(SKIP_1) | instid1(VALU_DEP_1)
	v_lshl_add_u64 v[8:9], v[6:7], 1, s[2:3]
	v_mul_lo_u32 v6, v0, s7
	v_lshl_add_u64 v[6:7], v[6:7], 1, v[8:9]
	global_load_u16 v5, v[6:7], off
	s_wait_loadcnt 0x0
	v_cvt_f32_f16_e32 v5, v5
.LBB36_3:
	v_mul_hi_u32 v6, s21, v2
	v_mul_hi_u32 v7, s18, v1
	;; [unrolled: 1-line block ×4, first 2 shown]
	s_load_b64 s[2:3], s[0:1], 0xb8
	s_delay_alu instid0(VALU_DEP_3) | instskip(SKIP_2) | instid1(VALU_DEP_3)
	v_dual_add_nc_u32 v6, v2, v6 :: v_dual_add_nc_u32 v7, v1, v7
	s_wait_xcnt 0x0
	s_load_b64 s[0:1], s[0:1], 0x10
	v_add_nc_u32_e32 v8, v4, v8
	s_delay_alu instid0(VALU_DEP_2) | instskip(NEXT) | instid1(VALU_DEP_2)
	v_dual_add_nc_u32 v9, v0, v9 :: v_dual_lshrrev_b32 v6, s22, v6
	v_dual_lshrrev_b32 v7, s19, v7 :: v_dual_lshrrev_b32 v8, s16, v8
	s_delay_alu instid0(VALU_DEP_2) | instskip(NEXT) | instid1(VALU_DEP_2)
	v_mul_lo_u32 v6, v6, s23
	v_mul_lo_u32 v7, v7, s20
	s_delay_alu instid0(VALU_DEP_4) | instskip(NEXT) | instid1(VALU_DEP_4)
	v_lshrrev_b32_e32 v9, s13, v9
	v_mul_lo_u32 v8, v8, s17
	s_delay_alu instid0(VALU_DEP_3) | instskip(NEXT) | instid1(VALU_DEP_3)
	v_dual_sub_nc_u32 v6, v2, v6 :: v_dual_sub_nc_u32 v7, v1, v7
	v_mul_lo_u32 v9, v9, s14
	v_mul_lo_u32 v2, v2, s6
	s_delay_alu instid0(VALU_DEP_3) | instskip(NEXT) | instid1(VALU_DEP_2)
	v_mul_lo_u32 v6, v6, s26
	v_mad_u32 v1, v1, s5, v2
	s_delay_alu instid0(VALU_DEP_2) | instskip(SKIP_2) | instid1(VALU_DEP_1)
	v_mad_u32 v6, v7, s25, v6
	v_sub_nc_u32_e32 v7, v4, v8
	v_sub_nc_u32_e32 v8, v0, v9
	v_mul_lo_u32 v8, v8, s11
	s_delay_alu instid0(VALU_DEP_1) | instskip(NEXT) | instid1(VALU_DEP_4)
	v_ashrrev_i32_e32 v9, 31, v8
	v_mad_u32 v6, v7, s24, v6
	s_delay_alu instid0(VALU_DEP_1) | instskip(SKIP_1) | instid1(VALU_DEP_1)
	v_ashrrev_i32_e32 v7, 31, v6
	s_wait_kmcnt 0x0
	v_lshl_add_u64 v[6:7], v[6:7], 2, s[2:3]
	s_delay_alu instid0(VALU_DEP_1) | instskip(SKIP_4) | instid1(VALU_DEP_2)
	v_lshl_add_u64 v[6:7], v[8:9], 2, v[6:7]
	global_load_b32 v6, v[6:7], off
	s_wait_loadcnt 0x0
	v_div_scale_f32 v7, null, v6, v6, v5
	v_div_scale_f32 v10, vcc_lo, v5, v6, v5
	v_rcp_f32_e32 v8, v7
	v_nop
	s_delay_alu instid0(TRANS32_DEP_1) | instskip(NEXT) | instid1(VALU_DEP_1)
	v_fma_f32 v9, -v7, v8, 1.0
	v_fmac_f32_e32 v8, v9, v8
	s_delay_alu instid0(VALU_DEP_1) | instskip(NEXT) | instid1(VALU_DEP_1)
	v_mul_f32_e32 v9, v10, v8
	v_fma_f32 v2, -v7, v9, v10
	s_delay_alu instid0(VALU_DEP_1) | instskip(SKIP_1) | instid1(VALU_DEP_2)
	v_fmac_f32_e32 v9, v2, v8
	v_mad_u32 v2, v4, s4, v1
	v_fma_f32 v1, -v7, v9, v10
	s_delay_alu instid0(VALU_DEP_1) | instskip(SKIP_1) | instid1(VALU_DEP_4)
	v_div_fmas_f32 v4, v1, v8, v9
	v_mov_b32_e32 v1, v3
	v_lshl_add_u64 v[2:3], v[2:3], 1, s[0:1]
	s_delay_alu instid0(VALU_DEP_3) | instskip(NEXT) | instid1(VALU_DEP_2)
	v_div_fixup_f32 v4, v4, v6, v5
	v_lshl_add_u64 v[0:1], v[0:1], 1, v[2:3]
	s_delay_alu instid0(VALU_DEP_2)
	v_cvt_f16_f32_e32 v4, v4
	global_store_b16 v[0:1], v4, off
.LBB36_4:
	s_endpgm
	.section	.rodata,"a",@progbits
	.p2align	6, 0x0
	.amdhsa_kernel _ZL19k_bin_bcast_unravelIXadL_ZL6op_divffEE6__halffS0_JPKfEEvPKT0_PKT1_PT2_15HIP_vector_typeIjLj3EESC_SC_jSC_SC_SC_SC_SC_SC_iiiiiiiiiiiDpT3_
		.amdhsa_group_segment_fixed_size 0
		.amdhsa_private_segment_fixed_size 0
		.amdhsa_kernarg_size 448
		.amdhsa_user_sgpr_count 2
		.amdhsa_user_sgpr_dispatch_ptr 0
		.amdhsa_user_sgpr_queue_ptr 0
		.amdhsa_user_sgpr_kernarg_segment_ptr 1
		.amdhsa_user_sgpr_dispatch_id 0
		.amdhsa_user_sgpr_kernarg_preload_length 0
		.amdhsa_user_sgpr_kernarg_preload_offset 0
		.amdhsa_user_sgpr_private_segment_size 0
		.amdhsa_wavefront_size32 1
		.amdhsa_uses_dynamic_stack 0
		.amdhsa_enable_private_segment 0
		.amdhsa_system_sgpr_workgroup_id_x 1
		.amdhsa_system_sgpr_workgroup_id_y 0
		.amdhsa_system_sgpr_workgroup_id_z 0
		.amdhsa_system_sgpr_workgroup_info 0
		.amdhsa_system_vgpr_workitem_id 0
		.amdhsa_next_free_vgpr 11
		.amdhsa_next_free_sgpr 27
		.amdhsa_named_barrier_count 0
		.amdhsa_reserve_vcc 1
		.amdhsa_float_round_mode_32 0
		.amdhsa_float_round_mode_16_64 0
		.amdhsa_float_denorm_mode_32 3
		.amdhsa_float_denorm_mode_16_64 3
		.amdhsa_fp16_overflow 0
		.amdhsa_memory_ordered 1
		.amdhsa_forward_progress 1
		.amdhsa_inst_pref_size 7
		.amdhsa_round_robin_scheduling 0
		.amdhsa_exception_fp_ieee_invalid_op 0
		.amdhsa_exception_fp_denorm_src 0
		.amdhsa_exception_fp_ieee_div_zero 0
		.amdhsa_exception_fp_ieee_overflow 0
		.amdhsa_exception_fp_ieee_underflow 0
		.amdhsa_exception_fp_ieee_inexact 0
		.amdhsa_exception_int_div_zero 0
	.end_amdhsa_kernel
	.section	.text._ZL19k_bin_bcast_unravelIXadL_ZL6op_divffEE6__halffS0_JPKfEEvPKT0_PKT1_PT2_15HIP_vector_typeIjLj3EESC_SC_jSC_SC_SC_SC_SC_SC_iiiiiiiiiiiDpT3_,"axG",@progbits,_ZL19k_bin_bcast_unravelIXadL_ZL6op_divffEE6__halffS0_JPKfEEvPKT0_PKT1_PT2_15HIP_vector_typeIjLj3EESC_SC_jSC_SC_SC_SC_SC_SC_iiiiiiiiiiiDpT3_,comdat
.Lfunc_end36:
	.size	_ZL19k_bin_bcast_unravelIXadL_ZL6op_divffEE6__halffS0_JPKfEEvPKT0_PKT1_PT2_15HIP_vector_typeIjLj3EESC_SC_jSC_SC_SC_SC_SC_SC_iiiiiiiiiiiDpT3_, .Lfunc_end36-_ZL19k_bin_bcast_unravelIXadL_ZL6op_divffEE6__halffS0_JPKfEEvPKT0_PKT1_PT2_15HIP_vector_typeIjLj3EESC_SC_jSC_SC_SC_SC_SC_SC_iiiiiiiiiiiDpT3_
                                        ; -- End function
	.set _ZL19k_bin_bcast_unravelIXadL_ZL6op_divffEE6__halffS0_JPKfEEvPKT0_PKT1_PT2_15HIP_vector_typeIjLj3EESC_SC_jSC_SC_SC_SC_SC_SC_iiiiiiiiiiiDpT3_.num_vgpr, 11
	.set _ZL19k_bin_bcast_unravelIXadL_ZL6op_divffEE6__halffS0_JPKfEEvPKT0_PKT1_PT2_15HIP_vector_typeIjLj3EESC_SC_jSC_SC_SC_SC_SC_SC_iiiiiiiiiiiDpT3_.num_agpr, 0
	.set _ZL19k_bin_bcast_unravelIXadL_ZL6op_divffEE6__halffS0_JPKfEEvPKT0_PKT1_PT2_15HIP_vector_typeIjLj3EESC_SC_jSC_SC_SC_SC_SC_SC_iiiiiiiiiiiDpT3_.numbered_sgpr, 27
	.set _ZL19k_bin_bcast_unravelIXadL_ZL6op_divffEE6__halffS0_JPKfEEvPKT0_PKT1_PT2_15HIP_vector_typeIjLj3EESC_SC_jSC_SC_SC_SC_SC_SC_iiiiiiiiiiiDpT3_.num_named_barrier, 0
	.set _ZL19k_bin_bcast_unravelIXadL_ZL6op_divffEE6__halffS0_JPKfEEvPKT0_PKT1_PT2_15HIP_vector_typeIjLj3EESC_SC_jSC_SC_SC_SC_SC_SC_iiiiiiiiiiiDpT3_.private_seg_size, 0
	.set _ZL19k_bin_bcast_unravelIXadL_ZL6op_divffEE6__halffS0_JPKfEEvPKT0_PKT1_PT2_15HIP_vector_typeIjLj3EESC_SC_jSC_SC_SC_SC_SC_SC_iiiiiiiiiiiDpT3_.uses_vcc, 1
	.set _ZL19k_bin_bcast_unravelIXadL_ZL6op_divffEE6__halffS0_JPKfEEvPKT0_PKT1_PT2_15HIP_vector_typeIjLj3EESC_SC_jSC_SC_SC_SC_SC_SC_iiiiiiiiiiiDpT3_.uses_flat_scratch, 0
	.set _ZL19k_bin_bcast_unravelIXadL_ZL6op_divffEE6__halffS0_JPKfEEvPKT0_PKT1_PT2_15HIP_vector_typeIjLj3EESC_SC_jSC_SC_SC_SC_SC_SC_iiiiiiiiiiiDpT3_.has_dyn_sized_stack, 0
	.set _ZL19k_bin_bcast_unravelIXadL_ZL6op_divffEE6__halffS0_JPKfEEvPKT0_PKT1_PT2_15HIP_vector_typeIjLj3EESC_SC_jSC_SC_SC_SC_SC_SC_iiiiiiiiiiiDpT3_.has_recursion, 0
	.set _ZL19k_bin_bcast_unravelIXadL_ZL6op_divffEE6__halffS0_JPKfEEvPKT0_PKT1_PT2_15HIP_vector_typeIjLj3EESC_SC_jSC_SC_SC_SC_SC_SC_iiiiiiiiiiiDpT3_.has_indirect_call, 0
	.section	.AMDGPU.csdata,"",@progbits
; Kernel info:
; codeLenInByte = 840
; TotalNumSgprs: 29
; NumVgprs: 11
; ScratchSize: 0
; MemoryBound: 0
; FloatMode: 240
; IeeeMode: 1
; LDSByteSize: 0 bytes/workgroup (compile time only)
; SGPRBlocks: 0
; VGPRBlocks: 0
; NumSGPRsForWavesPerEU: 29
; NumVGPRsForWavesPerEU: 11
; NamedBarCnt: 0
; Occupancy: 16
; WaveLimiterHint : 1
; COMPUTE_PGM_RSRC2:SCRATCH_EN: 0
; COMPUTE_PGM_RSRC2:USER_SGPR: 2
; COMPUTE_PGM_RSRC2:TRAP_HANDLER: 0
; COMPUTE_PGM_RSRC2:TGID_X_EN: 1
; COMPUTE_PGM_RSRC2:TGID_Y_EN: 0
; COMPUTE_PGM_RSRC2:TGID_Z_EN: 0
; COMPUTE_PGM_RSRC2:TIDIG_COMP_CNT: 0
	.section	.text._ZL11k_bin_bcastIXadL_ZL6op_divffEE6__halffS0_JPKfEEvPKT0_PKT1_PT2_iii15HIP_vector_typeIjLj3EESC_SC_SC_SC_iiiiiiiiiiiDpT3_,"axG",@progbits,_ZL11k_bin_bcastIXadL_ZL6op_divffEE6__halffS0_JPKfEEvPKT0_PKT1_PT2_iii15HIP_vector_typeIjLj3EESC_SC_SC_SC_iiiiiiiiiiiDpT3_,comdat
	.globl	_ZL11k_bin_bcastIXadL_ZL6op_divffEE6__halffS0_JPKfEEvPKT0_PKT1_PT2_iii15HIP_vector_typeIjLj3EESC_SC_SC_SC_iiiiiiiiiiiDpT3_ ; -- Begin function _ZL11k_bin_bcastIXadL_ZL6op_divffEE6__halffS0_JPKfEEvPKT0_PKT1_PT2_iii15HIP_vector_typeIjLj3EESC_SC_SC_SC_iiiiiiiiiiiDpT3_
	.p2align	8
	.type	_ZL11k_bin_bcastIXadL_ZL6op_divffEE6__halffS0_JPKfEEvPKT0_PKT1_PT2_iii15HIP_vector_typeIjLj3EESC_SC_SC_SC_iiiiiiiiiiiDpT3_,@function
_ZL11k_bin_bcastIXadL_ZL6op_divffEE6__halffS0_JPKfEEvPKT0_PKT1_PT2_iii15HIP_vector_typeIjLj3EESC_SC_SC_SC_iiiiiiiiiiiDpT3_: ; @_ZL11k_bin_bcastIXadL_ZL6op_divffEE6__halffS0_JPKfEEvPKT0_PKT1_PT2_iii15HIP_vector_typeIjLj3EESC_SC_SC_SC_iiiiiiiiiiiDpT3_
; %bb.0:
	s_load_b64 s[2:3], s[0:1], 0xa4
	s_bfe_u32 s5, ttmp6, 0x40014
	s_bfe_u32 s16, ttmp6, 0x40010
	;; [unrolled: 1-line block ×3, first 2 shown]
	s_lshr_b32 s4, ttmp7, 16
	s_and_b32 s7, ttmp7, 0xffff
	s_add_co_i32 s5, s5, 1
	s_add_co_i32 s16, s16, 1
	s_load_b256 s[8:15], s[0:1], 0x18
	s_add_co_i32 s19, s19, 1
	s_bfe_u32 s6, ttmp6, 0x40008
	s_bfe_u32 s17, ttmp6, 0x40004
	s_mul_i32 s5, s4, s5
	s_mul_i32 s16, s7, s16
	s_and_b32 s18, ttmp6, 15
	s_mul_i32 s19, ttmp9, s19
	s_add_co_i32 s6, s6, s5
	s_add_co_i32 s17, s17, s16
	;; [unrolled: 1-line block ×3, first 2 shown]
	v_bfe_u32 v1, v0, 20, 10
	s_wait_kmcnt 0x0
	s_lshr_b32 s16, s2, 16
	s_and_b32 s5, s2, 0xffff
	s_getreg_b32 s2, hwreg(HW_REG_IB_STS2, 6, 4)
	s_and_b32 s3, s3, 0xffff
	s_cmp_eq_u32 s2, 0
	v_and_b32_e32 v3, 0x3ff, v0
	s_cselect_b32 s2, s4, s6
	v_bfe_u32 v4, v0, 10, 10
	v_mad_u32 v2, s2, s3, v1
	s_cselect_b32 s2, ttmp9, s18
	s_cselect_b32 s3, s7, s17
	v_mad_u32 v0, s2, s5, v3
	v_mad_u32 v3, s3, s16, v4
	s_delay_alu instid0(VALU_DEP_3) | instskip(NEXT) | instid1(VALU_DEP_3)
	v_mul_hi_u32 v1, v2, s11
	v_cmp_gt_u32_e32 vcc_lo, s8, v0
	s_delay_alu instid0(VALU_DEP_3) | instskip(SKIP_2) | instid1(VALU_DEP_1)
	v_cmp_gt_u32_e64 s2, s9, v3
	s_and_b32 s2, vcc_lo, s2
	v_add_nc_u32_e32 v1, v2, v1
	v_lshrrev_b32_e32 v1, s12, v1
	s_delay_alu instid0(VALU_DEP_1) | instskip(SKIP_3) | instid1(VALU_DEP_1)
	v_mul_lo_u32 v5, v1, s13
	v_cmp_gt_u32_e64 s3, s10, v1
	s_and_b32 s2, s2, s3
	v_sub_nc_u32_e32 v2, v2, v5
	v_cmp_gt_u32_e64 s4, s13, v2
	s_and_b32 s2, s2, s4
	s_delay_alu instid0(SALU_CYCLE_1)
	s_and_saveexec_b32 s3, s2
	s_cbranch_execz .LBB37_6
; %bb.1:
	v_cmp_gt_i32_e32 vcc_lo, s8, v0
	s_and_b32 exec_lo, exec_lo, vcc_lo
	s_cbranch_execz .LBB37_6
; %bb.2:
	s_clause 0x4
	s_load_b256 s[24:31], s[0:1], 0x3c
	s_load_b32 s2, s[0:1], 0x5c
	s_load_b256 s[16:23], s[0:1], 0x60
	s_load_b96 s[36:38], s[0:1], 0x80
	s_load_b64 s[6:7], s[0:1], 0x90
	s_wait_kmcnt 0x0
	v_mul_hi_u32 v4, s30, v2
	v_mul_hi_u32 v5, s27, v1
	;; [unrolled: 1-line block ×3, first 2 shown]
	v_mul_lo_u32 v7, v3, s20
	v_mul_lo_u32 v8, v3, s16
	s_delay_alu instid0(VALU_DEP_4) | instskip(NEXT) | instid1(VALU_DEP_3)
	v_dual_add_nc_u32 v4, v2, v4 :: v_dual_add_nc_u32 v5, v1, v5
	v_mad_u32 v7, v1, s21, v7
	s_delay_alu instid0(VALU_DEP_3) | instskip(NEXT) | instid1(VALU_DEP_3)
	v_mad_u32 v8, v1, s17, v8
	v_dual_lshrrev_b32 v4, s31, v4 :: v_dual_lshrrev_b32 v5, s28, v5
	s_delay_alu instid0(VALU_DEP_1) | instskip(SKIP_1) | instid1(VALU_DEP_3)
	v_mul_lo_u32 v4, v4, s2
	v_add_nc_u32_e32 v6, v3, v6
	v_mul_lo_u32 v5, v5, s29
	s_add_nc_u64 s[2:3], s[0:1], 0x98
	s_load_b64 s[10:11], s[0:1], 0x0
	s_load_b32 s4, s[2:3], 0x0
	s_clause 0x1
	s_load_b64 s[12:13], s[0:1], 0x10
	s_load_b32 s9, s[0:1], 0x38
	s_wait_xcnt 0x0
	s_mov_b32 s1, 0
	s_mov_b32 s0, s14
	v_dual_sub_nc_u32 v4, v2, v4 :: v_dual_lshrrev_b32 v6, s25, v6
	v_dual_sub_nc_u32 v5, v1, v5 :: v_dual_mov_b32 v1, 0
	s_delay_alu instid0(VALU_DEP_2) | instskip(NEXT) | instid1(VALU_DEP_3)
	v_mul_lo_u32 v4, v4, s38
	v_mul_lo_u32 v6, v6, s26
	s_delay_alu instid0(VALU_DEP_3)
	v_mov_b32_e32 v9, v1
	s_wait_kmcnt 0x0
	s_cmp_lg_u64 s[10:11], 0
	s_mul_i32 s2, s4, s5
	s_cselect_b32 s3, -1, 0
	s_mul_i32 s4, s2, s19
	s_delay_alu instid0(VALU_DEP_3) | instskip(NEXT) | instid1(VALU_DEP_3)
	v_mad_u32 v5, v5, s37, v4
	v_sub_nc_u32_e32 v3, v3, v6
	v_mad_u32 v4, v2, s22, v7
	v_mad_u32 v6, v2, s18, v8
	v_mul_lo_u32 v2, s19, v0
	s_sub_co_i32 s5, 0, s9
	v_mov_b32_e32 v7, v1
	v_mad_u32 v8, v3, s36, v5
	v_mov_b32_e32 v5, v1
	s_delay_alu instid0(VALU_DEP_3) | instskip(NEXT) | instid1(VALU_DEP_2)
	v_lshl_add_u64 v[6:7], v[6:7], 1, s[12:13]
	v_lshl_add_u64 v[4:5], v[4:5], 1, s[10:11]
	s_delay_alu instid0(VALU_DEP_4)
	v_lshl_add_u64 v[8:9], v[8:9], 2, s[6:7]
	s_mov_b32 s6, s1
	s_branch .LBB37_4
.LBB37_3:                               ;   in Loop: Header=BB37_4 Depth=1
	s_wait_xcnt 0x0
	v_mul_u64_e32 v[10:11], s[0:1], v[0:1]
	s_delay_alu instid0(VALU_DEP_1) | instskip(NEXT) | instid1(VALU_DEP_1)
	v_dual_add_nc_u32 v2, s4, v2 :: v_dual_add_nc_u32 v10, v0, v11
	v_dual_mov_b32 v11, v1 :: v_dual_lshrrev_b32 v10, s15, v10
	s_delay_alu instid0(VALU_DEP_1) | instskip(NEXT) | instid1(VALU_DEP_1)
	v_mad_u32 v10, s5, v10, v0
	v_mul_lo_u32 v10, v10, s23
	s_delay_alu instid0(VALU_DEP_1)
	v_lshl_add_u64 v[10:11], v[10:11], 2, v[8:9]
	global_load_b32 v12, v[10:11], off
	s_wait_loadcnt 0x0
	s_wait_xcnt 0x0
	v_div_scale_f32 v10, null, v12, v12, v3
	v_div_scale_f32 v14, vcc_lo, v3, v12, v3
	s_delay_alu instid0(VALU_DEP_2) | instskip(SKIP_1) | instid1(TRANS32_DEP_1)
	v_rcp_f32_e32 v11, v10
	v_nop
	v_fma_f32 v13, -v10, v11, 1.0
	s_delay_alu instid0(VALU_DEP_1) | instskip(NEXT) | instid1(VALU_DEP_1)
	v_fmac_f32_e32 v11, v13, v11
	v_mul_f32_e32 v13, v14, v11
	s_delay_alu instid0(VALU_DEP_1) | instskip(NEXT) | instid1(VALU_DEP_1)
	v_fma_f32 v15, -v10, v13, v14
	v_fmac_f32_e32 v13, v15, v11
	s_delay_alu instid0(VALU_DEP_1) | instskip(NEXT) | instid1(VALU_DEP_1)
	v_fma_f32 v10, -v10, v13, v14
	v_div_fmas_f32 v13, v10, v11, v13
	v_dual_mov_b32 v10, v0 :: v_dual_ashrrev_i32 v11, 31, v0
	v_add_nc_u32_e32 v0, s2, v0
	s_delay_alu instid0(VALU_DEP_3) | instskip(NEXT) | instid1(VALU_DEP_3)
	v_div_fixup_f32 v3, v13, v12, v3
	v_lshl_add_u64 v[10:11], v[10:11], 1, v[6:7]
	s_delay_alu instid0(VALU_DEP_3) | instskip(NEXT) | instid1(VALU_DEP_3)
	v_cmp_le_i32_e32 vcc_lo, s8, v0
	v_cvt_f16_f32_e32 v3, v3
	s_or_b32 s6, vcc_lo, s6
	global_store_b16 v[10:11], v3, off
	s_wait_xcnt 0x0
	s_and_not1_b32 exec_lo, exec_lo, s6
	s_cbranch_execz .LBB37_6
.LBB37_4:                               ; =>This Inner Loop Header: Depth=1
	v_mov_b32_e32 v3, 0
	s_and_not1_b32 vcc_lo, exec_lo, s3
	s_cbranch_vccnz .LBB37_3
; %bb.5:                                ;   in Loop: Header=BB37_4 Depth=1
	v_ashrrev_i32_e32 v3, 31, v2
	s_delay_alu instid0(VALU_DEP_1)
	v_lshl_add_u64 v[10:11], v[2:3], 1, v[4:5]
	global_load_u16 v3, v[10:11], off
	s_wait_loadcnt 0x0
	v_cvt_f32_f16_e32 v3, v3
	s_branch .LBB37_3
.LBB37_6:
	s_endpgm
	.section	.rodata,"a",@progbits
	.p2align	6, 0x0
	.amdhsa_kernel _ZL11k_bin_bcastIXadL_ZL6op_divffEE6__halffS0_JPKfEEvPKT0_PKT1_PT2_iii15HIP_vector_typeIjLj3EESC_SC_SC_SC_iiiiiiiiiiiDpT3_
		.amdhsa_group_segment_fixed_size 0
		.amdhsa_private_segment_fixed_size 0
		.amdhsa_kernarg_size 408
		.amdhsa_user_sgpr_count 2
		.amdhsa_user_sgpr_dispatch_ptr 0
		.amdhsa_user_sgpr_queue_ptr 0
		.amdhsa_user_sgpr_kernarg_segment_ptr 1
		.amdhsa_user_sgpr_dispatch_id 0
		.amdhsa_user_sgpr_kernarg_preload_length 0
		.amdhsa_user_sgpr_kernarg_preload_offset 0
		.amdhsa_user_sgpr_private_segment_size 0
		.amdhsa_wavefront_size32 1
		.amdhsa_uses_dynamic_stack 0
		.amdhsa_enable_private_segment 0
		.amdhsa_system_sgpr_workgroup_id_x 1
		.amdhsa_system_sgpr_workgroup_id_y 1
		.amdhsa_system_sgpr_workgroup_id_z 1
		.amdhsa_system_sgpr_workgroup_info 0
		.amdhsa_system_vgpr_workitem_id 2
		.amdhsa_next_free_vgpr 16
		.amdhsa_next_free_sgpr 39
		.amdhsa_named_barrier_count 0
		.amdhsa_reserve_vcc 1
		.amdhsa_float_round_mode_32 0
		.amdhsa_float_round_mode_16_64 0
		.amdhsa_float_denorm_mode_32 3
		.amdhsa_float_denorm_mode_16_64 3
		.amdhsa_fp16_overflow 0
		.amdhsa_memory_ordered 1
		.amdhsa_forward_progress 1
		.amdhsa_inst_pref_size 8
		.amdhsa_round_robin_scheduling 0
		.amdhsa_exception_fp_ieee_invalid_op 0
		.amdhsa_exception_fp_denorm_src 0
		.amdhsa_exception_fp_ieee_div_zero 0
		.amdhsa_exception_fp_ieee_overflow 0
		.amdhsa_exception_fp_ieee_underflow 0
		.amdhsa_exception_fp_ieee_inexact 0
		.amdhsa_exception_int_div_zero 0
	.end_amdhsa_kernel
	.section	.text._ZL11k_bin_bcastIXadL_ZL6op_divffEE6__halffS0_JPKfEEvPKT0_PKT1_PT2_iii15HIP_vector_typeIjLj3EESC_SC_SC_SC_iiiiiiiiiiiDpT3_,"axG",@progbits,_ZL11k_bin_bcastIXadL_ZL6op_divffEE6__halffS0_JPKfEEvPKT0_PKT1_PT2_iii15HIP_vector_typeIjLj3EESC_SC_SC_SC_iiiiiiiiiiiDpT3_,comdat
.Lfunc_end37:
	.size	_ZL11k_bin_bcastIXadL_ZL6op_divffEE6__halffS0_JPKfEEvPKT0_PKT1_PT2_iii15HIP_vector_typeIjLj3EESC_SC_SC_SC_iiiiiiiiiiiDpT3_, .Lfunc_end37-_ZL11k_bin_bcastIXadL_ZL6op_divffEE6__halffS0_JPKfEEvPKT0_PKT1_PT2_iii15HIP_vector_typeIjLj3EESC_SC_SC_SC_iiiiiiiiiiiDpT3_
                                        ; -- End function
	.set _ZL11k_bin_bcastIXadL_ZL6op_divffEE6__halffS0_JPKfEEvPKT0_PKT1_PT2_iii15HIP_vector_typeIjLj3EESC_SC_SC_SC_iiiiiiiiiiiDpT3_.num_vgpr, 16
	.set _ZL11k_bin_bcastIXadL_ZL6op_divffEE6__halffS0_JPKfEEvPKT0_PKT1_PT2_iii15HIP_vector_typeIjLj3EESC_SC_SC_SC_iiiiiiiiiiiDpT3_.num_agpr, 0
	.set _ZL11k_bin_bcastIXadL_ZL6op_divffEE6__halffS0_JPKfEEvPKT0_PKT1_PT2_iii15HIP_vector_typeIjLj3EESC_SC_SC_SC_iiiiiiiiiiiDpT3_.numbered_sgpr, 39
	.set _ZL11k_bin_bcastIXadL_ZL6op_divffEE6__halffS0_JPKfEEvPKT0_PKT1_PT2_iii15HIP_vector_typeIjLj3EESC_SC_SC_SC_iiiiiiiiiiiDpT3_.num_named_barrier, 0
	.set _ZL11k_bin_bcastIXadL_ZL6op_divffEE6__halffS0_JPKfEEvPKT0_PKT1_PT2_iii15HIP_vector_typeIjLj3EESC_SC_SC_SC_iiiiiiiiiiiDpT3_.private_seg_size, 0
	.set _ZL11k_bin_bcastIXadL_ZL6op_divffEE6__halffS0_JPKfEEvPKT0_PKT1_PT2_iii15HIP_vector_typeIjLj3EESC_SC_SC_SC_iiiiiiiiiiiDpT3_.uses_vcc, 1
	.set _ZL11k_bin_bcastIXadL_ZL6op_divffEE6__halffS0_JPKfEEvPKT0_PKT1_PT2_iii15HIP_vector_typeIjLj3EESC_SC_SC_SC_iiiiiiiiiiiDpT3_.uses_flat_scratch, 0
	.set _ZL11k_bin_bcastIXadL_ZL6op_divffEE6__halffS0_JPKfEEvPKT0_PKT1_PT2_iii15HIP_vector_typeIjLj3EESC_SC_SC_SC_iiiiiiiiiiiDpT3_.has_dyn_sized_stack, 0
	.set _ZL11k_bin_bcastIXadL_ZL6op_divffEE6__halffS0_JPKfEEvPKT0_PKT1_PT2_iii15HIP_vector_typeIjLj3EESC_SC_SC_SC_iiiiiiiiiiiDpT3_.has_recursion, 0
	.set _ZL11k_bin_bcastIXadL_ZL6op_divffEE6__halffS0_JPKfEEvPKT0_PKT1_PT2_iii15HIP_vector_typeIjLj3EESC_SC_SC_SC_iiiiiiiiiiiDpT3_.has_indirect_call, 0
	.section	.AMDGPU.csdata,"",@progbits
; Kernel info:
; codeLenInByte = 988
; TotalNumSgprs: 41
; NumVgprs: 16
; ScratchSize: 0
; MemoryBound: 0
; FloatMode: 240
; IeeeMode: 1
; LDSByteSize: 0 bytes/workgroup (compile time only)
; SGPRBlocks: 0
; VGPRBlocks: 0
; NumSGPRsForWavesPerEU: 41
; NumVGPRsForWavesPerEU: 16
; NamedBarCnt: 0
; Occupancy: 16
; WaveLimiterHint : 1
; COMPUTE_PGM_RSRC2:SCRATCH_EN: 0
; COMPUTE_PGM_RSRC2:USER_SGPR: 2
; COMPUTE_PGM_RSRC2:TRAP_HANDLER: 0
; COMPUTE_PGM_RSRC2:TGID_X_EN: 1
; COMPUTE_PGM_RSRC2:TGID_Y_EN: 1
; COMPUTE_PGM_RSRC2:TGID_Z_EN: 1
; COMPUTE_PGM_RSRC2:TIDIG_COMP_CNT: 2
	.section	.text._ZL19k_bin_bcast_unravelIXadL_ZL6op_divffEE6__halfffJPKfEEvPKT0_PKT1_PT2_15HIP_vector_typeIjLj3EESC_SC_jSC_SC_SC_SC_SC_SC_iiiiiiiiiiiDpT3_,"axG",@progbits,_ZL19k_bin_bcast_unravelIXadL_ZL6op_divffEE6__halfffJPKfEEvPKT0_PKT1_PT2_15HIP_vector_typeIjLj3EESC_SC_jSC_SC_SC_SC_SC_SC_iiiiiiiiiiiDpT3_,comdat
	.globl	_ZL19k_bin_bcast_unravelIXadL_ZL6op_divffEE6__halfffJPKfEEvPKT0_PKT1_PT2_15HIP_vector_typeIjLj3EESC_SC_jSC_SC_SC_SC_SC_SC_iiiiiiiiiiiDpT3_ ; -- Begin function _ZL19k_bin_bcast_unravelIXadL_ZL6op_divffEE6__halfffJPKfEEvPKT0_PKT1_PT2_15HIP_vector_typeIjLj3EESC_SC_jSC_SC_SC_SC_SC_SC_iiiiiiiiiiiDpT3_
	.p2align	8
	.type	_ZL19k_bin_bcast_unravelIXadL_ZL6op_divffEE6__halfffJPKfEEvPKT0_PKT1_PT2_15HIP_vector_typeIjLj3EESC_SC_jSC_SC_SC_SC_SC_SC_iiiiiiiiiiiDpT3_,@function
_ZL19k_bin_bcast_unravelIXadL_ZL6op_divffEE6__halfffJPKfEEvPKT0_PKT1_PT2_15HIP_vector_typeIjLj3EESC_SC_jSC_SC_SC_SC_SC_SC_iiiiiiiiiiiDpT3_: ; @_ZL19k_bin_bcast_unravelIXadL_ZL6op_divffEE6__halfffJPKfEEvPKT0_PKT1_PT2_15HIP_vector_typeIjLj3EESC_SC_jSC_SC_SC_SC_SC_SC_iiiiiiiiiiiDpT3_
; %bb.0:
	s_load_b32 s2, s[0:1], 0xcc
	s_bfe_u32 s3, ttmp6, 0x4000c
	s_load_b256 s[4:11], s[0:1], 0x38
	s_add_co_i32 s3, s3, 1
	s_and_b32 s12, ttmp6, 15
	s_mul_i32 s3, ttmp9, s3
	s_getreg_b32 s13, hwreg(HW_REG_IB_STS2, 6, 4)
	s_add_co_i32 s12, s12, s3
	s_wait_kmcnt 0x0
	s_and_b32 s2, s2, 0xffff
	s_cmp_eq_u32 s13, 0
	s_cselect_b32 s3, ttmp9, s12
	s_delay_alu instid0(SALU_CYCLE_1) | instskip(SKIP_1) | instid1(VALU_DEP_1)
	v_mad_u32 v0, s3, s2, v0
	s_load_b32 s2, s[0:1], 0x2c
	v_mul_hi_u32 v1, v0, s6
	s_delay_alu instid0(VALU_DEP_1) | instskip(NEXT) | instid1(VALU_DEP_1)
	v_add_nc_u32_e32 v1, v0, v1
	v_lshrrev_b32_e32 v2, s7, v1
	s_delay_alu instid0(VALU_DEP_1) | instskip(NEXT) | instid1(VALU_DEP_1)
	v_mul_lo_u32 v1, v2, s8
	v_sub_nc_u32_e32 v0, v0, v1
	s_delay_alu instid0(VALU_DEP_1) | instskip(NEXT) | instid1(VALU_DEP_1)
	v_mul_hi_u32 v1, v0, s9
	v_add_nc_u32_e32 v1, v0, v1
	s_delay_alu instid0(VALU_DEP_1) | instskip(SKIP_1) | instid1(VALU_DEP_1)
	v_lshrrev_b32_e32 v1, s10, v1
	s_load_b96 s[8:10], s[0:1], 0x18
	v_mul_lo_u32 v3, v1, s11
	s_delay_alu instid0(VALU_DEP_1) | instskip(SKIP_1) | instid1(VALU_DEP_1)
	v_sub_nc_u32_e32 v0, v0, v3
	s_wait_kmcnt 0x0
	v_mul_hi_u32 v3, v0, s8
	s_delay_alu instid0(VALU_DEP_1) | instskip(NEXT) | instid1(VALU_DEP_1)
	v_add_nc_u32_e32 v3, v0, v3
	v_lshrrev_b32_e32 v4, s9, v3
	v_cmp_gt_u32_e64 s3, s4, v1
	v_cmp_gt_u32_e64 s4, s5, v2
	s_delay_alu instid0(VALU_DEP_3) | instskip(SKIP_1) | instid1(VALU_DEP_2)
	v_mul_lo_u32 v3, v4, s10
	v_cmp_gt_u32_e64 s2, s2, v4
	v_sub_nc_u32_e32 v0, v0, v3
	s_delay_alu instid0(VALU_DEP_1) | instskip(SKIP_1) | instid1(SALU_CYCLE_1)
	v_cmp_gt_u32_e32 vcc_lo, s10, v0
	s_and_b32 s2, vcc_lo, s2
	s_and_b32 s2, s2, s3
	s_delay_alu instid0(SALU_CYCLE_1) | instskip(NEXT) | instid1(SALU_CYCLE_1)
	s_and_b32 s2, s4, s2
	s_and_saveexec_b32 s3, s2
	s_cbranch_execz .LBB38_4
; %bb.1:
	s_clause 0x4
	s_load_b64 s[2:3], s[0:1], 0x0
	s_load_b96 s[24:26], s[0:1], 0xa8
	s_load_b256 s[4:11], s[0:1], 0x88
	s_load_b128 s[20:23], s[0:1], 0x78
	s_load_b256 s[12:19], s[0:1], 0x58
	v_dual_mov_b32 v3, 0 :: v_dual_mov_b32 v5, 0
	s_wait_kmcnt 0x0
	s_cmp_eq_u64 s[2:3], 0
	s_cbranch_scc1 .LBB38_3
; %bb.2:
	v_mul_lo_u32 v5, v2, s10
	v_mov_b32_e32 v7, 0
	s_delay_alu instid0(VALU_DEP_2) | instskip(NEXT) | instid1(VALU_DEP_1)
	v_mad_u32 v5, v1, s9, v5
	v_mad_u32 v6, v4, s8, v5
	s_delay_alu instid0(VALU_DEP_1) | instskip(SKIP_1) | instid1(VALU_DEP_1)
	v_lshl_add_u64 v[8:9], v[6:7], 1, s[2:3]
	v_mul_lo_u32 v6, v0, s7
	v_lshl_add_u64 v[6:7], v[6:7], 1, v[8:9]
	global_load_u16 v5, v[6:7], off
	s_wait_loadcnt 0x0
	v_cvt_f32_f16_e32 v5, v5
.LBB38_3:
	v_mul_hi_u32 v6, s21, v2
	v_mul_hi_u32 v7, s18, v1
	;; [unrolled: 1-line block ×4, first 2 shown]
	s_load_b64 s[2:3], s[0:1], 0xb8
	s_delay_alu instid0(VALU_DEP_3) | instskip(SKIP_2) | instid1(VALU_DEP_3)
	v_dual_add_nc_u32 v6, v2, v6 :: v_dual_add_nc_u32 v7, v1, v7
	s_wait_xcnt 0x0
	s_load_b64 s[0:1], s[0:1], 0x10
	v_add_nc_u32_e32 v8, v4, v8
	s_delay_alu instid0(VALU_DEP_2) | instskip(NEXT) | instid1(VALU_DEP_2)
	v_dual_add_nc_u32 v9, v0, v9 :: v_dual_lshrrev_b32 v6, s22, v6
	v_dual_lshrrev_b32 v7, s19, v7 :: v_dual_lshrrev_b32 v8, s16, v8
	s_delay_alu instid0(VALU_DEP_2) | instskip(NEXT) | instid1(VALU_DEP_2)
	v_mul_lo_u32 v6, v6, s23
	v_mul_lo_u32 v7, v7, s20
	s_delay_alu instid0(VALU_DEP_4) | instskip(NEXT) | instid1(VALU_DEP_4)
	v_lshrrev_b32_e32 v9, s13, v9
	v_mul_lo_u32 v8, v8, s17
	s_delay_alu instid0(VALU_DEP_3) | instskip(NEXT) | instid1(VALU_DEP_3)
	v_dual_sub_nc_u32 v6, v2, v6 :: v_dual_sub_nc_u32 v7, v1, v7
	v_mul_lo_u32 v9, v9, s14
	v_mul_lo_u32 v2, v2, s6
	s_delay_alu instid0(VALU_DEP_3) | instskip(NEXT) | instid1(VALU_DEP_2)
	v_mul_lo_u32 v6, v6, s26
	v_mad_u32 v1, v1, s5, v2
	s_delay_alu instid0(VALU_DEP_2) | instskip(SKIP_2) | instid1(VALU_DEP_1)
	v_mad_u32 v6, v7, s25, v6
	v_sub_nc_u32_e32 v7, v4, v8
	v_sub_nc_u32_e32 v8, v0, v9
	v_mul_lo_u32 v8, v8, s11
	v_mad_u32 v2, v4, s4, v1
	s_delay_alu instid0(VALU_DEP_2) | instskip(SKIP_2) | instid1(VALU_DEP_3)
	v_dual_mov_b32 v1, v3 :: v_dual_ashrrev_i32 v9, 31, v8
	v_mad_u32 v6, v7, s24, v6
	s_wait_kmcnt 0x0
	v_lshl_add_u64 v[2:3], v[2:3], 2, s[0:1]
	s_delay_alu instid0(VALU_DEP_1) | instskip(NEXT) | instid1(VALU_DEP_3)
	v_lshl_add_u64 v[0:1], v[0:1], 2, v[2:3]
	v_ashrrev_i32_e32 v7, 31, v6
	s_delay_alu instid0(VALU_DEP_1) | instskip(NEXT) | instid1(VALU_DEP_1)
	v_lshl_add_u64 v[6:7], v[6:7], 2, s[2:3]
	v_lshl_add_u64 v[6:7], v[8:9], 2, v[6:7]
	global_load_b32 v6, v[6:7], off
	s_wait_loadcnt 0x0
	v_div_scale_f32 v7, null, v6, v6, v5
	v_div_scale_f32 v10, vcc_lo, v5, v6, v5
	s_delay_alu instid0(VALU_DEP_2) | instskip(SKIP_1) | instid1(TRANS32_DEP_1)
	v_rcp_f32_e32 v8, v7
	v_nop
	v_fma_f32 v9, -v7, v8, 1.0
	s_delay_alu instid0(VALU_DEP_1) | instskip(NEXT) | instid1(VALU_DEP_1)
	v_fmac_f32_e32 v8, v9, v8
	v_mul_f32_e32 v9, v10, v8
	s_delay_alu instid0(VALU_DEP_1) | instskip(NEXT) | instid1(VALU_DEP_1)
	v_fma_f32 v11, -v7, v9, v10
	v_fmac_f32_e32 v9, v11, v8
	s_delay_alu instid0(VALU_DEP_1) | instskip(NEXT) | instid1(VALU_DEP_1)
	v_fma_f32 v4, -v7, v9, v10
	v_div_fmas_f32 v4, v4, v8, v9
	s_delay_alu instid0(VALU_DEP_1)
	v_div_fixup_f32 v4, v4, v6, v5
	global_store_b32 v[0:1], v4, off
.LBB38_4:
	s_endpgm
	.section	.rodata,"a",@progbits
	.p2align	6, 0x0
	.amdhsa_kernel _ZL19k_bin_bcast_unravelIXadL_ZL6op_divffEE6__halfffJPKfEEvPKT0_PKT1_PT2_15HIP_vector_typeIjLj3EESC_SC_jSC_SC_SC_SC_SC_SC_iiiiiiiiiiiDpT3_
		.amdhsa_group_segment_fixed_size 0
		.amdhsa_private_segment_fixed_size 0
		.amdhsa_kernarg_size 448
		.amdhsa_user_sgpr_count 2
		.amdhsa_user_sgpr_dispatch_ptr 0
		.amdhsa_user_sgpr_queue_ptr 0
		.amdhsa_user_sgpr_kernarg_segment_ptr 1
		.amdhsa_user_sgpr_dispatch_id 0
		.amdhsa_user_sgpr_kernarg_preload_length 0
		.amdhsa_user_sgpr_kernarg_preload_offset 0
		.amdhsa_user_sgpr_private_segment_size 0
		.amdhsa_wavefront_size32 1
		.amdhsa_uses_dynamic_stack 0
		.amdhsa_enable_private_segment 0
		.amdhsa_system_sgpr_workgroup_id_x 1
		.amdhsa_system_sgpr_workgroup_id_y 0
		.amdhsa_system_sgpr_workgroup_id_z 0
		.amdhsa_system_sgpr_workgroup_info 0
		.amdhsa_system_vgpr_workitem_id 0
		.amdhsa_next_free_vgpr 12
		.amdhsa_next_free_sgpr 27
		.amdhsa_named_barrier_count 0
		.amdhsa_reserve_vcc 1
		.amdhsa_float_round_mode_32 0
		.amdhsa_float_round_mode_16_64 0
		.amdhsa_float_denorm_mode_32 3
		.amdhsa_float_denorm_mode_16_64 3
		.amdhsa_fp16_overflow 0
		.amdhsa_memory_ordered 1
		.amdhsa_forward_progress 1
		.amdhsa_inst_pref_size 7
		.amdhsa_round_robin_scheduling 0
		.amdhsa_exception_fp_ieee_invalid_op 0
		.amdhsa_exception_fp_denorm_src 0
		.amdhsa_exception_fp_ieee_div_zero 0
		.amdhsa_exception_fp_ieee_overflow 0
		.amdhsa_exception_fp_ieee_underflow 0
		.amdhsa_exception_fp_ieee_inexact 0
		.amdhsa_exception_int_div_zero 0
	.end_amdhsa_kernel
	.section	.text._ZL19k_bin_bcast_unravelIXadL_ZL6op_divffEE6__halfffJPKfEEvPKT0_PKT1_PT2_15HIP_vector_typeIjLj3EESC_SC_jSC_SC_SC_SC_SC_SC_iiiiiiiiiiiDpT3_,"axG",@progbits,_ZL19k_bin_bcast_unravelIXadL_ZL6op_divffEE6__halfffJPKfEEvPKT0_PKT1_PT2_15HIP_vector_typeIjLj3EESC_SC_jSC_SC_SC_SC_SC_SC_iiiiiiiiiiiDpT3_,comdat
.Lfunc_end38:
	.size	_ZL19k_bin_bcast_unravelIXadL_ZL6op_divffEE6__halfffJPKfEEvPKT0_PKT1_PT2_15HIP_vector_typeIjLj3EESC_SC_jSC_SC_SC_SC_SC_SC_iiiiiiiiiiiDpT3_, .Lfunc_end38-_ZL19k_bin_bcast_unravelIXadL_ZL6op_divffEE6__halfffJPKfEEvPKT0_PKT1_PT2_15HIP_vector_typeIjLj3EESC_SC_jSC_SC_SC_SC_SC_SC_iiiiiiiiiiiDpT3_
                                        ; -- End function
	.set _ZL19k_bin_bcast_unravelIXadL_ZL6op_divffEE6__halfffJPKfEEvPKT0_PKT1_PT2_15HIP_vector_typeIjLj3EESC_SC_jSC_SC_SC_SC_SC_SC_iiiiiiiiiiiDpT3_.num_vgpr, 12
	.set _ZL19k_bin_bcast_unravelIXadL_ZL6op_divffEE6__halfffJPKfEEvPKT0_PKT1_PT2_15HIP_vector_typeIjLj3EESC_SC_jSC_SC_SC_SC_SC_SC_iiiiiiiiiiiDpT3_.num_agpr, 0
	.set _ZL19k_bin_bcast_unravelIXadL_ZL6op_divffEE6__halfffJPKfEEvPKT0_PKT1_PT2_15HIP_vector_typeIjLj3EESC_SC_jSC_SC_SC_SC_SC_SC_iiiiiiiiiiiDpT3_.numbered_sgpr, 27
	.set _ZL19k_bin_bcast_unravelIXadL_ZL6op_divffEE6__halfffJPKfEEvPKT0_PKT1_PT2_15HIP_vector_typeIjLj3EESC_SC_jSC_SC_SC_SC_SC_SC_iiiiiiiiiiiDpT3_.num_named_barrier, 0
	.set _ZL19k_bin_bcast_unravelIXadL_ZL6op_divffEE6__halfffJPKfEEvPKT0_PKT1_PT2_15HIP_vector_typeIjLj3EESC_SC_jSC_SC_SC_SC_SC_SC_iiiiiiiiiiiDpT3_.private_seg_size, 0
	.set _ZL19k_bin_bcast_unravelIXadL_ZL6op_divffEE6__halfffJPKfEEvPKT0_PKT1_PT2_15HIP_vector_typeIjLj3EESC_SC_jSC_SC_SC_SC_SC_SC_iiiiiiiiiiiDpT3_.uses_vcc, 1
	.set _ZL19k_bin_bcast_unravelIXadL_ZL6op_divffEE6__halfffJPKfEEvPKT0_PKT1_PT2_15HIP_vector_typeIjLj3EESC_SC_jSC_SC_SC_SC_SC_SC_iiiiiiiiiiiDpT3_.uses_flat_scratch, 0
	.set _ZL19k_bin_bcast_unravelIXadL_ZL6op_divffEE6__halfffJPKfEEvPKT0_PKT1_PT2_15HIP_vector_typeIjLj3EESC_SC_jSC_SC_SC_SC_SC_SC_iiiiiiiiiiiDpT3_.has_dyn_sized_stack, 0
	.set _ZL19k_bin_bcast_unravelIXadL_ZL6op_divffEE6__halfffJPKfEEvPKT0_PKT1_PT2_15HIP_vector_typeIjLj3EESC_SC_jSC_SC_SC_SC_SC_SC_iiiiiiiiiiiDpT3_.has_recursion, 0
	.set _ZL19k_bin_bcast_unravelIXadL_ZL6op_divffEE6__halfffJPKfEEvPKT0_PKT1_PT2_15HIP_vector_typeIjLj3EESC_SC_jSC_SC_SC_SC_SC_SC_iiiiiiiiiiiDpT3_.has_indirect_call, 0
	.section	.AMDGPU.csdata,"",@progbits
; Kernel info:
; codeLenInByte = 836
; TotalNumSgprs: 29
; NumVgprs: 12
; ScratchSize: 0
; MemoryBound: 0
; FloatMode: 240
; IeeeMode: 1
; LDSByteSize: 0 bytes/workgroup (compile time only)
; SGPRBlocks: 0
; VGPRBlocks: 0
; NumSGPRsForWavesPerEU: 29
; NumVGPRsForWavesPerEU: 12
; NamedBarCnt: 0
; Occupancy: 16
; WaveLimiterHint : 1
; COMPUTE_PGM_RSRC2:SCRATCH_EN: 0
; COMPUTE_PGM_RSRC2:USER_SGPR: 2
; COMPUTE_PGM_RSRC2:TRAP_HANDLER: 0
; COMPUTE_PGM_RSRC2:TGID_X_EN: 1
; COMPUTE_PGM_RSRC2:TGID_Y_EN: 0
; COMPUTE_PGM_RSRC2:TGID_Z_EN: 0
; COMPUTE_PGM_RSRC2:TIDIG_COMP_CNT: 0
	.section	.text._ZL11k_bin_bcastIXadL_ZL6op_divffEE6__halfffJPKfEEvPKT0_PKT1_PT2_iii15HIP_vector_typeIjLj3EESC_SC_SC_SC_iiiiiiiiiiiDpT3_,"axG",@progbits,_ZL11k_bin_bcastIXadL_ZL6op_divffEE6__halfffJPKfEEvPKT0_PKT1_PT2_iii15HIP_vector_typeIjLj3EESC_SC_SC_SC_iiiiiiiiiiiDpT3_,comdat
	.globl	_ZL11k_bin_bcastIXadL_ZL6op_divffEE6__halfffJPKfEEvPKT0_PKT1_PT2_iii15HIP_vector_typeIjLj3EESC_SC_SC_SC_iiiiiiiiiiiDpT3_ ; -- Begin function _ZL11k_bin_bcastIXadL_ZL6op_divffEE6__halfffJPKfEEvPKT0_PKT1_PT2_iii15HIP_vector_typeIjLj3EESC_SC_SC_SC_iiiiiiiiiiiDpT3_
	.p2align	8
	.type	_ZL11k_bin_bcastIXadL_ZL6op_divffEE6__halfffJPKfEEvPKT0_PKT1_PT2_iii15HIP_vector_typeIjLj3EESC_SC_SC_SC_iiiiiiiiiiiDpT3_,@function
_ZL11k_bin_bcastIXadL_ZL6op_divffEE6__halfffJPKfEEvPKT0_PKT1_PT2_iii15HIP_vector_typeIjLj3EESC_SC_SC_SC_iiiiiiiiiiiDpT3_: ; @_ZL11k_bin_bcastIXadL_ZL6op_divffEE6__halfffJPKfEEvPKT0_PKT1_PT2_iii15HIP_vector_typeIjLj3EESC_SC_SC_SC_iiiiiiiiiiiDpT3_
; %bb.0:
	s_load_b64 s[2:3], s[0:1], 0xa4
	s_bfe_u32 s5, ttmp6, 0x40014
	s_bfe_u32 s16, ttmp6, 0x40010
	;; [unrolled: 1-line block ×3, first 2 shown]
	s_lshr_b32 s4, ttmp7, 16
	s_and_b32 s7, ttmp7, 0xffff
	s_add_co_i32 s5, s5, 1
	s_add_co_i32 s16, s16, 1
	s_load_b256 s[8:15], s[0:1], 0x18
	s_add_co_i32 s19, s19, 1
	s_bfe_u32 s6, ttmp6, 0x40008
	s_bfe_u32 s17, ttmp6, 0x40004
	s_mul_i32 s5, s4, s5
	s_mul_i32 s16, s7, s16
	s_and_b32 s18, ttmp6, 15
	s_mul_i32 s19, ttmp9, s19
	s_add_co_i32 s6, s6, s5
	s_add_co_i32 s17, s17, s16
	;; [unrolled: 1-line block ×3, first 2 shown]
	v_bfe_u32 v1, v0, 20, 10
	s_wait_kmcnt 0x0
	s_lshr_b32 s16, s2, 16
	s_and_b32 s5, s2, 0xffff
	s_getreg_b32 s2, hwreg(HW_REG_IB_STS2, 6, 4)
	s_and_b32 s3, s3, 0xffff
	s_cmp_eq_u32 s2, 0
	v_and_b32_e32 v3, 0x3ff, v0
	s_cselect_b32 s2, s4, s6
	v_bfe_u32 v4, v0, 10, 10
	v_mad_u32 v2, s2, s3, v1
	s_cselect_b32 s2, ttmp9, s18
	s_cselect_b32 s3, s7, s17
	v_mad_u32 v0, s2, s5, v3
	v_mad_u32 v3, s3, s16, v4
	s_delay_alu instid0(VALU_DEP_3) | instskip(NEXT) | instid1(VALU_DEP_3)
	v_mul_hi_u32 v1, v2, s11
	v_cmp_gt_u32_e32 vcc_lo, s8, v0
	s_delay_alu instid0(VALU_DEP_3) | instskip(SKIP_2) | instid1(VALU_DEP_1)
	v_cmp_gt_u32_e64 s2, s9, v3
	s_and_b32 s2, vcc_lo, s2
	v_add_nc_u32_e32 v1, v2, v1
	v_lshrrev_b32_e32 v1, s12, v1
	s_delay_alu instid0(VALU_DEP_1) | instskip(SKIP_3) | instid1(VALU_DEP_1)
	v_mul_lo_u32 v5, v1, s13
	v_cmp_gt_u32_e64 s3, s10, v1
	s_and_b32 s2, s2, s3
	v_sub_nc_u32_e32 v2, v2, v5
	v_cmp_gt_u32_e64 s4, s13, v2
	s_and_b32 s2, s2, s4
	s_delay_alu instid0(SALU_CYCLE_1)
	s_and_saveexec_b32 s3, s2
	s_cbranch_execz .LBB39_6
; %bb.1:
	v_cmp_gt_i32_e32 vcc_lo, s8, v0
	s_and_b32 exec_lo, exec_lo, vcc_lo
	s_cbranch_execz .LBB39_6
; %bb.2:
	s_clause 0x4
	s_load_b256 s[24:31], s[0:1], 0x3c
	s_load_b32 s2, s[0:1], 0x5c
	s_load_b256 s[16:23], s[0:1], 0x60
	s_load_b96 s[36:38], s[0:1], 0x80
	s_load_b64 s[6:7], s[0:1], 0x90
	s_wait_kmcnt 0x0
	v_mul_hi_u32 v4, s30, v2
	v_mul_hi_u32 v5, s27, v1
	;; [unrolled: 1-line block ×3, first 2 shown]
	v_mul_lo_u32 v7, v3, s20
	v_mul_lo_u32 v8, v3, s16
	s_delay_alu instid0(VALU_DEP_4) | instskip(NEXT) | instid1(VALU_DEP_3)
	v_dual_add_nc_u32 v4, v2, v4 :: v_dual_add_nc_u32 v5, v1, v5
	v_mad_u32 v7, v1, s21, v7
	s_delay_alu instid0(VALU_DEP_3) | instskip(NEXT) | instid1(VALU_DEP_3)
	v_mad_u32 v8, v1, s17, v8
	v_dual_lshrrev_b32 v4, s31, v4 :: v_dual_lshrrev_b32 v5, s28, v5
	s_delay_alu instid0(VALU_DEP_1) | instskip(SKIP_1) | instid1(VALU_DEP_3)
	v_mul_lo_u32 v4, v4, s2
	v_add_nc_u32_e32 v6, v3, v6
	v_mul_lo_u32 v5, v5, s29
	s_add_nc_u64 s[2:3], s[0:1], 0x98
	s_load_b64 s[10:11], s[0:1], 0x0
	s_load_b32 s4, s[2:3], 0x0
	s_clause 0x1
	s_load_b64 s[12:13], s[0:1], 0x10
	s_load_b32 s9, s[0:1], 0x38
	s_wait_xcnt 0x0
	s_mov_b32 s1, 0
	s_mov_b32 s0, s14
	v_dual_sub_nc_u32 v4, v2, v4 :: v_dual_lshrrev_b32 v6, s25, v6
	v_dual_sub_nc_u32 v5, v1, v5 :: v_dual_mov_b32 v1, 0
	s_delay_alu instid0(VALU_DEP_2) | instskip(NEXT) | instid1(VALU_DEP_3)
	v_mul_lo_u32 v4, v4, s38
	v_mul_lo_u32 v6, v6, s26
	s_delay_alu instid0(VALU_DEP_3)
	v_mov_b32_e32 v9, v1
	s_wait_kmcnt 0x0
	s_cmp_lg_u64 s[10:11], 0
	s_mul_i32 s2, s4, s5
	s_cselect_b32 s3, -1, 0
	s_mul_i32 s4, s2, s19
	s_delay_alu instid0(VALU_DEP_3) | instskip(NEXT) | instid1(VALU_DEP_3)
	v_mad_u32 v5, v5, s37, v4
	v_sub_nc_u32_e32 v3, v3, v6
	v_mad_u32 v4, v2, s22, v7
	v_mad_u32 v6, v2, s18, v8
	v_mul_lo_u32 v2, s19, v0
	s_sub_co_i32 s5, 0, s9
	v_mov_b32_e32 v7, v1
	v_mad_u32 v8, v3, s36, v5
	v_mov_b32_e32 v5, v1
	s_delay_alu instid0(VALU_DEP_3) | instskip(NEXT) | instid1(VALU_DEP_2)
	v_lshl_add_u64 v[6:7], v[6:7], 2, s[12:13]
	v_lshl_add_u64 v[4:5], v[4:5], 1, s[10:11]
	s_delay_alu instid0(VALU_DEP_4)
	v_lshl_add_u64 v[8:9], v[8:9], 2, s[6:7]
	s_mov_b32 s6, s1
	s_branch .LBB39_4
.LBB39_3:                               ;   in Loop: Header=BB39_4 Depth=1
	s_wait_xcnt 0x0
	v_mul_u64_e32 v[10:11], s[0:1], v[0:1]
	s_delay_alu instid0(VALU_DEP_1) | instskip(NEXT) | instid1(VALU_DEP_1)
	v_dual_add_nc_u32 v2, s4, v2 :: v_dual_add_nc_u32 v10, v0, v11
	v_dual_mov_b32 v11, v1 :: v_dual_lshrrev_b32 v10, s15, v10
	s_delay_alu instid0(VALU_DEP_1) | instskip(NEXT) | instid1(VALU_DEP_1)
	v_mad_u32 v10, s5, v10, v0
	v_mul_lo_u32 v10, v10, s23
	s_delay_alu instid0(VALU_DEP_1)
	v_lshl_add_u64 v[10:11], v[10:11], 2, v[8:9]
	global_load_b32 v12, v[10:11], off
	s_wait_loadcnt 0x0
	s_wait_xcnt 0x0
	v_div_scale_f32 v10, null, v12, v12, v3
	v_div_scale_f32 v14, vcc_lo, v3, v12, v3
	s_delay_alu instid0(VALU_DEP_2) | instskip(SKIP_1) | instid1(TRANS32_DEP_1)
	v_rcp_f32_e32 v13, v10
	v_nop
	v_fma_f32 v11, -v10, v13, 1.0
	s_delay_alu instid0(VALU_DEP_1) | instskip(NEXT) | instid1(VALU_DEP_1)
	v_fmac_f32_e32 v13, v11, v13
	v_mul_f32_e32 v15, v14, v13
	s_delay_alu instid0(VALU_DEP_1) | instskip(NEXT) | instid1(VALU_DEP_1)
	v_fma_f32 v11, -v10, v15, v14
	v_dual_fmac_f32 v15, v11, v13 :: v_dual_ashrrev_i32 v11, 31, v0
	s_delay_alu instid0(VALU_DEP_1) | instskip(SKIP_1) | instid1(VALU_DEP_2)
	v_dual_fma_f32 v14, -v10, v15, v14 :: v_dual_mov_b32 v10, v0
	v_add_nc_u32_e32 v0, s2, v0
	v_div_fmas_f32 v13, v14, v13, v15
	s_delay_alu instid0(VALU_DEP_3) | instskip(NEXT) | instid1(VALU_DEP_3)
	v_lshl_add_u64 v[10:11], v[10:11], 2, v[6:7]
	v_cmp_le_i32_e32 vcc_lo, s8, v0
	s_delay_alu instid0(VALU_DEP_3)
	v_div_fixup_f32 v3, v13, v12, v3
	s_or_b32 s6, vcc_lo, s6
	global_store_b32 v[10:11], v3, off
	s_wait_xcnt 0x0
	s_and_not1_b32 exec_lo, exec_lo, s6
	s_cbranch_execz .LBB39_6
.LBB39_4:                               ; =>This Inner Loop Header: Depth=1
	v_mov_b32_e32 v3, 0
	s_and_not1_b32 vcc_lo, exec_lo, s3
	s_cbranch_vccnz .LBB39_3
; %bb.5:                                ;   in Loop: Header=BB39_4 Depth=1
	v_ashrrev_i32_e32 v3, 31, v2
	s_delay_alu instid0(VALU_DEP_1)
	v_lshl_add_u64 v[10:11], v[2:3], 1, v[4:5]
	global_load_u16 v3, v[10:11], off
	s_wait_loadcnt 0x0
	v_cvt_f32_f16_e32 v3, v3
	s_branch .LBB39_3
.LBB39_6:
	s_endpgm
	.section	.rodata,"a",@progbits
	.p2align	6, 0x0
	.amdhsa_kernel _ZL11k_bin_bcastIXadL_ZL6op_divffEE6__halfffJPKfEEvPKT0_PKT1_PT2_iii15HIP_vector_typeIjLj3EESC_SC_SC_SC_iiiiiiiiiiiDpT3_
		.amdhsa_group_segment_fixed_size 0
		.amdhsa_private_segment_fixed_size 0
		.amdhsa_kernarg_size 408
		.amdhsa_user_sgpr_count 2
		.amdhsa_user_sgpr_dispatch_ptr 0
		.amdhsa_user_sgpr_queue_ptr 0
		.amdhsa_user_sgpr_kernarg_segment_ptr 1
		.amdhsa_user_sgpr_dispatch_id 0
		.amdhsa_user_sgpr_kernarg_preload_length 0
		.amdhsa_user_sgpr_kernarg_preload_offset 0
		.amdhsa_user_sgpr_private_segment_size 0
		.amdhsa_wavefront_size32 1
		.amdhsa_uses_dynamic_stack 0
		.amdhsa_enable_private_segment 0
		.amdhsa_system_sgpr_workgroup_id_x 1
		.amdhsa_system_sgpr_workgroup_id_y 1
		.amdhsa_system_sgpr_workgroup_id_z 1
		.amdhsa_system_sgpr_workgroup_info 0
		.amdhsa_system_vgpr_workitem_id 2
		.amdhsa_next_free_vgpr 16
		.amdhsa_next_free_sgpr 39
		.amdhsa_named_barrier_count 0
		.amdhsa_reserve_vcc 1
		.amdhsa_float_round_mode_32 0
		.amdhsa_float_round_mode_16_64 0
		.amdhsa_float_denorm_mode_32 3
		.amdhsa_float_denorm_mode_16_64 3
		.amdhsa_fp16_overflow 0
		.amdhsa_memory_ordered 1
		.amdhsa_forward_progress 1
		.amdhsa_inst_pref_size 8
		.amdhsa_round_robin_scheduling 0
		.amdhsa_exception_fp_ieee_invalid_op 0
		.amdhsa_exception_fp_denorm_src 0
		.amdhsa_exception_fp_ieee_div_zero 0
		.amdhsa_exception_fp_ieee_overflow 0
		.amdhsa_exception_fp_ieee_underflow 0
		.amdhsa_exception_fp_ieee_inexact 0
		.amdhsa_exception_int_div_zero 0
	.end_amdhsa_kernel
	.section	.text._ZL11k_bin_bcastIXadL_ZL6op_divffEE6__halfffJPKfEEvPKT0_PKT1_PT2_iii15HIP_vector_typeIjLj3EESC_SC_SC_SC_iiiiiiiiiiiDpT3_,"axG",@progbits,_ZL11k_bin_bcastIXadL_ZL6op_divffEE6__halfffJPKfEEvPKT0_PKT1_PT2_iii15HIP_vector_typeIjLj3EESC_SC_SC_SC_iiiiiiiiiiiDpT3_,comdat
.Lfunc_end39:
	.size	_ZL11k_bin_bcastIXadL_ZL6op_divffEE6__halfffJPKfEEvPKT0_PKT1_PT2_iii15HIP_vector_typeIjLj3EESC_SC_SC_SC_iiiiiiiiiiiDpT3_, .Lfunc_end39-_ZL11k_bin_bcastIXadL_ZL6op_divffEE6__halfffJPKfEEvPKT0_PKT1_PT2_iii15HIP_vector_typeIjLj3EESC_SC_SC_SC_iiiiiiiiiiiDpT3_
                                        ; -- End function
	.set _ZL11k_bin_bcastIXadL_ZL6op_divffEE6__halfffJPKfEEvPKT0_PKT1_PT2_iii15HIP_vector_typeIjLj3EESC_SC_SC_SC_iiiiiiiiiiiDpT3_.num_vgpr, 16
	.set _ZL11k_bin_bcastIXadL_ZL6op_divffEE6__halfffJPKfEEvPKT0_PKT1_PT2_iii15HIP_vector_typeIjLj3EESC_SC_SC_SC_iiiiiiiiiiiDpT3_.num_agpr, 0
	.set _ZL11k_bin_bcastIXadL_ZL6op_divffEE6__halfffJPKfEEvPKT0_PKT1_PT2_iii15HIP_vector_typeIjLj3EESC_SC_SC_SC_iiiiiiiiiiiDpT3_.numbered_sgpr, 39
	.set _ZL11k_bin_bcastIXadL_ZL6op_divffEE6__halfffJPKfEEvPKT0_PKT1_PT2_iii15HIP_vector_typeIjLj3EESC_SC_SC_SC_iiiiiiiiiiiDpT3_.num_named_barrier, 0
	.set _ZL11k_bin_bcastIXadL_ZL6op_divffEE6__halfffJPKfEEvPKT0_PKT1_PT2_iii15HIP_vector_typeIjLj3EESC_SC_SC_SC_iiiiiiiiiiiDpT3_.private_seg_size, 0
	.set _ZL11k_bin_bcastIXadL_ZL6op_divffEE6__halfffJPKfEEvPKT0_PKT1_PT2_iii15HIP_vector_typeIjLj3EESC_SC_SC_SC_iiiiiiiiiiiDpT3_.uses_vcc, 1
	.set _ZL11k_bin_bcastIXadL_ZL6op_divffEE6__halfffJPKfEEvPKT0_PKT1_PT2_iii15HIP_vector_typeIjLj3EESC_SC_SC_SC_iiiiiiiiiiiDpT3_.uses_flat_scratch, 0
	.set _ZL11k_bin_bcastIXadL_ZL6op_divffEE6__halfffJPKfEEvPKT0_PKT1_PT2_iii15HIP_vector_typeIjLj3EESC_SC_SC_SC_iiiiiiiiiiiDpT3_.has_dyn_sized_stack, 0
	.set _ZL11k_bin_bcastIXadL_ZL6op_divffEE6__halfffJPKfEEvPKT0_PKT1_PT2_iii15HIP_vector_typeIjLj3EESC_SC_SC_SC_iiiiiiiiiiiDpT3_.has_recursion, 0
	.set _ZL11k_bin_bcastIXadL_ZL6op_divffEE6__halfffJPKfEEvPKT0_PKT1_PT2_iii15HIP_vector_typeIjLj3EESC_SC_SC_SC_iiiiiiiiiiiDpT3_.has_indirect_call, 0
	.section	.AMDGPU.csdata,"",@progbits
; Kernel info:
; codeLenInByte = 988
; TotalNumSgprs: 41
; NumVgprs: 16
; ScratchSize: 0
; MemoryBound: 0
; FloatMode: 240
; IeeeMode: 1
; LDSByteSize: 0 bytes/workgroup (compile time only)
; SGPRBlocks: 0
; VGPRBlocks: 0
; NumSGPRsForWavesPerEU: 41
; NumVGPRsForWavesPerEU: 16
; NamedBarCnt: 0
; Occupancy: 16
; WaveLimiterHint : 1
; COMPUTE_PGM_RSRC2:SCRATCH_EN: 0
; COMPUTE_PGM_RSRC2:USER_SGPR: 2
; COMPUTE_PGM_RSRC2:TRAP_HANDLER: 0
; COMPUTE_PGM_RSRC2:TGID_X_EN: 1
; COMPUTE_PGM_RSRC2:TGID_Y_EN: 1
; COMPUTE_PGM_RSRC2:TGID_Z_EN: 1
; COMPUTE_PGM_RSRC2:TIDIG_COMP_CNT: 2
	.section	.text._ZL19k_bin_bcast_unravelIXadL_ZL6op_addffEEfffJPKfS1_EEvPKT0_PKT1_PT2_15HIP_vector_typeIjLj3EESB_SB_jSB_SB_SB_SB_SB_SB_iiiiiiiiiiiDpT3_,"axG",@progbits,_ZL19k_bin_bcast_unravelIXadL_ZL6op_addffEEfffJPKfS1_EEvPKT0_PKT1_PT2_15HIP_vector_typeIjLj3EESB_SB_jSB_SB_SB_SB_SB_SB_iiiiiiiiiiiDpT3_,comdat
	.globl	_ZL19k_bin_bcast_unravelIXadL_ZL6op_addffEEfffJPKfS1_EEvPKT0_PKT1_PT2_15HIP_vector_typeIjLj3EESB_SB_jSB_SB_SB_SB_SB_SB_iiiiiiiiiiiDpT3_ ; -- Begin function _ZL19k_bin_bcast_unravelIXadL_ZL6op_addffEEfffJPKfS1_EEvPKT0_PKT1_PT2_15HIP_vector_typeIjLj3EESB_SB_jSB_SB_SB_SB_SB_SB_iiiiiiiiiiiDpT3_
	.p2align	8
	.type	_ZL19k_bin_bcast_unravelIXadL_ZL6op_addffEEfffJPKfS1_EEvPKT0_PKT1_PT2_15HIP_vector_typeIjLj3EESB_SB_jSB_SB_SB_SB_SB_SB_iiiiiiiiiiiDpT3_,@function
_ZL19k_bin_bcast_unravelIXadL_ZL6op_addffEEfffJPKfS1_EEvPKT0_PKT1_PT2_15HIP_vector_typeIjLj3EESB_SB_jSB_SB_SB_SB_SB_SB_iiiiiiiiiiiDpT3_: ; @_ZL19k_bin_bcast_unravelIXadL_ZL6op_addffEEfffJPKfS1_EEvPKT0_PKT1_PT2_15HIP_vector_typeIjLj3EESB_SB_jSB_SB_SB_SB_SB_SB_iiiiiiiiiiiDpT3_
; %bb.0:
	s_load_b32 s2, s[0:1], 0xd4
	s_bfe_u32 s3, ttmp6, 0x4000c
	s_load_b256 s[4:11], s[0:1], 0x38
	s_add_co_i32 s3, s3, 1
	s_and_b32 s12, ttmp6, 15
	s_mul_i32 s3, ttmp9, s3
	s_getreg_b32 s13, hwreg(HW_REG_IB_STS2, 6, 4)
	s_add_co_i32 s12, s12, s3
	s_wait_kmcnt 0x0
	s_and_b32 s2, s2, 0xffff
	s_cmp_eq_u32 s13, 0
	s_cselect_b32 s3, ttmp9, s12
	s_delay_alu instid0(SALU_CYCLE_1) | instskip(SKIP_1) | instid1(VALU_DEP_1)
	v_mad_u32 v0, s3, s2, v0
	s_load_b32 s2, s[0:1], 0x2c
	v_mul_hi_u32 v1, v0, s6
	s_delay_alu instid0(VALU_DEP_1) | instskip(NEXT) | instid1(VALU_DEP_1)
	v_add_nc_u32_e32 v1, v0, v1
	v_lshrrev_b32_e32 v1, s7, v1
	s_delay_alu instid0(VALU_DEP_1) | instskip(NEXT) | instid1(VALU_DEP_1)
	v_mul_lo_u32 v2, v1, s8
	v_sub_nc_u32_e32 v0, v0, v2
	s_delay_alu instid0(VALU_DEP_1) | instskip(NEXT) | instid1(VALU_DEP_1)
	v_mul_hi_u32 v2, v0, s9
	v_add_nc_u32_e32 v2, v0, v2
	s_delay_alu instid0(VALU_DEP_1) | instskip(SKIP_1) | instid1(VALU_DEP_1)
	v_lshrrev_b32_e32 v2, s10, v2
	s_load_b96 s[8:10], s[0:1], 0x18
	v_mul_lo_u32 v3, v2, s11
	s_delay_alu instid0(VALU_DEP_1) | instskip(SKIP_3) | instid1(VALU_DEP_3)
	v_sub_nc_u32_e32 v0, v0, v3
	v_cmp_gt_u32_e64 s3, s4, v2
	v_cmp_gt_u32_e64 s4, s5, v1
	s_wait_kmcnt 0x0
	v_mul_hi_u32 v3, v0, s8
	s_delay_alu instid0(VALU_DEP_1) | instskip(NEXT) | instid1(VALU_DEP_1)
	v_add_nc_u32_e32 v3, v0, v3
	v_lshrrev_b32_e32 v4, s9, v3
	s_delay_alu instid0(VALU_DEP_1) | instskip(NEXT) | instid1(VALU_DEP_1)
	v_mul_lo_u32 v3, v4, s10
	v_sub_nc_u32_e32 v0, v0, v3
	v_cmp_gt_u32_e64 s2, s2, v4
	s_delay_alu instid0(VALU_DEP_2) | instskip(SKIP_1) | instid1(SALU_CYCLE_1)
	v_cmp_gt_u32_e32 vcc_lo, s10, v0
	s_and_b32 s2, vcc_lo, s2
	s_and_b32 s2, s2, s3
	s_delay_alu instid0(SALU_CYCLE_1) | instskip(NEXT) | instid1(SALU_CYCLE_1)
	s_and_b32 s2, s4, s2
	s_and_saveexec_b32 s3, s2
	s_cbranch_execz .LBB40_4
; %bb.1:
	s_clause 0x4
	s_load_b64 s[2:3], s[0:1], 0x0
	s_load_b96 s[24:26], s[0:1], 0xa8
	s_load_b256 s[4:11], s[0:1], 0x88
	s_load_b128 s[20:23], s[0:1], 0x78
	s_load_b256 s[12:19], s[0:1], 0x58
	v_dual_mov_b32 v3, 0 :: v_dual_mov_b32 v5, 0
	s_wait_kmcnt 0x0
	s_cmp_eq_u64 s[2:3], 0
	s_cbranch_scc1 .LBB40_3
; %bb.2:
	v_mul_lo_u32 v5, v1, s10
	v_mov_b32_e32 v7, 0
	s_delay_alu instid0(VALU_DEP_2) | instskip(NEXT) | instid1(VALU_DEP_1)
	v_mad_u32 v5, v2, s9, v5
	v_mad_u32 v6, v4, s8, v5
	s_delay_alu instid0(VALU_DEP_1) | instskip(SKIP_1) | instid1(VALU_DEP_1)
	v_lshl_add_u64 v[8:9], v[6:7], 2, s[2:3]
	v_mul_lo_u32 v6, v0, s7
	v_lshl_add_u64 v[6:7], v[6:7], 2, v[8:9]
	global_load_b32 v5, v[6:7], off
.LBB40_3:
	s_wait_xcnt 0x0
	v_mul_hi_u32 v6, s21, v1
	v_mul_hi_u32 v7, s18, v2
	;; [unrolled: 1-line block ×4, first 2 shown]
	s_delay_alu instid0(VALU_DEP_3) | instskip(NEXT) | instid1(VALU_DEP_1)
	v_dual_add_nc_u32 v6, v1, v6 :: v_dual_add_nc_u32 v7, v2, v7
	v_dual_lshrrev_b32 v6, s22, v6 :: v_dual_lshrrev_b32 v7, s19, v7
	s_delay_alu instid0(VALU_DEP_1) | instskip(SKIP_1) | instid1(VALU_DEP_3)
	v_mul_lo_u32 v6, v6, s23
	v_add_nc_u32_e32 v8, v4, v8
	v_mul_lo_u32 v7, v7, s20
	s_delay_alu instid0(VALU_DEP_3) | instskip(NEXT) | instid1(VALU_DEP_3)
	v_dual_sub_nc_u32 v6, v1, v6 :: v_dual_add_nc_u32 v9, v0, v9
	v_lshrrev_b32_e32 v8, s16, v8
	v_mul_lo_u32 v1, v1, s6
	s_delay_alu instid0(VALU_DEP_4) | instskip(NEXT) | instid1(VALU_DEP_4)
	v_sub_nc_u32_e32 v7, v2, v7
	v_mul_lo_u32 v6, v6, s26
	v_lshrrev_b32_e32 v9, s13, v9
	v_mul_lo_u32 v8, v8, s17
	s_delay_alu instid0(VALU_DEP_2) | instskip(SKIP_2) | instid1(VALU_DEP_4)
	v_mul_lo_u32 v9, v9, s14
	v_mad_u32 v1, v2, s5, v1
	v_mad_u32 v7, v7, s25, v6
	v_sub_nc_u32_e32 v8, v4, v8
	s_delay_alu instid0(VALU_DEP_3) | instskip(NEXT) | instid1(VALU_DEP_2)
	v_mad_u32 v2, v4, s4, v1
	v_mad_u32 v8, v8, s24, v7
	s_delay_alu instid0(VALU_DEP_1) | instskip(NEXT) | instid1(VALU_DEP_1)
	v_dual_sub_nc_u32 v6, v0, v9 :: v_dual_ashrrev_i32 v9, 31, v8
	v_mul_lo_u32 v6, v6, s11
	s_load_b128 s[8:11], s[0:1], 0xb8
	s_delay_alu instid0(VALU_DEP_1) | instskip(SKIP_2) | instid1(VALU_DEP_1)
	v_ashrrev_i32_e32 v7, 31, v6
	s_wait_xcnt 0x0
	s_load_b64 s[0:1], s[0:1], 0x10
	v_add_nc_u64_e32 v[6:7], v[6:7], v[8:9]
	s_delay_alu instid0(VALU_DEP_1) | instskip(SKIP_1) | instid1(VALU_DEP_1)
	v_lshlrev_b64_e32 v[6:7], 2, v[6:7]
	s_wait_kmcnt 0x0
	v_add_nc_u64_e32 v[8:9], s[8:9], v[6:7]
	v_add_nc_u64_e32 v[6:7], s[10:11], v[6:7]
	global_load_b32 v10, v[8:9], off
	global_load_b32 v11, v[6:7], off
	v_mov_b32_e32 v1, v3
	v_lshl_add_u64 v[2:3], v[2:3], 2, s[0:1]
	s_wait_loadcnt 0x1
	v_add_f32_e32 v4, v5, v10
	s_delay_alu instid0(VALU_DEP_2) | instskip(SKIP_1) | instid1(VALU_DEP_2)
	v_lshl_add_u64 v[0:1], v[0:1], 2, v[2:3]
	s_wait_loadcnt 0x0
	v_add_f32_e32 v4, v4, v11
	global_store_b32 v[0:1], v4, off
.LBB40_4:
	s_endpgm
	.section	.rodata,"a",@progbits
	.p2align	6, 0x0
	.amdhsa_kernel _ZL19k_bin_bcast_unravelIXadL_ZL6op_addffEEfffJPKfS1_EEvPKT0_PKT1_PT2_15HIP_vector_typeIjLj3EESB_SB_jSB_SB_SB_SB_SB_SB_iiiiiiiiiiiDpT3_
		.amdhsa_group_segment_fixed_size 0
		.amdhsa_private_segment_fixed_size 0
		.amdhsa_kernarg_size 456
		.amdhsa_user_sgpr_count 2
		.amdhsa_user_sgpr_dispatch_ptr 0
		.amdhsa_user_sgpr_queue_ptr 0
		.amdhsa_user_sgpr_kernarg_segment_ptr 1
		.amdhsa_user_sgpr_dispatch_id 0
		.amdhsa_user_sgpr_kernarg_preload_length 0
		.amdhsa_user_sgpr_kernarg_preload_offset 0
		.amdhsa_user_sgpr_private_segment_size 0
		.amdhsa_wavefront_size32 1
		.amdhsa_uses_dynamic_stack 0
		.amdhsa_enable_private_segment 0
		.amdhsa_system_sgpr_workgroup_id_x 1
		.amdhsa_system_sgpr_workgroup_id_y 0
		.amdhsa_system_sgpr_workgroup_id_z 0
		.amdhsa_system_sgpr_workgroup_info 0
		.amdhsa_system_vgpr_workitem_id 0
		.amdhsa_next_free_vgpr 12
		.amdhsa_next_free_sgpr 27
		.amdhsa_named_barrier_count 0
		.amdhsa_reserve_vcc 1
		.amdhsa_float_round_mode_32 0
		.amdhsa_float_round_mode_16_64 0
		.amdhsa_float_denorm_mode_32 3
		.amdhsa_float_denorm_mode_16_64 3
		.amdhsa_fp16_overflow 0
		.amdhsa_memory_ordered 1
		.amdhsa_forward_progress 1
		.amdhsa_inst_pref_size 6
		.amdhsa_round_robin_scheduling 0
		.amdhsa_exception_fp_ieee_invalid_op 0
		.amdhsa_exception_fp_denorm_src 0
		.amdhsa_exception_fp_ieee_div_zero 0
		.amdhsa_exception_fp_ieee_overflow 0
		.amdhsa_exception_fp_ieee_underflow 0
		.amdhsa_exception_fp_ieee_inexact 0
		.amdhsa_exception_int_div_zero 0
	.end_amdhsa_kernel
	.section	.text._ZL19k_bin_bcast_unravelIXadL_ZL6op_addffEEfffJPKfS1_EEvPKT0_PKT1_PT2_15HIP_vector_typeIjLj3EESB_SB_jSB_SB_SB_SB_SB_SB_iiiiiiiiiiiDpT3_,"axG",@progbits,_ZL19k_bin_bcast_unravelIXadL_ZL6op_addffEEfffJPKfS1_EEvPKT0_PKT1_PT2_15HIP_vector_typeIjLj3EESB_SB_jSB_SB_SB_SB_SB_SB_iiiiiiiiiiiDpT3_,comdat
.Lfunc_end40:
	.size	_ZL19k_bin_bcast_unravelIXadL_ZL6op_addffEEfffJPKfS1_EEvPKT0_PKT1_PT2_15HIP_vector_typeIjLj3EESB_SB_jSB_SB_SB_SB_SB_SB_iiiiiiiiiiiDpT3_, .Lfunc_end40-_ZL19k_bin_bcast_unravelIXadL_ZL6op_addffEEfffJPKfS1_EEvPKT0_PKT1_PT2_15HIP_vector_typeIjLj3EESB_SB_jSB_SB_SB_SB_SB_SB_iiiiiiiiiiiDpT3_
                                        ; -- End function
	.set _ZL19k_bin_bcast_unravelIXadL_ZL6op_addffEEfffJPKfS1_EEvPKT0_PKT1_PT2_15HIP_vector_typeIjLj3EESB_SB_jSB_SB_SB_SB_SB_SB_iiiiiiiiiiiDpT3_.num_vgpr, 12
	.set _ZL19k_bin_bcast_unravelIXadL_ZL6op_addffEEfffJPKfS1_EEvPKT0_PKT1_PT2_15HIP_vector_typeIjLj3EESB_SB_jSB_SB_SB_SB_SB_SB_iiiiiiiiiiiDpT3_.num_agpr, 0
	.set _ZL19k_bin_bcast_unravelIXadL_ZL6op_addffEEfffJPKfS1_EEvPKT0_PKT1_PT2_15HIP_vector_typeIjLj3EESB_SB_jSB_SB_SB_SB_SB_SB_iiiiiiiiiiiDpT3_.numbered_sgpr, 27
	.set _ZL19k_bin_bcast_unravelIXadL_ZL6op_addffEEfffJPKfS1_EEvPKT0_PKT1_PT2_15HIP_vector_typeIjLj3EESB_SB_jSB_SB_SB_SB_SB_SB_iiiiiiiiiiiDpT3_.num_named_barrier, 0
	.set _ZL19k_bin_bcast_unravelIXadL_ZL6op_addffEEfffJPKfS1_EEvPKT0_PKT1_PT2_15HIP_vector_typeIjLj3EESB_SB_jSB_SB_SB_SB_SB_SB_iiiiiiiiiiiDpT3_.private_seg_size, 0
	.set _ZL19k_bin_bcast_unravelIXadL_ZL6op_addffEEfffJPKfS1_EEvPKT0_PKT1_PT2_15HIP_vector_typeIjLj3EESB_SB_jSB_SB_SB_SB_SB_SB_iiiiiiiiiiiDpT3_.uses_vcc, 1
	.set _ZL19k_bin_bcast_unravelIXadL_ZL6op_addffEEfffJPKfS1_EEvPKT0_PKT1_PT2_15HIP_vector_typeIjLj3EESB_SB_jSB_SB_SB_SB_SB_SB_iiiiiiiiiiiDpT3_.uses_flat_scratch, 0
	.set _ZL19k_bin_bcast_unravelIXadL_ZL6op_addffEEfffJPKfS1_EEvPKT0_PKT1_PT2_15HIP_vector_typeIjLj3EESB_SB_jSB_SB_SB_SB_SB_SB_iiiiiiiiiiiDpT3_.has_dyn_sized_stack, 0
	.set _ZL19k_bin_bcast_unravelIXadL_ZL6op_addffEEfffJPKfS1_EEvPKT0_PKT1_PT2_15HIP_vector_typeIjLj3EESB_SB_jSB_SB_SB_SB_SB_SB_iiiiiiiiiiiDpT3_.has_recursion, 0
	.set _ZL19k_bin_bcast_unravelIXadL_ZL6op_addffEEfffJPKfS1_EEvPKT0_PKT1_PT2_15HIP_vector_typeIjLj3EESB_SB_jSB_SB_SB_SB_SB_SB_iiiiiiiiiiiDpT3_.has_indirect_call, 0
	.section	.AMDGPU.csdata,"",@progbits
; Kernel info:
; codeLenInByte = 756
; TotalNumSgprs: 29
; NumVgprs: 12
; ScratchSize: 0
; MemoryBound: 0
; FloatMode: 240
; IeeeMode: 1
; LDSByteSize: 0 bytes/workgroup (compile time only)
; SGPRBlocks: 0
; VGPRBlocks: 0
; NumSGPRsForWavesPerEU: 29
; NumVGPRsForWavesPerEU: 12
; NamedBarCnt: 0
; Occupancy: 16
; WaveLimiterHint : 1
; COMPUTE_PGM_RSRC2:SCRATCH_EN: 0
; COMPUTE_PGM_RSRC2:USER_SGPR: 2
; COMPUTE_PGM_RSRC2:TRAP_HANDLER: 0
; COMPUTE_PGM_RSRC2:TGID_X_EN: 1
; COMPUTE_PGM_RSRC2:TGID_Y_EN: 0
; COMPUTE_PGM_RSRC2:TGID_Z_EN: 0
; COMPUTE_PGM_RSRC2:TIDIG_COMP_CNT: 0
	.section	.text._ZL11k_bin_bcastIXadL_ZL6op_addffEEfffJPKfS1_EEvPKT0_PKT1_PT2_iii15HIP_vector_typeIjLj3EESB_SB_SB_SB_iiiiiiiiiiiDpT3_,"axG",@progbits,_ZL11k_bin_bcastIXadL_ZL6op_addffEEfffJPKfS1_EEvPKT0_PKT1_PT2_iii15HIP_vector_typeIjLj3EESB_SB_SB_SB_iiiiiiiiiiiDpT3_,comdat
	.globl	_ZL11k_bin_bcastIXadL_ZL6op_addffEEfffJPKfS1_EEvPKT0_PKT1_PT2_iii15HIP_vector_typeIjLj3EESB_SB_SB_SB_iiiiiiiiiiiDpT3_ ; -- Begin function _ZL11k_bin_bcastIXadL_ZL6op_addffEEfffJPKfS1_EEvPKT0_PKT1_PT2_iii15HIP_vector_typeIjLj3EESB_SB_SB_SB_iiiiiiiiiiiDpT3_
	.p2align	8
	.type	_ZL11k_bin_bcastIXadL_ZL6op_addffEEfffJPKfS1_EEvPKT0_PKT1_PT2_iii15HIP_vector_typeIjLj3EESB_SB_SB_SB_iiiiiiiiiiiDpT3_,@function
_ZL11k_bin_bcastIXadL_ZL6op_addffEEfffJPKfS1_EEvPKT0_PKT1_PT2_iii15HIP_vector_typeIjLj3EESB_SB_SB_SB_iiiiiiiiiiiDpT3_: ; @_ZL11k_bin_bcastIXadL_ZL6op_addffEEfffJPKfS1_EEvPKT0_PKT1_PT2_iii15HIP_vector_typeIjLj3EESB_SB_SB_SB_iiiiiiiiiiiDpT3_
; %bb.0:
	s_load_b64 s[2:3], s[0:1], 0xac
	s_bfe_u32 s5, ttmp6, 0x40014
	s_bfe_u32 s16, ttmp6, 0x40010
	;; [unrolled: 1-line block ×3, first 2 shown]
	s_lshr_b32 s4, ttmp7, 16
	s_add_co_i32 s5, s5, 1
	s_and_b32 s7, ttmp7, 0xffff
	s_load_b256 s[8:15], s[0:1], 0x18
	s_add_co_i32 s16, s16, 1
	s_add_co_i32 s19, s19, 1
	s_bfe_u32 s6, ttmp6, 0x40008
	s_mul_i32 s5, s4, s5
	s_bfe_u32 s17, ttmp6, 0x40004
	s_and_b32 s18, ttmp6, 15
	s_mul_i32 s16, s7, s16
	s_mul_i32 s19, ttmp9, s19
	s_add_co_i32 s6, s6, s5
	s_add_co_i32 s17, s17, s16
	;; [unrolled: 1-line block ×3, first 2 shown]
	v_bfe_u32 v1, v0, 20, 10
	s_wait_kmcnt 0x0
	s_lshr_b32 s5, s2, 16
	s_and_b32 s33, s2, 0xffff
	s_getreg_b32 s2, hwreg(HW_REG_IB_STS2, 6, 4)
	s_and_b32 s3, s3, 0xffff
	s_cmp_eq_u32 s2, 0
	v_and_b32_e32 v2, 0x3ff, v0
	s_cselect_b32 s2, s4, s6
	v_bfe_u32 v4, v0, 10, 10
	v_mad_u32 v3, s2, s3, v1
	s_cselect_b32 s2, ttmp9, s18
	s_cselect_b32 s3, s7, s17
	v_mad_u32 v0, s2, s33, v2
	v_mad_u32 v2, s3, s5, v4
	s_delay_alu instid0(VALU_DEP_3) | instskip(NEXT) | instid1(VALU_DEP_3)
	v_mul_hi_u32 v1, v3, s11
	v_cmp_gt_u32_e32 vcc_lo, s8, v0
	s_delay_alu instid0(VALU_DEP_3) | instskip(SKIP_2) | instid1(VALU_DEP_1)
	v_cmp_gt_u32_e64 s2, s9, v2
	s_and_b32 s2, vcc_lo, s2
	v_add_nc_u32_e32 v1, v3, v1
	v_lshrrev_b32_e32 v1, s12, v1
	s_delay_alu instid0(VALU_DEP_1) | instskip(SKIP_3) | instid1(VALU_DEP_1)
	v_mul_lo_u32 v5, v1, s13
	v_cmp_gt_u32_e64 s3, s10, v1
	s_and_b32 s2, s2, s3
	v_sub_nc_u32_e32 v3, v3, v5
	v_cmp_gt_u32_e64 s4, s13, v3
	s_and_b32 s2, s2, s4
	s_delay_alu instid0(SALU_CYCLE_1)
	s_and_saveexec_b32 s3, s2
	s_cbranch_execz .LBB41_6
; %bb.1:
	v_cmp_gt_i32_e32 vcc_lo, s8, v0
	s_and_b32 exec_lo, exec_lo, vcc_lo
	s_cbranch_execz .LBB41_6
; %bb.2:
	s_clause 0x4
	s_load_b256 s[24:31], s[0:1], 0x3c
	s_load_b32 s2, s[0:1], 0x5c
	s_load_b256 s[16:23], s[0:1], 0x60
	s_load_b96 s[36:38], s[0:1], 0x80
	s_load_b128 s[4:7], s[0:1], 0x90
	s_add_nc_u64 s[10:11], s[0:1], 0xa0
	s_load_b64 s[12:13], s[0:1], 0x10
	s_wait_kmcnt 0x0
	v_mul_hi_u32 v4, s30, v3
	v_mul_hi_u32 v5, s27, v1
	;; [unrolled: 1-line block ×3, first 2 shown]
	v_mul_lo_u32 v7, v2, s20
	v_mul_lo_u32 v8, v2, s16
	s_load_b32 s9, s[10:11], 0x0
	s_load_b32 s16, s[0:1], 0x38
	s_delay_alu instid0(VALU_DEP_4) | instskip(NEXT) | instid1(VALU_DEP_3)
	v_dual_add_nc_u32 v4, v3, v4 :: v_dual_add_nc_u32 v5, v1, v5
	v_mad_u32 v7, v1, s21, v7
	s_delay_alu instid0(VALU_DEP_3) | instskip(NEXT) | instid1(VALU_DEP_3)
	v_mad_u32 v8, v1, s17, v8
	v_dual_lshrrev_b32 v4, s31, v4 :: v_dual_lshrrev_b32 v5, s28, v5
	s_delay_alu instid0(VALU_DEP_1) | instskip(SKIP_1) | instid1(VALU_DEP_3)
	v_mul_lo_u32 v4, v4, s2
	v_add_nc_u32_e32 v6, v2, v6
	v_mul_lo_u32 v5, v5, s29
	s_load_b64 s[2:3], s[0:1], 0x0
	s_wait_xcnt 0x0
	s_mov_b32 s1, 0
	v_mad_u32 v8, v3, s18, v8
	s_mov_b32 s0, s14
	s_mov_b32 s11, s1
	s_delay_alu instid0(VALU_DEP_4) | instskip(NEXT) | instid1(VALU_DEP_3)
	v_dual_sub_nc_u32 v4, v3, v4 :: v_dual_lshrrev_b32 v6, s25, v6
	v_sub_nc_u32_e32 v5, v1, v5
	s_delay_alu instid0(VALU_DEP_2) | instskip(NEXT) | instid1(VALU_DEP_3)
	v_mul_lo_u32 v9, v4, s38
	v_mul_lo_u32 v6, v6, s26
	v_mad_u32 v4, v3, s22, v7
	v_mov_b32_e32 v1, 0
	s_wait_kmcnt 0x0
	s_cmp_lg_u64 s[2:3], 0
	s_delay_alu instid0(VALU_DEP_4) | instskip(NEXT) | instid1(VALU_DEP_4)
	v_mad_u32 v7, v5, s37, v9
	v_sub_nc_u32_e32 v2, v2, v6
	v_mul_lo_u32 v6, s19, v0
	v_dual_mov_b32 v5, v1 :: v_dual_mov_b32 v9, v1
	v_mov_b32_e32 v3, v1
	s_delay_alu instid0(VALU_DEP_2) | instskip(NEXT) | instid1(VALU_DEP_3)
	v_lshl_add_u64 v[4:5], v[4:5], 2, s[2:3]
	v_lshl_add_u64 v[8:9], v[8:9], 2, s[12:13]
	s_mul_i32 s2, s9, s33
	v_mad_u32 v2, v2, s36, v7
	s_cselect_b32 s3, -1, 0
	s_mul_i32 s9, s2, s19
	s_sub_co_i32 s10, 0, s16
	s_branch .LBB41_4
.LBB41_3:                               ;   in Loop: Header=BB41_4 Depth=1
	s_wait_xcnt 0x0
	v_mul_u64_e32 v[10:11], s[0:1], v[0:1]
	s_delay_alu instid0(VALU_DEP_1) | instskip(NEXT) | instid1(VALU_DEP_1)
	v_dual_add_nc_u32 v6, s9, v6 :: v_dual_add_nc_u32 v10, v0, v11
	v_dual_mov_b32 v11, v1 :: v_dual_lshrrev_b32 v10, s15, v10
	s_delay_alu instid0(VALU_DEP_1) | instskip(NEXT) | instid1(VALU_DEP_1)
	v_mad_u32 v10, s10, v10, v0
	v_mul_lo_u32 v10, v10, s23
	s_delay_alu instid0(VALU_DEP_1) | instskip(NEXT) | instid1(VALU_DEP_1)
	v_add_nc_u64_e32 v[10:11], v[10:11], v[2:3]
	v_lshlrev_b64_e32 v[10:11], 2, v[10:11]
	s_delay_alu instid0(VALU_DEP_1)
	v_add_nc_u64_e32 v[12:13], s[4:5], v[10:11]
	v_add_nc_u64_e32 v[10:11], s[6:7], v[10:11]
	global_load_b32 v14, v[12:13], off
	global_load_b32 v15, v[10:11], off
	s_wait_xcnt 0x0
	v_dual_mov_b32 v10, v0 :: v_dual_ashrrev_i32 v11, 31, v0
	v_add_nc_u32_e32 v0, s2, v0
	s_delay_alu instid0(VALU_DEP_2) | instskip(NEXT) | instid1(VALU_DEP_2)
	v_lshl_add_u64 v[10:11], v[10:11], 2, v[8:9]
	v_cmp_le_i32_e32 vcc_lo, s8, v0
	s_or_b32 s11, vcc_lo, s11
	s_wait_loadcnt 0x1
	v_add_f32_e32 v7, v7, v14
	s_wait_loadcnt 0x0
	s_delay_alu instid0(VALU_DEP_1)
	v_add_f32_e32 v7, v7, v15
	global_store_b32 v[10:11], v7, off
	s_wait_xcnt 0x0
	s_and_not1_b32 exec_lo, exec_lo, s11
	s_cbranch_execz .LBB41_6
.LBB41_4:                               ; =>This Inner Loop Header: Depth=1
	v_mov_b32_e32 v7, 0
	s_and_not1_b32 vcc_lo, exec_lo, s3
	s_cbranch_vccnz .LBB41_3
; %bb.5:                                ;   in Loop: Header=BB41_4 Depth=1
	v_ashrrev_i32_e32 v7, 31, v6
	s_delay_alu instid0(VALU_DEP_1)
	v_lshl_add_u64 v[10:11], v[6:7], 2, v[4:5]
	global_load_b32 v7, v[10:11], off
	s_branch .LBB41_3
.LBB41_6:
	s_endpgm
	.section	.rodata,"a",@progbits
	.p2align	6, 0x0
	.amdhsa_kernel _ZL11k_bin_bcastIXadL_ZL6op_addffEEfffJPKfS1_EEvPKT0_PKT1_PT2_iii15HIP_vector_typeIjLj3EESB_SB_SB_SB_iiiiiiiiiiiDpT3_
		.amdhsa_group_segment_fixed_size 0
		.amdhsa_private_segment_fixed_size 0
		.amdhsa_kernarg_size 416
		.amdhsa_user_sgpr_count 2
		.amdhsa_user_sgpr_dispatch_ptr 0
		.amdhsa_user_sgpr_queue_ptr 0
		.amdhsa_user_sgpr_kernarg_segment_ptr 1
		.amdhsa_user_sgpr_dispatch_id 0
		.amdhsa_user_sgpr_kernarg_preload_length 0
		.amdhsa_user_sgpr_kernarg_preload_offset 0
		.amdhsa_user_sgpr_private_segment_size 0
		.amdhsa_wavefront_size32 1
		.amdhsa_uses_dynamic_stack 0
		.amdhsa_enable_private_segment 0
		.amdhsa_system_sgpr_workgroup_id_x 1
		.amdhsa_system_sgpr_workgroup_id_y 1
		.amdhsa_system_sgpr_workgroup_id_z 1
		.amdhsa_system_sgpr_workgroup_info 0
		.amdhsa_system_vgpr_workitem_id 2
		.amdhsa_next_free_vgpr 16
		.amdhsa_next_free_sgpr 39
		.amdhsa_named_barrier_count 0
		.amdhsa_reserve_vcc 1
		.amdhsa_float_round_mode_32 0
		.amdhsa_float_round_mode_16_64 0
		.amdhsa_float_denorm_mode_32 3
		.amdhsa_float_denorm_mode_16_64 3
		.amdhsa_fp16_overflow 0
		.amdhsa_memory_ordered 1
		.amdhsa_forward_progress 1
		.amdhsa_inst_pref_size 8
		.amdhsa_round_robin_scheduling 0
		.amdhsa_exception_fp_ieee_invalid_op 0
		.amdhsa_exception_fp_denorm_src 0
		.amdhsa_exception_fp_ieee_div_zero 0
		.amdhsa_exception_fp_ieee_overflow 0
		.amdhsa_exception_fp_ieee_underflow 0
		.amdhsa_exception_fp_ieee_inexact 0
		.amdhsa_exception_int_div_zero 0
	.end_amdhsa_kernel
	.section	.text._ZL11k_bin_bcastIXadL_ZL6op_addffEEfffJPKfS1_EEvPKT0_PKT1_PT2_iii15HIP_vector_typeIjLj3EESB_SB_SB_SB_iiiiiiiiiiiDpT3_,"axG",@progbits,_ZL11k_bin_bcastIXadL_ZL6op_addffEEfffJPKfS1_EEvPKT0_PKT1_PT2_iii15HIP_vector_typeIjLj3EESB_SB_SB_SB_iiiiiiiiiiiDpT3_,comdat
.Lfunc_end41:
	.size	_ZL11k_bin_bcastIXadL_ZL6op_addffEEfffJPKfS1_EEvPKT0_PKT1_PT2_iii15HIP_vector_typeIjLj3EESB_SB_SB_SB_iiiiiiiiiiiDpT3_, .Lfunc_end41-_ZL11k_bin_bcastIXadL_ZL6op_addffEEfffJPKfS1_EEvPKT0_PKT1_PT2_iii15HIP_vector_typeIjLj3EESB_SB_SB_SB_iiiiiiiiiiiDpT3_
                                        ; -- End function
	.set _ZL11k_bin_bcastIXadL_ZL6op_addffEEfffJPKfS1_EEvPKT0_PKT1_PT2_iii15HIP_vector_typeIjLj3EESB_SB_SB_SB_iiiiiiiiiiiDpT3_.num_vgpr, 16
	.set _ZL11k_bin_bcastIXadL_ZL6op_addffEEfffJPKfS1_EEvPKT0_PKT1_PT2_iii15HIP_vector_typeIjLj3EESB_SB_SB_SB_iiiiiiiiiiiDpT3_.num_agpr, 0
	.set _ZL11k_bin_bcastIXadL_ZL6op_addffEEfffJPKfS1_EEvPKT0_PKT1_PT2_iii15HIP_vector_typeIjLj3EESB_SB_SB_SB_iiiiiiiiiiiDpT3_.numbered_sgpr, 39
	.set _ZL11k_bin_bcastIXadL_ZL6op_addffEEfffJPKfS1_EEvPKT0_PKT1_PT2_iii15HIP_vector_typeIjLj3EESB_SB_SB_SB_iiiiiiiiiiiDpT3_.num_named_barrier, 0
	.set _ZL11k_bin_bcastIXadL_ZL6op_addffEEfffJPKfS1_EEvPKT0_PKT1_PT2_iii15HIP_vector_typeIjLj3EESB_SB_SB_SB_iiiiiiiiiiiDpT3_.private_seg_size, 0
	.set _ZL11k_bin_bcastIXadL_ZL6op_addffEEfffJPKfS1_EEvPKT0_PKT1_PT2_iii15HIP_vector_typeIjLj3EESB_SB_SB_SB_iiiiiiiiiiiDpT3_.uses_vcc, 1
	.set _ZL11k_bin_bcastIXadL_ZL6op_addffEEfffJPKfS1_EEvPKT0_PKT1_PT2_iii15HIP_vector_typeIjLj3EESB_SB_SB_SB_iiiiiiiiiiiDpT3_.uses_flat_scratch, 0
	.set _ZL11k_bin_bcastIXadL_ZL6op_addffEEfffJPKfS1_EEvPKT0_PKT1_PT2_iii15HIP_vector_typeIjLj3EESB_SB_SB_SB_iiiiiiiiiiiDpT3_.has_dyn_sized_stack, 0
	.set _ZL11k_bin_bcastIXadL_ZL6op_addffEEfffJPKfS1_EEvPKT0_PKT1_PT2_iii15HIP_vector_typeIjLj3EESB_SB_SB_SB_iiiiiiiiiiiDpT3_.has_recursion, 0
	.set _ZL11k_bin_bcastIXadL_ZL6op_addffEEfffJPKfS1_EEvPKT0_PKT1_PT2_iii15HIP_vector_typeIjLj3EESB_SB_SB_SB_iiiiiiiiiiiDpT3_.has_indirect_call, 0
	.section	.AMDGPU.csdata,"",@progbits
; Kernel info:
; codeLenInByte = 904
; TotalNumSgprs: 41
; NumVgprs: 16
; ScratchSize: 0
; MemoryBound: 0
; FloatMode: 240
; IeeeMode: 1
; LDSByteSize: 0 bytes/workgroup (compile time only)
; SGPRBlocks: 0
; VGPRBlocks: 0
; NumSGPRsForWavesPerEU: 41
; NumVGPRsForWavesPerEU: 16
; NamedBarCnt: 0
; Occupancy: 16
; WaveLimiterHint : 1
; COMPUTE_PGM_RSRC2:SCRATCH_EN: 0
; COMPUTE_PGM_RSRC2:USER_SGPR: 2
; COMPUTE_PGM_RSRC2:TRAP_HANDLER: 0
; COMPUTE_PGM_RSRC2:TGID_X_EN: 1
; COMPUTE_PGM_RSRC2:TGID_Y_EN: 1
; COMPUTE_PGM_RSRC2:TGID_Z_EN: 1
; COMPUTE_PGM_RSRC2:TIDIG_COMP_CNT: 2
	.section	.text._ZL19k_bin_bcast_unravelIXadL_ZL6op_addffEE6__halfS0_S0_JPKS0_S2_EEvPKT0_PKT1_PT2_15HIP_vector_typeIjLj3EESC_SC_jSC_SC_SC_SC_SC_SC_iiiiiiiiiiiDpT3_,"axG",@progbits,_ZL19k_bin_bcast_unravelIXadL_ZL6op_addffEE6__halfS0_S0_JPKS0_S2_EEvPKT0_PKT1_PT2_15HIP_vector_typeIjLj3EESC_SC_jSC_SC_SC_SC_SC_SC_iiiiiiiiiiiDpT3_,comdat
	.globl	_ZL19k_bin_bcast_unravelIXadL_ZL6op_addffEE6__halfS0_S0_JPKS0_S2_EEvPKT0_PKT1_PT2_15HIP_vector_typeIjLj3EESC_SC_jSC_SC_SC_SC_SC_SC_iiiiiiiiiiiDpT3_ ; -- Begin function _ZL19k_bin_bcast_unravelIXadL_ZL6op_addffEE6__halfS0_S0_JPKS0_S2_EEvPKT0_PKT1_PT2_15HIP_vector_typeIjLj3EESC_SC_jSC_SC_SC_SC_SC_SC_iiiiiiiiiiiDpT3_
	.p2align	8
	.type	_ZL19k_bin_bcast_unravelIXadL_ZL6op_addffEE6__halfS0_S0_JPKS0_S2_EEvPKT0_PKT1_PT2_15HIP_vector_typeIjLj3EESC_SC_jSC_SC_SC_SC_SC_SC_iiiiiiiiiiiDpT3_,@function
_ZL19k_bin_bcast_unravelIXadL_ZL6op_addffEE6__halfS0_S0_JPKS0_S2_EEvPKT0_PKT1_PT2_15HIP_vector_typeIjLj3EESC_SC_jSC_SC_SC_SC_SC_SC_iiiiiiiiiiiDpT3_: ; @_ZL19k_bin_bcast_unravelIXadL_ZL6op_addffEE6__halfS0_S0_JPKS0_S2_EEvPKT0_PKT1_PT2_15HIP_vector_typeIjLj3EESC_SC_jSC_SC_SC_SC_SC_SC_iiiiiiiiiiiDpT3_
; %bb.0:
	s_load_b32 s2, s[0:1], 0xd4
	s_bfe_u32 s3, ttmp6, 0x4000c
	s_load_b256 s[4:11], s[0:1], 0x38
	s_add_co_i32 s3, s3, 1
	s_and_b32 s12, ttmp6, 15
	s_mul_i32 s3, ttmp9, s3
	s_getreg_b32 s13, hwreg(HW_REG_IB_STS2, 6, 4)
	s_add_co_i32 s12, s12, s3
	s_wait_kmcnt 0x0
	s_and_b32 s2, s2, 0xffff
	s_cmp_eq_u32 s13, 0
	s_cselect_b32 s3, ttmp9, s12
	s_delay_alu instid0(SALU_CYCLE_1) | instskip(SKIP_1) | instid1(VALU_DEP_1)
	v_mad_u32 v0, s3, s2, v0
	s_load_b32 s2, s[0:1], 0x2c
	v_mul_hi_u32 v1, v0, s6
	s_delay_alu instid0(VALU_DEP_1) | instskip(NEXT) | instid1(VALU_DEP_1)
	v_add_nc_u32_e32 v1, v0, v1
	v_lshrrev_b32_e32 v1, s7, v1
	s_delay_alu instid0(VALU_DEP_1) | instskip(NEXT) | instid1(VALU_DEP_1)
	v_mul_lo_u32 v2, v1, s8
	v_sub_nc_u32_e32 v0, v0, v2
	s_delay_alu instid0(VALU_DEP_1) | instskip(NEXT) | instid1(VALU_DEP_1)
	v_mul_hi_u32 v2, v0, s9
	v_add_nc_u32_e32 v2, v0, v2
	s_delay_alu instid0(VALU_DEP_1) | instskip(SKIP_1) | instid1(VALU_DEP_1)
	v_lshrrev_b32_e32 v2, s10, v2
	s_load_b96 s[8:10], s[0:1], 0x18
	v_mul_lo_u32 v3, v2, s11
	s_delay_alu instid0(VALU_DEP_1) | instskip(SKIP_3) | instid1(VALU_DEP_3)
	v_sub_nc_u32_e32 v0, v0, v3
	v_cmp_gt_u32_e64 s3, s4, v2
	v_cmp_gt_u32_e64 s4, s5, v1
	s_wait_kmcnt 0x0
	v_mul_hi_u32 v3, v0, s8
	s_delay_alu instid0(VALU_DEP_1) | instskip(NEXT) | instid1(VALU_DEP_1)
	v_add_nc_u32_e32 v3, v0, v3
	v_lshrrev_b32_e32 v4, s9, v3
	s_delay_alu instid0(VALU_DEP_1) | instskip(NEXT) | instid1(VALU_DEP_1)
	v_mul_lo_u32 v3, v4, s10
	v_sub_nc_u32_e32 v0, v0, v3
	v_cmp_gt_u32_e64 s2, s2, v4
	s_delay_alu instid0(VALU_DEP_2) | instskip(SKIP_1) | instid1(SALU_CYCLE_1)
	v_cmp_gt_u32_e32 vcc_lo, s10, v0
	s_and_b32 s2, vcc_lo, s2
	s_and_b32 s2, s2, s3
	s_delay_alu instid0(SALU_CYCLE_1) | instskip(NEXT) | instid1(SALU_CYCLE_1)
	s_and_b32 s2, s4, s2
	s_and_saveexec_b32 s3, s2
	s_cbranch_execz .LBB42_4
; %bb.1:
	s_clause 0x4
	s_load_b64 s[2:3], s[0:1], 0x0
	s_load_b96 s[24:26], s[0:1], 0xa8
	s_load_b256 s[4:11], s[0:1], 0x88
	s_load_b128 s[20:23], s[0:1], 0x78
	s_load_b256 s[12:19], s[0:1], 0x58
	v_dual_mov_b32 v3, 0 :: v_dual_mov_b32 v5, 0
	s_wait_kmcnt 0x0
	s_cmp_eq_u64 s[2:3], 0
	s_cbranch_scc1 .LBB42_3
; %bb.2:
	v_mul_lo_u32 v5, v1, s10
	v_mov_b32_e32 v7, 0
	s_delay_alu instid0(VALU_DEP_2) | instskip(NEXT) | instid1(VALU_DEP_1)
	v_mad_u32 v5, v2, s9, v5
	v_mad_u32 v6, v4, s8, v5
	s_delay_alu instid0(VALU_DEP_1) | instskip(SKIP_1) | instid1(VALU_DEP_1)
	v_lshl_add_u64 v[8:9], v[6:7], 1, s[2:3]
	v_mul_lo_u32 v6, v0, s7
	v_lshl_add_u64 v[6:7], v[6:7], 1, v[8:9]
	global_load_u16 v5, v[6:7], off
	s_wait_loadcnt 0x0
	v_cvt_f32_f16_e32 v5, v5
.LBB42_3:
	v_mul_hi_u32 v6, s21, v1
	v_mul_hi_u32 v7, s18, v2
	;; [unrolled: 1-line block ×4, first 2 shown]
	s_delay_alu instid0(VALU_DEP_3) | instskip(NEXT) | instid1(VALU_DEP_1)
	v_dual_add_nc_u32 v6, v1, v6 :: v_dual_add_nc_u32 v7, v2, v7
	v_dual_lshrrev_b32 v6, s22, v6 :: v_dual_lshrrev_b32 v7, s19, v7
	s_delay_alu instid0(VALU_DEP_1) | instskip(SKIP_1) | instid1(VALU_DEP_3)
	v_mul_lo_u32 v6, v6, s23
	v_add_nc_u32_e32 v8, v4, v8
	v_mul_lo_u32 v7, v7, s20
	s_delay_alu instid0(VALU_DEP_3) | instskip(NEXT) | instid1(VALU_DEP_3)
	v_dual_sub_nc_u32 v6, v1, v6 :: v_dual_add_nc_u32 v9, v0, v9
	v_lshrrev_b32_e32 v8, s16, v8
	v_mul_lo_u32 v1, v1, s6
	s_delay_alu instid0(VALU_DEP_4) | instskip(NEXT) | instid1(VALU_DEP_4)
	v_sub_nc_u32_e32 v7, v2, v7
	v_mul_lo_u32 v6, v6, s26
	v_lshrrev_b32_e32 v9, s13, v9
	v_mul_lo_u32 v8, v8, s17
	s_delay_alu instid0(VALU_DEP_2) | instskip(SKIP_2) | instid1(VALU_DEP_4)
	v_mul_lo_u32 v9, v9, s14
	v_mad_u32 v1, v2, s5, v1
	v_mad_u32 v7, v7, s25, v6
	v_sub_nc_u32_e32 v8, v4, v8
	s_delay_alu instid0(VALU_DEP_3) | instskip(NEXT) | instid1(VALU_DEP_2)
	v_mad_u32 v2, v4, s4, v1
	v_mad_u32 v8, v8, s24, v7
	s_delay_alu instid0(VALU_DEP_1) | instskip(NEXT) | instid1(VALU_DEP_1)
	v_dual_sub_nc_u32 v6, v0, v9 :: v_dual_ashrrev_i32 v9, 31, v8
	v_mul_lo_u32 v6, v6, s11
	s_load_b128 s[8:11], s[0:1], 0xb8
	s_delay_alu instid0(VALU_DEP_1) | instskip(SKIP_2) | instid1(VALU_DEP_1)
	v_ashrrev_i32_e32 v7, 31, v6
	s_wait_xcnt 0x0
	s_load_b64 s[0:1], s[0:1], 0x10
	v_add_nc_u64_e32 v[6:7], v[6:7], v[8:9]
	s_delay_alu instid0(VALU_DEP_1) | instskip(SKIP_1) | instid1(VALU_DEP_1)
	v_lshlrev_b64_e32 v[6:7], 1, v[6:7]
	s_wait_kmcnt 0x0
	v_add_nc_u64_e32 v[8:9], s[8:9], v[6:7]
	v_add_nc_u64_e32 v[6:7], s[10:11], v[6:7]
	global_load_u16 v10, v[8:9], off
	global_load_u16 v11, v[6:7], off
	s_wait_loadcnt 0x1
	v_cvt_f32_f16_e32 v1, v10
	s_wait_loadcnt 0x0
	v_cvt_f32_f16_e32 v4, v11
	s_delay_alu instid0(VALU_DEP_2) | instskip(SKIP_1) | instid1(VALU_DEP_2)
	v_dual_add_f32 v5, v5, v1 :: v_dual_mov_b32 v1, v3
	v_lshl_add_u64 v[2:3], v[2:3], 1, s[0:1]
	v_add_f32_e32 v4, v5, v4
	s_delay_alu instid0(VALU_DEP_2) | instskip(NEXT) | instid1(VALU_DEP_2)
	v_lshl_add_u64 v[0:1], v[0:1], 1, v[2:3]
	v_cvt_f16_f32_e32 v4, v4
	global_store_b16 v[0:1], v4, off
.LBB42_4:
	s_endpgm
	.section	.rodata,"a",@progbits
	.p2align	6, 0x0
	.amdhsa_kernel _ZL19k_bin_bcast_unravelIXadL_ZL6op_addffEE6__halfS0_S0_JPKS0_S2_EEvPKT0_PKT1_PT2_15HIP_vector_typeIjLj3EESC_SC_jSC_SC_SC_SC_SC_SC_iiiiiiiiiiiDpT3_
		.amdhsa_group_segment_fixed_size 0
		.amdhsa_private_segment_fixed_size 0
		.amdhsa_kernarg_size 456
		.amdhsa_user_sgpr_count 2
		.amdhsa_user_sgpr_dispatch_ptr 0
		.amdhsa_user_sgpr_queue_ptr 0
		.amdhsa_user_sgpr_kernarg_segment_ptr 1
		.amdhsa_user_sgpr_dispatch_id 0
		.amdhsa_user_sgpr_kernarg_preload_length 0
		.amdhsa_user_sgpr_kernarg_preload_offset 0
		.amdhsa_user_sgpr_private_segment_size 0
		.amdhsa_wavefront_size32 1
		.amdhsa_uses_dynamic_stack 0
		.amdhsa_enable_private_segment 0
		.amdhsa_system_sgpr_workgroup_id_x 1
		.amdhsa_system_sgpr_workgroup_id_y 0
		.amdhsa_system_sgpr_workgroup_id_z 0
		.amdhsa_system_sgpr_workgroup_info 0
		.amdhsa_system_vgpr_workitem_id 0
		.amdhsa_next_free_vgpr 12
		.amdhsa_next_free_sgpr 27
		.amdhsa_named_barrier_count 0
		.amdhsa_reserve_vcc 1
		.amdhsa_float_round_mode_32 0
		.amdhsa_float_round_mode_16_64 0
		.amdhsa_float_denorm_mode_32 3
		.amdhsa_float_denorm_mode_16_64 3
		.amdhsa_fp16_overflow 0
		.amdhsa_memory_ordered 1
		.amdhsa_forward_progress 1
		.amdhsa_inst_pref_size 7
		.amdhsa_round_robin_scheduling 0
		.amdhsa_exception_fp_ieee_invalid_op 0
		.amdhsa_exception_fp_denorm_src 0
		.amdhsa_exception_fp_ieee_div_zero 0
		.amdhsa_exception_fp_ieee_overflow 0
		.amdhsa_exception_fp_ieee_underflow 0
		.amdhsa_exception_fp_ieee_inexact 0
		.amdhsa_exception_int_div_zero 0
	.end_amdhsa_kernel
	.section	.text._ZL19k_bin_bcast_unravelIXadL_ZL6op_addffEE6__halfS0_S0_JPKS0_S2_EEvPKT0_PKT1_PT2_15HIP_vector_typeIjLj3EESC_SC_jSC_SC_SC_SC_SC_SC_iiiiiiiiiiiDpT3_,"axG",@progbits,_ZL19k_bin_bcast_unravelIXadL_ZL6op_addffEE6__halfS0_S0_JPKS0_S2_EEvPKT0_PKT1_PT2_15HIP_vector_typeIjLj3EESC_SC_jSC_SC_SC_SC_SC_SC_iiiiiiiiiiiDpT3_,comdat
.Lfunc_end42:
	.size	_ZL19k_bin_bcast_unravelIXadL_ZL6op_addffEE6__halfS0_S0_JPKS0_S2_EEvPKT0_PKT1_PT2_15HIP_vector_typeIjLj3EESC_SC_jSC_SC_SC_SC_SC_SC_iiiiiiiiiiiDpT3_, .Lfunc_end42-_ZL19k_bin_bcast_unravelIXadL_ZL6op_addffEE6__halfS0_S0_JPKS0_S2_EEvPKT0_PKT1_PT2_15HIP_vector_typeIjLj3EESC_SC_jSC_SC_SC_SC_SC_SC_iiiiiiiiiiiDpT3_
                                        ; -- End function
	.set _ZL19k_bin_bcast_unravelIXadL_ZL6op_addffEE6__halfS0_S0_JPKS0_S2_EEvPKT0_PKT1_PT2_15HIP_vector_typeIjLj3EESC_SC_jSC_SC_SC_SC_SC_SC_iiiiiiiiiiiDpT3_.num_vgpr, 12
	.set _ZL19k_bin_bcast_unravelIXadL_ZL6op_addffEE6__halfS0_S0_JPKS0_S2_EEvPKT0_PKT1_PT2_15HIP_vector_typeIjLj3EESC_SC_jSC_SC_SC_SC_SC_SC_iiiiiiiiiiiDpT3_.num_agpr, 0
	.set _ZL19k_bin_bcast_unravelIXadL_ZL6op_addffEE6__halfS0_S0_JPKS0_S2_EEvPKT0_PKT1_PT2_15HIP_vector_typeIjLj3EESC_SC_jSC_SC_SC_SC_SC_SC_iiiiiiiiiiiDpT3_.numbered_sgpr, 27
	.set _ZL19k_bin_bcast_unravelIXadL_ZL6op_addffEE6__halfS0_S0_JPKS0_S2_EEvPKT0_PKT1_PT2_15HIP_vector_typeIjLj3EESC_SC_jSC_SC_SC_SC_SC_SC_iiiiiiiiiiiDpT3_.num_named_barrier, 0
	.set _ZL19k_bin_bcast_unravelIXadL_ZL6op_addffEE6__halfS0_S0_JPKS0_S2_EEvPKT0_PKT1_PT2_15HIP_vector_typeIjLj3EESC_SC_jSC_SC_SC_SC_SC_SC_iiiiiiiiiiiDpT3_.private_seg_size, 0
	.set _ZL19k_bin_bcast_unravelIXadL_ZL6op_addffEE6__halfS0_S0_JPKS0_S2_EEvPKT0_PKT1_PT2_15HIP_vector_typeIjLj3EESC_SC_jSC_SC_SC_SC_SC_SC_iiiiiiiiiiiDpT3_.uses_vcc, 1
	.set _ZL19k_bin_bcast_unravelIXadL_ZL6op_addffEE6__halfS0_S0_JPKS0_S2_EEvPKT0_PKT1_PT2_15HIP_vector_typeIjLj3EESC_SC_jSC_SC_SC_SC_SC_SC_iiiiiiiiiiiDpT3_.uses_flat_scratch, 0
	.set _ZL19k_bin_bcast_unravelIXadL_ZL6op_addffEE6__halfS0_S0_JPKS0_S2_EEvPKT0_PKT1_PT2_15HIP_vector_typeIjLj3EESC_SC_jSC_SC_SC_SC_SC_SC_iiiiiiiiiiiDpT3_.has_dyn_sized_stack, 0
	.set _ZL19k_bin_bcast_unravelIXadL_ZL6op_addffEE6__halfS0_S0_JPKS0_S2_EEvPKT0_PKT1_PT2_15HIP_vector_typeIjLj3EESC_SC_jSC_SC_SC_SC_SC_SC_iiiiiiiiiiiDpT3_.has_recursion, 0
	.set _ZL19k_bin_bcast_unravelIXadL_ZL6op_addffEE6__halfS0_S0_JPKS0_S2_EEvPKT0_PKT1_PT2_15HIP_vector_typeIjLj3EESC_SC_jSC_SC_SC_SC_SC_SC_iiiiiiiiiiiDpT3_.has_indirect_call, 0
	.section	.AMDGPU.csdata,"",@progbits
; Kernel info:
; codeLenInByte = 780
; TotalNumSgprs: 29
; NumVgprs: 12
; ScratchSize: 0
; MemoryBound: 0
; FloatMode: 240
; IeeeMode: 1
; LDSByteSize: 0 bytes/workgroup (compile time only)
; SGPRBlocks: 0
; VGPRBlocks: 0
; NumSGPRsForWavesPerEU: 29
; NumVGPRsForWavesPerEU: 12
; NamedBarCnt: 0
; Occupancy: 16
; WaveLimiterHint : 1
; COMPUTE_PGM_RSRC2:SCRATCH_EN: 0
; COMPUTE_PGM_RSRC2:USER_SGPR: 2
; COMPUTE_PGM_RSRC2:TRAP_HANDLER: 0
; COMPUTE_PGM_RSRC2:TGID_X_EN: 1
; COMPUTE_PGM_RSRC2:TGID_Y_EN: 0
; COMPUTE_PGM_RSRC2:TGID_Z_EN: 0
; COMPUTE_PGM_RSRC2:TIDIG_COMP_CNT: 0
	.section	.text._ZL11k_bin_bcastIXadL_ZL6op_addffEE6__halfS0_S0_JPKS0_S2_EEvPKT0_PKT1_PT2_iii15HIP_vector_typeIjLj3EESC_SC_SC_SC_iiiiiiiiiiiDpT3_,"axG",@progbits,_ZL11k_bin_bcastIXadL_ZL6op_addffEE6__halfS0_S0_JPKS0_S2_EEvPKT0_PKT1_PT2_iii15HIP_vector_typeIjLj3EESC_SC_SC_SC_iiiiiiiiiiiDpT3_,comdat
	.globl	_ZL11k_bin_bcastIXadL_ZL6op_addffEE6__halfS0_S0_JPKS0_S2_EEvPKT0_PKT1_PT2_iii15HIP_vector_typeIjLj3EESC_SC_SC_SC_iiiiiiiiiiiDpT3_ ; -- Begin function _ZL11k_bin_bcastIXadL_ZL6op_addffEE6__halfS0_S0_JPKS0_S2_EEvPKT0_PKT1_PT2_iii15HIP_vector_typeIjLj3EESC_SC_SC_SC_iiiiiiiiiiiDpT3_
	.p2align	8
	.type	_ZL11k_bin_bcastIXadL_ZL6op_addffEE6__halfS0_S0_JPKS0_S2_EEvPKT0_PKT1_PT2_iii15HIP_vector_typeIjLj3EESC_SC_SC_SC_iiiiiiiiiiiDpT3_,@function
_ZL11k_bin_bcastIXadL_ZL6op_addffEE6__halfS0_S0_JPKS0_S2_EEvPKT0_PKT1_PT2_iii15HIP_vector_typeIjLj3EESC_SC_SC_SC_iiiiiiiiiiiDpT3_: ; @_ZL11k_bin_bcastIXadL_ZL6op_addffEE6__halfS0_S0_JPKS0_S2_EEvPKT0_PKT1_PT2_iii15HIP_vector_typeIjLj3EESC_SC_SC_SC_iiiiiiiiiiiDpT3_
; %bb.0:
	s_load_b64 s[2:3], s[0:1], 0xac
	s_bfe_u32 s5, ttmp6, 0x40014
	s_bfe_u32 s16, ttmp6, 0x40010
	s_bfe_u32 s19, ttmp6, 0x4000c
	s_lshr_b32 s4, ttmp7, 16
	s_add_co_i32 s5, s5, 1
	s_and_b32 s7, ttmp7, 0xffff
	s_load_b256 s[8:15], s[0:1], 0x18
	s_add_co_i32 s16, s16, 1
	s_add_co_i32 s19, s19, 1
	s_bfe_u32 s6, ttmp6, 0x40008
	s_mul_i32 s5, s4, s5
	s_bfe_u32 s17, ttmp6, 0x40004
	s_and_b32 s18, ttmp6, 15
	s_mul_i32 s16, s7, s16
	s_mul_i32 s19, ttmp9, s19
	s_add_co_i32 s6, s6, s5
	s_add_co_i32 s17, s17, s16
	;; [unrolled: 1-line block ×3, first 2 shown]
	v_bfe_u32 v1, v0, 20, 10
	s_wait_kmcnt 0x0
	s_lshr_b32 s5, s2, 16
	s_and_b32 s33, s2, 0xffff
	s_getreg_b32 s2, hwreg(HW_REG_IB_STS2, 6, 4)
	s_and_b32 s3, s3, 0xffff
	s_cmp_eq_u32 s2, 0
	v_and_b32_e32 v2, 0x3ff, v0
	s_cselect_b32 s2, s4, s6
	v_bfe_u32 v4, v0, 10, 10
	v_mad_u32 v3, s2, s3, v1
	s_cselect_b32 s2, ttmp9, s18
	s_cselect_b32 s3, s7, s17
	v_mad_u32 v0, s2, s33, v2
	v_mad_u32 v2, s3, s5, v4
	s_delay_alu instid0(VALU_DEP_3) | instskip(NEXT) | instid1(VALU_DEP_3)
	v_mul_hi_u32 v1, v3, s11
	v_cmp_gt_u32_e32 vcc_lo, s8, v0
	s_delay_alu instid0(VALU_DEP_3) | instskip(SKIP_2) | instid1(VALU_DEP_1)
	v_cmp_gt_u32_e64 s2, s9, v2
	s_and_b32 s2, vcc_lo, s2
	v_add_nc_u32_e32 v1, v3, v1
	v_lshrrev_b32_e32 v1, s12, v1
	s_delay_alu instid0(VALU_DEP_1) | instskip(SKIP_3) | instid1(VALU_DEP_1)
	v_mul_lo_u32 v5, v1, s13
	v_cmp_gt_u32_e64 s3, s10, v1
	s_and_b32 s2, s2, s3
	v_sub_nc_u32_e32 v3, v3, v5
	v_cmp_gt_u32_e64 s4, s13, v3
	s_and_b32 s2, s2, s4
	s_delay_alu instid0(SALU_CYCLE_1)
	s_and_saveexec_b32 s3, s2
	s_cbranch_execz .LBB43_6
; %bb.1:
	v_cmp_gt_i32_e32 vcc_lo, s8, v0
	s_and_b32 exec_lo, exec_lo, vcc_lo
	s_cbranch_execz .LBB43_6
; %bb.2:
	s_clause 0x4
	s_load_b256 s[24:31], s[0:1], 0x3c
	s_load_b32 s2, s[0:1], 0x5c
	s_load_b256 s[16:23], s[0:1], 0x60
	s_load_b96 s[36:38], s[0:1], 0x80
	s_load_b128 s[4:7], s[0:1], 0x90
	s_add_nc_u64 s[10:11], s[0:1], 0xa0
	s_load_b64 s[12:13], s[0:1], 0x10
	s_wait_kmcnt 0x0
	v_mul_hi_u32 v4, s30, v3
	v_mul_hi_u32 v5, s27, v1
	;; [unrolled: 1-line block ×3, first 2 shown]
	v_mul_lo_u32 v7, v2, s20
	v_mul_lo_u32 v8, v2, s16
	s_load_b32 s9, s[10:11], 0x0
	s_load_b32 s16, s[0:1], 0x38
	s_delay_alu instid0(VALU_DEP_4) | instskip(NEXT) | instid1(VALU_DEP_3)
	v_dual_add_nc_u32 v4, v3, v4 :: v_dual_add_nc_u32 v5, v1, v5
	v_mad_u32 v7, v1, s21, v7
	s_delay_alu instid0(VALU_DEP_3) | instskip(NEXT) | instid1(VALU_DEP_3)
	v_mad_u32 v8, v1, s17, v8
	v_dual_lshrrev_b32 v4, s31, v4 :: v_dual_lshrrev_b32 v5, s28, v5
	s_delay_alu instid0(VALU_DEP_1) | instskip(SKIP_1) | instid1(VALU_DEP_3)
	v_mul_lo_u32 v4, v4, s2
	v_add_nc_u32_e32 v6, v2, v6
	v_mul_lo_u32 v5, v5, s29
	s_load_b64 s[2:3], s[0:1], 0x0
	s_wait_xcnt 0x0
	s_mov_b32 s1, 0
	v_mad_u32 v8, v3, s18, v8
	s_mov_b32 s0, s14
	s_mov_b32 s11, s1
	s_delay_alu instid0(VALU_DEP_4) | instskip(NEXT) | instid1(VALU_DEP_3)
	v_dual_sub_nc_u32 v4, v3, v4 :: v_dual_lshrrev_b32 v6, s25, v6
	v_sub_nc_u32_e32 v5, v1, v5
	s_delay_alu instid0(VALU_DEP_2) | instskip(NEXT) | instid1(VALU_DEP_3)
	v_mul_lo_u32 v9, v4, s38
	v_mul_lo_u32 v6, v6, s26
	v_mad_u32 v4, v3, s22, v7
	v_mov_b32_e32 v1, 0
	s_wait_kmcnt 0x0
	s_cmp_lg_u64 s[2:3], 0
	s_delay_alu instid0(VALU_DEP_4) | instskip(NEXT) | instid1(VALU_DEP_4)
	v_mad_u32 v7, v5, s37, v9
	v_sub_nc_u32_e32 v2, v2, v6
	v_mul_lo_u32 v6, s19, v0
	v_dual_mov_b32 v5, v1 :: v_dual_mov_b32 v9, v1
	v_mov_b32_e32 v3, v1
	s_delay_alu instid0(VALU_DEP_2) | instskip(NEXT) | instid1(VALU_DEP_3)
	v_lshl_add_u64 v[4:5], v[4:5], 1, s[2:3]
	v_lshl_add_u64 v[8:9], v[8:9], 1, s[12:13]
	s_mul_i32 s2, s9, s33
	v_mad_u32 v2, v2, s36, v7
	s_cselect_b32 s3, -1, 0
	s_mul_i32 s9, s2, s19
	s_sub_co_i32 s10, 0, s16
	s_branch .LBB43_4
.LBB43_3:                               ;   in Loop: Header=BB43_4 Depth=1
	s_wait_xcnt 0x0
	v_mul_u64_e32 v[10:11], s[0:1], v[0:1]
	s_delay_alu instid0(VALU_DEP_1) | instskip(NEXT) | instid1(VALU_DEP_1)
	v_dual_add_nc_u32 v6, s9, v6 :: v_dual_add_nc_u32 v10, v0, v11
	v_dual_mov_b32 v11, v1 :: v_dual_lshrrev_b32 v10, s15, v10
	s_delay_alu instid0(VALU_DEP_1) | instskip(NEXT) | instid1(VALU_DEP_1)
	v_mad_u32 v10, s10, v10, v0
	v_mul_lo_u32 v10, v10, s23
	s_delay_alu instid0(VALU_DEP_1) | instskip(NEXT) | instid1(VALU_DEP_1)
	v_add_nc_u64_e32 v[10:11], v[10:11], v[2:3]
	v_lshlrev_b64_e32 v[10:11], 1, v[10:11]
	s_delay_alu instid0(VALU_DEP_1)
	v_add_nc_u64_e32 v[12:13], s[4:5], v[10:11]
	v_add_nc_u64_e32 v[10:11], s[6:7], v[10:11]
	global_load_u16 v14, v[12:13], off
	global_load_u16 v15, v[10:11], off
	s_wait_xcnt 0x0
	v_ashrrev_i32_e32 v11, 31, v0
	s_wait_loadcnt 0x1
	v_cvt_f32_f16_e32 v10, v14
	s_wait_loadcnt 0x0
	v_cvt_f32_f16_e32 v12, v15
	s_delay_alu instid0(VALU_DEP_2) | instskip(SKIP_1) | instid1(VALU_DEP_2)
	v_dual_add_f32 v7, v7, v10 :: v_dual_mov_b32 v10, v0
	v_add_nc_u32_e32 v0, s2, v0
	v_add_f32_e32 v7, v7, v12
	s_delay_alu instid0(VALU_DEP_3) | instskip(NEXT) | instid1(VALU_DEP_3)
	v_lshl_add_u64 v[10:11], v[10:11], 1, v[8:9]
	v_cmp_le_i32_e32 vcc_lo, s8, v0
	s_delay_alu instid0(VALU_DEP_3)
	v_cvt_f16_f32_e32 v7, v7
	s_or_b32 s11, vcc_lo, s11
	global_store_b16 v[10:11], v7, off
	s_wait_xcnt 0x0
	s_and_not1_b32 exec_lo, exec_lo, s11
	s_cbranch_execz .LBB43_6
.LBB43_4:                               ; =>This Inner Loop Header: Depth=1
	v_mov_b32_e32 v7, 0
	s_and_not1_b32 vcc_lo, exec_lo, s3
	s_cbranch_vccnz .LBB43_3
; %bb.5:                                ;   in Loop: Header=BB43_4 Depth=1
	v_ashrrev_i32_e32 v7, 31, v6
	s_delay_alu instid0(VALU_DEP_1)
	v_lshl_add_u64 v[10:11], v[6:7], 1, v[4:5]
	global_load_u16 v7, v[10:11], off
	s_wait_loadcnt 0x0
	v_cvt_f32_f16_e32 v7, v7
	s_branch .LBB43_3
.LBB43_6:
	s_endpgm
	.section	.rodata,"a",@progbits
	.p2align	6, 0x0
	.amdhsa_kernel _ZL11k_bin_bcastIXadL_ZL6op_addffEE6__halfS0_S0_JPKS0_S2_EEvPKT0_PKT1_PT2_iii15HIP_vector_typeIjLj3EESC_SC_SC_SC_iiiiiiiiiiiDpT3_
		.amdhsa_group_segment_fixed_size 0
		.amdhsa_private_segment_fixed_size 0
		.amdhsa_kernarg_size 416
		.amdhsa_user_sgpr_count 2
		.amdhsa_user_sgpr_dispatch_ptr 0
		.amdhsa_user_sgpr_queue_ptr 0
		.amdhsa_user_sgpr_kernarg_segment_ptr 1
		.amdhsa_user_sgpr_dispatch_id 0
		.amdhsa_user_sgpr_kernarg_preload_length 0
		.amdhsa_user_sgpr_kernarg_preload_offset 0
		.amdhsa_user_sgpr_private_segment_size 0
		.amdhsa_wavefront_size32 1
		.amdhsa_uses_dynamic_stack 0
		.amdhsa_enable_private_segment 0
		.amdhsa_system_sgpr_workgroup_id_x 1
		.amdhsa_system_sgpr_workgroup_id_y 1
		.amdhsa_system_sgpr_workgroup_id_z 1
		.amdhsa_system_sgpr_workgroup_info 0
		.amdhsa_system_vgpr_workitem_id 2
		.amdhsa_next_free_vgpr 16
		.amdhsa_next_free_sgpr 39
		.amdhsa_named_barrier_count 0
		.amdhsa_reserve_vcc 1
		.amdhsa_float_round_mode_32 0
		.amdhsa_float_round_mode_16_64 0
		.amdhsa_float_denorm_mode_32 3
		.amdhsa_float_denorm_mode_16_64 3
		.amdhsa_fp16_overflow 0
		.amdhsa_memory_ordered 1
		.amdhsa_forward_progress 1
		.amdhsa_inst_pref_size 8
		.amdhsa_round_robin_scheduling 0
		.amdhsa_exception_fp_ieee_invalid_op 0
		.amdhsa_exception_fp_denorm_src 0
		.amdhsa_exception_fp_ieee_div_zero 0
		.amdhsa_exception_fp_ieee_overflow 0
		.amdhsa_exception_fp_ieee_underflow 0
		.amdhsa_exception_fp_ieee_inexact 0
		.amdhsa_exception_int_div_zero 0
	.end_amdhsa_kernel
	.section	.text._ZL11k_bin_bcastIXadL_ZL6op_addffEE6__halfS0_S0_JPKS0_S2_EEvPKT0_PKT1_PT2_iii15HIP_vector_typeIjLj3EESC_SC_SC_SC_iiiiiiiiiiiDpT3_,"axG",@progbits,_ZL11k_bin_bcastIXadL_ZL6op_addffEE6__halfS0_S0_JPKS0_S2_EEvPKT0_PKT1_PT2_iii15HIP_vector_typeIjLj3EESC_SC_SC_SC_iiiiiiiiiiiDpT3_,comdat
.Lfunc_end43:
	.size	_ZL11k_bin_bcastIXadL_ZL6op_addffEE6__halfS0_S0_JPKS0_S2_EEvPKT0_PKT1_PT2_iii15HIP_vector_typeIjLj3EESC_SC_SC_SC_iiiiiiiiiiiDpT3_, .Lfunc_end43-_ZL11k_bin_bcastIXadL_ZL6op_addffEE6__halfS0_S0_JPKS0_S2_EEvPKT0_PKT1_PT2_iii15HIP_vector_typeIjLj3EESC_SC_SC_SC_iiiiiiiiiiiDpT3_
                                        ; -- End function
	.set _ZL11k_bin_bcastIXadL_ZL6op_addffEE6__halfS0_S0_JPKS0_S2_EEvPKT0_PKT1_PT2_iii15HIP_vector_typeIjLj3EESC_SC_SC_SC_iiiiiiiiiiiDpT3_.num_vgpr, 16
	.set _ZL11k_bin_bcastIXadL_ZL6op_addffEE6__halfS0_S0_JPKS0_S2_EEvPKT0_PKT1_PT2_iii15HIP_vector_typeIjLj3EESC_SC_SC_SC_iiiiiiiiiiiDpT3_.num_agpr, 0
	.set _ZL11k_bin_bcastIXadL_ZL6op_addffEE6__halfS0_S0_JPKS0_S2_EEvPKT0_PKT1_PT2_iii15HIP_vector_typeIjLj3EESC_SC_SC_SC_iiiiiiiiiiiDpT3_.numbered_sgpr, 39
	.set _ZL11k_bin_bcastIXadL_ZL6op_addffEE6__halfS0_S0_JPKS0_S2_EEvPKT0_PKT1_PT2_iii15HIP_vector_typeIjLj3EESC_SC_SC_SC_iiiiiiiiiiiDpT3_.num_named_barrier, 0
	.set _ZL11k_bin_bcastIXadL_ZL6op_addffEE6__halfS0_S0_JPKS0_S2_EEvPKT0_PKT1_PT2_iii15HIP_vector_typeIjLj3EESC_SC_SC_SC_iiiiiiiiiiiDpT3_.private_seg_size, 0
	.set _ZL11k_bin_bcastIXadL_ZL6op_addffEE6__halfS0_S0_JPKS0_S2_EEvPKT0_PKT1_PT2_iii15HIP_vector_typeIjLj3EESC_SC_SC_SC_iiiiiiiiiiiDpT3_.uses_vcc, 1
	.set _ZL11k_bin_bcastIXadL_ZL6op_addffEE6__halfS0_S0_JPKS0_S2_EEvPKT0_PKT1_PT2_iii15HIP_vector_typeIjLj3EESC_SC_SC_SC_iiiiiiiiiiiDpT3_.uses_flat_scratch, 0
	.set _ZL11k_bin_bcastIXadL_ZL6op_addffEE6__halfS0_S0_JPKS0_S2_EEvPKT0_PKT1_PT2_iii15HIP_vector_typeIjLj3EESC_SC_SC_SC_iiiiiiiiiiiDpT3_.has_dyn_sized_stack, 0
	.set _ZL11k_bin_bcastIXadL_ZL6op_addffEE6__halfS0_S0_JPKS0_S2_EEvPKT0_PKT1_PT2_iii15HIP_vector_typeIjLj3EESC_SC_SC_SC_iiiiiiiiiiiDpT3_.has_recursion, 0
	.set _ZL11k_bin_bcastIXadL_ZL6op_addffEE6__halfS0_S0_JPKS0_S2_EEvPKT0_PKT1_PT2_iii15HIP_vector_typeIjLj3EESC_SC_SC_SC_iiiiiiiiiiiDpT3_.has_indirect_call, 0
	.section	.AMDGPU.csdata,"",@progbits
; Kernel info:
; codeLenInByte = 928
; TotalNumSgprs: 41
; NumVgprs: 16
; ScratchSize: 0
; MemoryBound: 0
; FloatMode: 240
; IeeeMode: 1
; LDSByteSize: 0 bytes/workgroup (compile time only)
; SGPRBlocks: 0
; VGPRBlocks: 0
; NumSGPRsForWavesPerEU: 41
; NumVGPRsForWavesPerEU: 16
; NamedBarCnt: 0
; Occupancy: 16
; WaveLimiterHint : 1
; COMPUTE_PGM_RSRC2:SCRATCH_EN: 0
; COMPUTE_PGM_RSRC2:USER_SGPR: 2
; COMPUTE_PGM_RSRC2:TRAP_HANDLER: 0
; COMPUTE_PGM_RSRC2:TGID_X_EN: 1
; COMPUTE_PGM_RSRC2:TGID_Y_EN: 1
; COMPUTE_PGM_RSRC2:TGID_Z_EN: 1
; COMPUTE_PGM_RSRC2:TIDIG_COMP_CNT: 2
	.section	.text._ZL19k_bin_bcast_unravelIXadL_ZL6op_addffEE6__halffS0_JPKfS2_EEvPKT0_PKT1_PT2_15HIP_vector_typeIjLj3EESC_SC_jSC_SC_SC_SC_SC_SC_iiiiiiiiiiiDpT3_,"axG",@progbits,_ZL19k_bin_bcast_unravelIXadL_ZL6op_addffEE6__halffS0_JPKfS2_EEvPKT0_PKT1_PT2_15HIP_vector_typeIjLj3EESC_SC_jSC_SC_SC_SC_SC_SC_iiiiiiiiiiiDpT3_,comdat
	.globl	_ZL19k_bin_bcast_unravelIXadL_ZL6op_addffEE6__halffS0_JPKfS2_EEvPKT0_PKT1_PT2_15HIP_vector_typeIjLj3EESC_SC_jSC_SC_SC_SC_SC_SC_iiiiiiiiiiiDpT3_ ; -- Begin function _ZL19k_bin_bcast_unravelIXadL_ZL6op_addffEE6__halffS0_JPKfS2_EEvPKT0_PKT1_PT2_15HIP_vector_typeIjLj3EESC_SC_jSC_SC_SC_SC_SC_SC_iiiiiiiiiiiDpT3_
	.p2align	8
	.type	_ZL19k_bin_bcast_unravelIXadL_ZL6op_addffEE6__halffS0_JPKfS2_EEvPKT0_PKT1_PT2_15HIP_vector_typeIjLj3EESC_SC_jSC_SC_SC_SC_SC_SC_iiiiiiiiiiiDpT3_,@function
_ZL19k_bin_bcast_unravelIXadL_ZL6op_addffEE6__halffS0_JPKfS2_EEvPKT0_PKT1_PT2_15HIP_vector_typeIjLj3EESC_SC_jSC_SC_SC_SC_SC_SC_iiiiiiiiiiiDpT3_: ; @_ZL19k_bin_bcast_unravelIXadL_ZL6op_addffEE6__halffS0_JPKfS2_EEvPKT0_PKT1_PT2_15HIP_vector_typeIjLj3EESC_SC_jSC_SC_SC_SC_SC_SC_iiiiiiiiiiiDpT3_
; %bb.0:
	s_load_b32 s2, s[0:1], 0xd4
	s_bfe_u32 s3, ttmp6, 0x4000c
	s_load_b256 s[4:11], s[0:1], 0x38
	s_add_co_i32 s3, s3, 1
	s_and_b32 s12, ttmp6, 15
	s_mul_i32 s3, ttmp9, s3
	s_getreg_b32 s13, hwreg(HW_REG_IB_STS2, 6, 4)
	s_add_co_i32 s12, s12, s3
	s_wait_kmcnt 0x0
	s_and_b32 s2, s2, 0xffff
	s_cmp_eq_u32 s13, 0
	s_cselect_b32 s3, ttmp9, s12
	s_delay_alu instid0(SALU_CYCLE_1) | instskip(SKIP_1) | instid1(VALU_DEP_1)
	v_mad_u32 v0, s3, s2, v0
	s_load_b32 s2, s[0:1], 0x2c
	v_mul_hi_u32 v1, v0, s6
	s_delay_alu instid0(VALU_DEP_1) | instskip(NEXT) | instid1(VALU_DEP_1)
	v_add_nc_u32_e32 v1, v0, v1
	v_lshrrev_b32_e32 v1, s7, v1
	s_delay_alu instid0(VALU_DEP_1) | instskip(NEXT) | instid1(VALU_DEP_1)
	v_mul_lo_u32 v2, v1, s8
	v_sub_nc_u32_e32 v0, v0, v2
	s_delay_alu instid0(VALU_DEP_1) | instskip(NEXT) | instid1(VALU_DEP_1)
	v_mul_hi_u32 v2, v0, s9
	v_add_nc_u32_e32 v2, v0, v2
	s_delay_alu instid0(VALU_DEP_1) | instskip(SKIP_1) | instid1(VALU_DEP_1)
	v_lshrrev_b32_e32 v2, s10, v2
	s_load_b96 s[8:10], s[0:1], 0x18
	v_mul_lo_u32 v3, v2, s11
	s_delay_alu instid0(VALU_DEP_1) | instskip(SKIP_3) | instid1(VALU_DEP_3)
	v_sub_nc_u32_e32 v0, v0, v3
	v_cmp_gt_u32_e64 s3, s4, v2
	v_cmp_gt_u32_e64 s4, s5, v1
	s_wait_kmcnt 0x0
	v_mul_hi_u32 v3, v0, s8
	s_delay_alu instid0(VALU_DEP_1) | instskip(NEXT) | instid1(VALU_DEP_1)
	v_add_nc_u32_e32 v3, v0, v3
	v_lshrrev_b32_e32 v4, s9, v3
	s_delay_alu instid0(VALU_DEP_1) | instskip(NEXT) | instid1(VALU_DEP_1)
	v_mul_lo_u32 v3, v4, s10
	v_sub_nc_u32_e32 v0, v0, v3
	v_cmp_gt_u32_e64 s2, s2, v4
	s_delay_alu instid0(VALU_DEP_2) | instskip(SKIP_1) | instid1(SALU_CYCLE_1)
	v_cmp_gt_u32_e32 vcc_lo, s10, v0
	s_and_b32 s2, vcc_lo, s2
	s_and_b32 s2, s2, s3
	s_delay_alu instid0(SALU_CYCLE_1) | instskip(NEXT) | instid1(SALU_CYCLE_1)
	s_and_b32 s2, s4, s2
	s_and_saveexec_b32 s3, s2
	s_cbranch_execz .LBB44_4
; %bb.1:
	s_clause 0x4
	s_load_b64 s[2:3], s[0:1], 0x0
	s_load_b96 s[24:26], s[0:1], 0xa8
	s_load_b256 s[4:11], s[0:1], 0x88
	s_load_b128 s[20:23], s[0:1], 0x78
	s_load_b256 s[12:19], s[0:1], 0x58
	v_dual_mov_b32 v3, 0 :: v_dual_mov_b32 v5, 0
	s_wait_kmcnt 0x0
	s_cmp_eq_u64 s[2:3], 0
	s_cbranch_scc1 .LBB44_3
; %bb.2:
	v_mul_lo_u32 v5, v1, s10
	v_mov_b32_e32 v7, 0
	s_delay_alu instid0(VALU_DEP_2) | instskip(NEXT) | instid1(VALU_DEP_1)
	v_mad_u32 v5, v2, s9, v5
	v_mad_u32 v6, v4, s8, v5
	s_delay_alu instid0(VALU_DEP_1) | instskip(SKIP_1) | instid1(VALU_DEP_1)
	v_lshl_add_u64 v[8:9], v[6:7], 1, s[2:3]
	v_mul_lo_u32 v6, v0, s7
	v_lshl_add_u64 v[6:7], v[6:7], 1, v[8:9]
	global_load_u16 v5, v[6:7], off
	s_wait_loadcnt 0x0
	v_cvt_f32_f16_e32 v5, v5
.LBB44_3:
	v_mul_hi_u32 v6, s21, v1
	v_mul_hi_u32 v7, s18, v2
	;; [unrolled: 1-line block ×4, first 2 shown]
	s_delay_alu instid0(VALU_DEP_3) | instskip(NEXT) | instid1(VALU_DEP_1)
	v_dual_add_nc_u32 v6, v1, v6 :: v_dual_add_nc_u32 v7, v2, v7
	v_dual_lshrrev_b32 v6, s22, v6 :: v_dual_lshrrev_b32 v7, s19, v7
	s_delay_alu instid0(VALU_DEP_1) | instskip(SKIP_1) | instid1(VALU_DEP_3)
	v_mul_lo_u32 v6, v6, s23
	v_add_nc_u32_e32 v8, v4, v8
	v_mul_lo_u32 v7, v7, s20
	s_delay_alu instid0(VALU_DEP_3) | instskip(NEXT) | instid1(VALU_DEP_3)
	v_dual_sub_nc_u32 v6, v1, v6 :: v_dual_add_nc_u32 v9, v0, v9
	v_lshrrev_b32_e32 v8, s16, v8
	v_mul_lo_u32 v1, v1, s6
	s_delay_alu instid0(VALU_DEP_4) | instskip(NEXT) | instid1(VALU_DEP_4)
	v_sub_nc_u32_e32 v7, v2, v7
	v_mul_lo_u32 v6, v6, s26
	v_lshrrev_b32_e32 v9, s13, v9
	v_mul_lo_u32 v8, v8, s17
	s_delay_alu instid0(VALU_DEP_2) | instskip(SKIP_2) | instid1(VALU_DEP_4)
	v_mul_lo_u32 v9, v9, s14
	v_mad_u32 v1, v2, s5, v1
	v_mad_u32 v7, v7, s25, v6
	v_sub_nc_u32_e32 v8, v4, v8
	s_delay_alu instid0(VALU_DEP_3) | instskip(SKIP_1) | instid1(VALU_DEP_3)
	v_mad_u32 v2, v4, s4, v1
	v_mov_b32_e32 v1, v3
	v_mad_u32 v8, v8, s24, v7
	s_delay_alu instid0(VALU_DEP_1) | instskip(NEXT) | instid1(VALU_DEP_1)
	v_dual_sub_nc_u32 v6, v0, v9 :: v_dual_ashrrev_i32 v9, 31, v8
	v_mul_lo_u32 v6, v6, s11
	s_load_b128 s[8:11], s[0:1], 0xb8
	s_delay_alu instid0(VALU_DEP_1) | instskip(SKIP_2) | instid1(VALU_DEP_1)
	v_ashrrev_i32_e32 v7, 31, v6
	s_wait_xcnt 0x0
	s_load_b64 s[0:1], s[0:1], 0x10
	v_add_nc_u64_e32 v[6:7], v[6:7], v[8:9]
	s_delay_alu instid0(VALU_DEP_1) | instskip(SKIP_1) | instid1(VALU_DEP_1)
	v_lshlrev_b64_e32 v[6:7], 2, v[6:7]
	s_wait_kmcnt 0x0
	v_add_nc_u64_e32 v[8:9], s[8:9], v[6:7]
	v_add_nc_u64_e32 v[6:7], s[10:11], v[6:7]
	global_load_b32 v10, v[8:9], off
	global_load_b32 v11, v[6:7], off
	v_lshl_add_u64 v[2:3], v[2:3], 1, s[0:1]
	s_delay_alu instid0(VALU_DEP_1) | instskip(SKIP_3) | instid1(VALU_DEP_1)
	v_lshl_add_u64 v[0:1], v[0:1], 1, v[2:3]
	s_wait_loadcnt 0x1
	v_add_f32_e32 v4, v5, v10
	s_wait_loadcnt 0x0
	v_add_f32_e32 v4, v4, v11
	s_delay_alu instid0(VALU_DEP_1)
	v_cvt_f16_f32_e32 v4, v4
	global_store_b16 v[0:1], v4, off
.LBB44_4:
	s_endpgm
	.section	.rodata,"a",@progbits
	.p2align	6, 0x0
	.amdhsa_kernel _ZL19k_bin_bcast_unravelIXadL_ZL6op_addffEE6__halffS0_JPKfS2_EEvPKT0_PKT1_PT2_15HIP_vector_typeIjLj3EESC_SC_jSC_SC_SC_SC_SC_SC_iiiiiiiiiiiDpT3_
		.amdhsa_group_segment_fixed_size 0
		.amdhsa_private_segment_fixed_size 0
		.amdhsa_kernarg_size 456
		.amdhsa_user_sgpr_count 2
		.amdhsa_user_sgpr_dispatch_ptr 0
		.amdhsa_user_sgpr_queue_ptr 0
		.amdhsa_user_sgpr_kernarg_segment_ptr 1
		.amdhsa_user_sgpr_dispatch_id 0
		.amdhsa_user_sgpr_kernarg_preload_length 0
		.amdhsa_user_sgpr_kernarg_preload_offset 0
		.amdhsa_user_sgpr_private_segment_size 0
		.amdhsa_wavefront_size32 1
		.amdhsa_uses_dynamic_stack 0
		.amdhsa_enable_private_segment 0
		.amdhsa_system_sgpr_workgroup_id_x 1
		.amdhsa_system_sgpr_workgroup_id_y 0
		.amdhsa_system_sgpr_workgroup_id_z 0
		.amdhsa_system_sgpr_workgroup_info 0
		.amdhsa_system_vgpr_workitem_id 0
		.amdhsa_next_free_vgpr 12
		.amdhsa_next_free_sgpr 27
		.amdhsa_named_barrier_count 0
		.amdhsa_reserve_vcc 1
		.amdhsa_float_round_mode_32 0
		.amdhsa_float_round_mode_16_64 0
		.amdhsa_float_denorm_mode_32 3
		.amdhsa_float_denorm_mode_16_64 3
		.amdhsa_fp16_overflow 0
		.amdhsa_memory_ordered 1
		.amdhsa_forward_progress 1
		.amdhsa_inst_pref_size 6
		.amdhsa_round_robin_scheduling 0
		.amdhsa_exception_fp_ieee_invalid_op 0
		.amdhsa_exception_fp_denorm_src 0
		.amdhsa_exception_fp_ieee_div_zero 0
		.amdhsa_exception_fp_ieee_overflow 0
		.amdhsa_exception_fp_ieee_underflow 0
		.amdhsa_exception_fp_ieee_inexact 0
		.amdhsa_exception_int_div_zero 0
	.end_amdhsa_kernel
	.section	.text._ZL19k_bin_bcast_unravelIXadL_ZL6op_addffEE6__halffS0_JPKfS2_EEvPKT0_PKT1_PT2_15HIP_vector_typeIjLj3EESC_SC_jSC_SC_SC_SC_SC_SC_iiiiiiiiiiiDpT3_,"axG",@progbits,_ZL19k_bin_bcast_unravelIXadL_ZL6op_addffEE6__halffS0_JPKfS2_EEvPKT0_PKT1_PT2_15HIP_vector_typeIjLj3EESC_SC_jSC_SC_SC_SC_SC_SC_iiiiiiiiiiiDpT3_,comdat
.Lfunc_end44:
	.size	_ZL19k_bin_bcast_unravelIXadL_ZL6op_addffEE6__halffS0_JPKfS2_EEvPKT0_PKT1_PT2_15HIP_vector_typeIjLj3EESC_SC_jSC_SC_SC_SC_SC_SC_iiiiiiiiiiiDpT3_, .Lfunc_end44-_ZL19k_bin_bcast_unravelIXadL_ZL6op_addffEE6__halffS0_JPKfS2_EEvPKT0_PKT1_PT2_15HIP_vector_typeIjLj3EESC_SC_jSC_SC_SC_SC_SC_SC_iiiiiiiiiiiDpT3_
                                        ; -- End function
	.set _ZL19k_bin_bcast_unravelIXadL_ZL6op_addffEE6__halffS0_JPKfS2_EEvPKT0_PKT1_PT2_15HIP_vector_typeIjLj3EESC_SC_jSC_SC_SC_SC_SC_SC_iiiiiiiiiiiDpT3_.num_vgpr, 12
	.set _ZL19k_bin_bcast_unravelIXadL_ZL6op_addffEE6__halffS0_JPKfS2_EEvPKT0_PKT1_PT2_15HIP_vector_typeIjLj3EESC_SC_jSC_SC_SC_SC_SC_SC_iiiiiiiiiiiDpT3_.num_agpr, 0
	.set _ZL19k_bin_bcast_unravelIXadL_ZL6op_addffEE6__halffS0_JPKfS2_EEvPKT0_PKT1_PT2_15HIP_vector_typeIjLj3EESC_SC_jSC_SC_SC_SC_SC_SC_iiiiiiiiiiiDpT3_.numbered_sgpr, 27
	.set _ZL19k_bin_bcast_unravelIXadL_ZL6op_addffEE6__halffS0_JPKfS2_EEvPKT0_PKT1_PT2_15HIP_vector_typeIjLj3EESC_SC_jSC_SC_SC_SC_SC_SC_iiiiiiiiiiiDpT3_.num_named_barrier, 0
	.set _ZL19k_bin_bcast_unravelIXadL_ZL6op_addffEE6__halffS0_JPKfS2_EEvPKT0_PKT1_PT2_15HIP_vector_typeIjLj3EESC_SC_jSC_SC_SC_SC_SC_SC_iiiiiiiiiiiDpT3_.private_seg_size, 0
	.set _ZL19k_bin_bcast_unravelIXadL_ZL6op_addffEE6__halffS0_JPKfS2_EEvPKT0_PKT1_PT2_15HIP_vector_typeIjLj3EESC_SC_jSC_SC_SC_SC_SC_SC_iiiiiiiiiiiDpT3_.uses_vcc, 1
	.set _ZL19k_bin_bcast_unravelIXadL_ZL6op_addffEE6__halffS0_JPKfS2_EEvPKT0_PKT1_PT2_15HIP_vector_typeIjLj3EESC_SC_jSC_SC_SC_SC_SC_SC_iiiiiiiiiiiDpT3_.uses_flat_scratch, 0
	.set _ZL19k_bin_bcast_unravelIXadL_ZL6op_addffEE6__halffS0_JPKfS2_EEvPKT0_PKT1_PT2_15HIP_vector_typeIjLj3EESC_SC_jSC_SC_SC_SC_SC_SC_iiiiiiiiiiiDpT3_.has_dyn_sized_stack, 0
	.set _ZL19k_bin_bcast_unravelIXadL_ZL6op_addffEE6__halffS0_JPKfS2_EEvPKT0_PKT1_PT2_15HIP_vector_typeIjLj3EESC_SC_jSC_SC_SC_SC_SC_SC_iiiiiiiiiiiDpT3_.has_recursion, 0
	.set _ZL19k_bin_bcast_unravelIXadL_ZL6op_addffEE6__halffS0_JPKfS2_EEvPKT0_PKT1_PT2_15HIP_vector_typeIjLj3EESC_SC_jSC_SC_SC_SC_SC_SC_iiiiiiiiiiiDpT3_.has_indirect_call, 0
	.section	.AMDGPU.csdata,"",@progbits
; Kernel info:
; codeLenInByte = 768
; TotalNumSgprs: 29
; NumVgprs: 12
; ScratchSize: 0
; MemoryBound: 0
; FloatMode: 240
; IeeeMode: 1
; LDSByteSize: 0 bytes/workgroup (compile time only)
; SGPRBlocks: 0
; VGPRBlocks: 0
; NumSGPRsForWavesPerEU: 29
; NumVGPRsForWavesPerEU: 12
; NamedBarCnt: 0
; Occupancy: 16
; WaveLimiterHint : 1
; COMPUTE_PGM_RSRC2:SCRATCH_EN: 0
; COMPUTE_PGM_RSRC2:USER_SGPR: 2
; COMPUTE_PGM_RSRC2:TRAP_HANDLER: 0
; COMPUTE_PGM_RSRC2:TGID_X_EN: 1
; COMPUTE_PGM_RSRC2:TGID_Y_EN: 0
; COMPUTE_PGM_RSRC2:TGID_Z_EN: 0
; COMPUTE_PGM_RSRC2:TIDIG_COMP_CNT: 0
	.section	.text._ZL11k_bin_bcastIXadL_ZL6op_addffEE6__halffS0_JPKfS2_EEvPKT0_PKT1_PT2_iii15HIP_vector_typeIjLj3EESC_SC_SC_SC_iiiiiiiiiiiDpT3_,"axG",@progbits,_ZL11k_bin_bcastIXadL_ZL6op_addffEE6__halffS0_JPKfS2_EEvPKT0_PKT1_PT2_iii15HIP_vector_typeIjLj3EESC_SC_SC_SC_iiiiiiiiiiiDpT3_,comdat
	.globl	_ZL11k_bin_bcastIXadL_ZL6op_addffEE6__halffS0_JPKfS2_EEvPKT0_PKT1_PT2_iii15HIP_vector_typeIjLj3EESC_SC_SC_SC_iiiiiiiiiiiDpT3_ ; -- Begin function _ZL11k_bin_bcastIXadL_ZL6op_addffEE6__halffS0_JPKfS2_EEvPKT0_PKT1_PT2_iii15HIP_vector_typeIjLj3EESC_SC_SC_SC_iiiiiiiiiiiDpT3_
	.p2align	8
	.type	_ZL11k_bin_bcastIXadL_ZL6op_addffEE6__halffS0_JPKfS2_EEvPKT0_PKT1_PT2_iii15HIP_vector_typeIjLj3EESC_SC_SC_SC_iiiiiiiiiiiDpT3_,@function
_ZL11k_bin_bcastIXadL_ZL6op_addffEE6__halffS0_JPKfS2_EEvPKT0_PKT1_PT2_iii15HIP_vector_typeIjLj3EESC_SC_SC_SC_iiiiiiiiiiiDpT3_: ; @_ZL11k_bin_bcastIXadL_ZL6op_addffEE6__halffS0_JPKfS2_EEvPKT0_PKT1_PT2_iii15HIP_vector_typeIjLj3EESC_SC_SC_SC_iiiiiiiiiiiDpT3_
; %bb.0:
	s_load_b64 s[2:3], s[0:1], 0xac
	s_bfe_u32 s5, ttmp6, 0x40014
	s_bfe_u32 s16, ttmp6, 0x40010
	;; [unrolled: 1-line block ×3, first 2 shown]
	s_lshr_b32 s4, ttmp7, 16
	s_add_co_i32 s5, s5, 1
	s_and_b32 s7, ttmp7, 0xffff
	s_load_b256 s[8:15], s[0:1], 0x18
	s_add_co_i32 s16, s16, 1
	s_add_co_i32 s19, s19, 1
	s_bfe_u32 s6, ttmp6, 0x40008
	s_mul_i32 s5, s4, s5
	s_bfe_u32 s17, ttmp6, 0x40004
	s_and_b32 s18, ttmp6, 15
	s_mul_i32 s16, s7, s16
	s_mul_i32 s19, ttmp9, s19
	s_add_co_i32 s6, s6, s5
	s_add_co_i32 s17, s17, s16
	;; [unrolled: 1-line block ×3, first 2 shown]
	v_bfe_u32 v1, v0, 20, 10
	s_wait_kmcnt 0x0
	s_lshr_b32 s5, s2, 16
	s_and_b32 s33, s2, 0xffff
	s_getreg_b32 s2, hwreg(HW_REG_IB_STS2, 6, 4)
	s_and_b32 s3, s3, 0xffff
	s_cmp_eq_u32 s2, 0
	v_and_b32_e32 v2, 0x3ff, v0
	s_cselect_b32 s2, s4, s6
	v_bfe_u32 v4, v0, 10, 10
	v_mad_u32 v3, s2, s3, v1
	s_cselect_b32 s2, ttmp9, s18
	s_cselect_b32 s3, s7, s17
	v_mad_u32 v0, s2, s33, v2
	v_mad_u32 v2, s3, s5, v4
	s_delay_alu instid0(VALU_DEP_3) | instskip(NEXT) | instid1(VALU_DEP_3)
	v_mul_hi_u32 v1, v3, s11
	v_cmp_gt_u32_e32 vcc_lo, s8, v0
	s_delay_alu instid0(VALU_DEP_3) | instskip(SKIP_2) | instid1(VALU_DEP_1)
	v_cmp_gt_u32_e64 s2, s9, v2
	s_and_b32 s2, vcc_lo, s2
	v_add_nc_u32_e32 v1, v3, v1
	v_lshrrev_b32_e32 v1, s12, v1
	s_delay_alu instid0(VALU_DEP_1) | instskip(SKIP_3) | instid1(VALU_DEP_1)
	v_mul_lo_u32 v5, v1, s13
	v_cmp_gt_u32_e64 s3, s10, v1
	s_and_b32 s2, s2, s3
	v_sub_nc_u32_e32 v3, v3, v5
	v_cmp_gt_u32_e64 s4, s13, v3
	s_and_b32 s2, s2, s4
	s_delay_alu instid0(SALU_CYCLE_1)
	s_and_saveexec_b32 s3, s2
	s_cbranch_execz .LBB45_6
; %bb.1:
	v_cmp_gt_i32_e32 vcc_lo, s8, v0
	s_and_b32 exec_lo, exec_lo, vcc_lo
	s_cbranch_execz .LBB45_6
; %bb.2:
	s_clause 0x4
	s_load_b256 s[24:31], s[0:1], 0x3c
	s_load_b32 s2, s[0:1], 0x5c
	s_load_b256 s[16:23], s[0:1], 0x60
	s_load_b96 s[36:38], s[0:1], 0x80
	s_load_b128 s[4:7], s[0:1], 0x90
	s_add_nc_u64 s[10:11], s[0:1], 0xa0
	s_load_b64 s[12:13], s[0:1], 0x10
	s_wait_kmcnt 0x0
	v_mul_hi_u32 v4, s30, v3
	v_mul_hi_u32 v5, s27, v1
	;; [unrolled: 1-line block ×3, first 2 shown]
	v_mul_lo_u32 v7, v2, s20
	v_mul_lo_u32 v8, v2, s16
	s_load_b32 s9, s[10:11], 0x0
	s_load_b32 s16, s[0:1], 0x38
	s_delay_alu instid0(VALU_DEP_4) | instskip(NEXT) | instid1(VALU_DEP_3)
	v_dual_add_nc_u32 v4, v3, v4 :: v_dual_add_nc_u32 v5, v1, v5
	v_mad_u32 v7, v1, s21, v7
	s_delay_alu instid0(VALU_DEP_3) | instskip(NEXT) | instid1(VALU_DEP_3)
	v_mad_u32 v8, v1, s17, v8
	v_dual_lshrrev_b32 v4, s31, v4 :: v_dual_lshrrev_b32 v5, s28, v5
	s_delay_alu instid0(VALU_DEP_1) | instskip(SKIP_1) | instid1(VALU_DEP_3)
	v_mul_lo_u32 v4, v4, s2
	v_add_nc_u32_e32 v6, v2, v6
	v_mul_lo_u32 v5, v5, s29
	s_load_b64 s[2:3], s[0:1], 0x0
	s_wait_xcnt 0x0
	s_mov_b32 s1, 0
	v_mad_u32 v8, v3, s18, v8
	s_mov_b32 s0, s14
	s_mov_b32 s11, s1
	s_delay_alu instid0(VALU_DEP_4) | instskip(NEXT) | instid1(VALU_DEP_3)
	v_dual_sub_nc_u32 v4, v3, v4 :: v_dual_lshrrev_b32 v6, s25, v6
	v_sub_nc_u32_e32 v5, v1, v5
	s_delay_alu instid0(VALU_DEP_2) | instskip(NEXT) | instid1(VALU_DEP_3)
	v_mul_lo_u32 v9, v4, s38
	v_mul_lo_u32 v6, v6, s26
	v_mad_u32 v4, v3, s22, v7
	v_mov_b32_e32 v1, 0
	s_wait_kmcnt 0x0
	s_cmp_lg_u64 s[2:3], 0
	s_delay_alu instid0(VALU_DEP_4) | instskip(NEXT) | instid1(VALU_DEP_4)
	v_mad_u32 v7, v5, s37, v9
	v_sub_nc_u32_e32 v2, v2, v6
	v_mul_lo_u32 v6, s19, v0
	v_dual_mov_b32 v5, v1 :: v_dual_mov_b32 v9, v1
	v_mov_b32_e32 v3, v1
	s_delay_alu instid0(VALU_DEP_2) | instskip(NEXT) | instid1(VALU_DEP_3)
	v_lshl_add_u64 v[4:5], v[4:5], 1, s[2:3]
	v_lshl_add_u64 v[8:9], v[8:9], 1, s[12:13]
	s_mul_i32 s2, s9, s33
	v_mad_u32 v2, v2, s36, v7
	s_cselect_b32 s3, -1, 0
	s_mul_i32 s9, s2, s19
	s_sub_co_i32 s10, 0, s16
	s_branch .LBB45_4
.LBB45_3:                               ;   in Loop: Header=BB45_4 Depth=1
	s_wait_xcnt 0x0
	v_mul_u64_e32 v[10:11], s[0:1], v[0:1]
	s_delay_alu instid0(VALU_DEP_1) | instskip(NEXT) | instid1(VALU_DEP_1)
	v_dual_add_nc_u32 v6, s9, v6 :: v_dual_add_nc_u32 v10, v0, v11
	v_dual_mov_b32 v11, v1 :: v_dual_lshrrev_b32 v10, s15, v10
	s_delay_alu instid0(VALU_DEP_1) | instskip(NEXT) | instid1(VALU_DEP_1)
	v_mad_u32 v10, s10, v10, v0
	v_mul_lo_u32 v10, v10, s23
	s_delay_alu instid0(VALU_DEP_1) | instskip(NEXT) | instid1(VALU_DEP_1)
	v_add_nc_u64_e32 v[10:11], v[10:11], v[2:3]
	v_lshlrev_b64_e32 v[10:11], 2, v[10:11]
	s_delay_alu instid0(VALU_DEP_1)
	v_add_nc_u64_e32 v[12:13], s[4:5], v[10:11]
	v_add_nc_u64_e32 v[10:11], s[6:7], v[10:11]
	global_load_b32 v14, v[12:13], off
	global_load_b32 v15, v[10:11], off
	s_wait_xcnt 0x0
	v_dual_mov_b32 v10, v0 :: v_dual_ashrrev_i32 v11, 31, v0
	s_delay_alu instid0(VALU_DEP_1) | instskip(SKIP_3) | instid1(VALU_DEP_1)
	v_lshl_add_u64 v[10:11], v[10:11], 1, v[8:9]
	s_wait_loadcnt 0x1
	v_dual_add_f32 v7, v7, v14 :: v_dual_add_nc_u32 v0, s2, v0
	s_wait_loadcnt 0x0
	v_add_f32_e32 v7, v7, v15
	s_delay_alu instid0(VALU_DEP_2) | instskip(NEXT) | instid1(VALU_DEP_2)
	v_cmp_le_i32_e32 vcc_lo, s8, v0
	v_cvt_f16_f32_e32 v7, v7
	s_or_b32 s11, vcc_lo, s11
	global_store_b16 v[10:11], v7, off
	s_wait_xcnt 0x0
	s_and_not1_b32 exec_lo, exec_lo, s11
	s_cbranch_execz .LBB45_6
.LBB45_4:                               ; =>This Inner Loop Header: Depth=1
	v_mov_b32_e32 v7, 0
	s_and_not1_b32 vcc_lo, exec_lo, s3
	s_cbranch_vccnz .LBB45_3
; %bb.5:                                ;   in Loop: Header=BB45_4 Depth=1
	v_ashrrev_i32_e32 v7, 31, v6
	s_delay_alu instid0(VALU_DEP_1)
	v_lshl_add_u64 v[10:11], v[6:7], 1, v[4:5]
	global_load_u16 v7, v[10:11], off
	s_wait_loadcnt 0x0
	v_cvt_f32_f16_e32 v7, v7
	s_branch .LBB45_3
.LBB45_6:
	s_endpgm
	.section	.rodata,"a",@progbits
	.p2align	6, 0x0
	.amdhsa_kernel _ZL11k_bin_bcastIXadL_ZL6op_addffEE6__halffS0_JPKfS2_EEvPKT0_PKT1_PT2_iii15HIP_vector_typeIjLj3EESC_SC_SC_SC_iiiiiiiiiiiDpT3_
		.amdhsa_group_segment_fixed_size 0
		.amdhsa_private_segment_fixed_size 0
		.amdhsa_kernarg_size 416
		.amdhsa_user_sgpr_count 2
		.amdhsa_user_sgpr_dispatch_ptr 0
		.amdhsa_user_sgpr_queue_ptr 0
		.amdhsa_user_sgpr_kernarg_segment_ptr 1
		.amdhsa_user_sgpr_dispatch_id 0
		.amdhsa_user_sgpr_kernarg_preload_length 0
		.amdhsa_user_sgpr_kernarg_preload_offset 0
		.amdhsa_user_sgpr_private_segment_size 0
		.amdhsa_wavefront_size32 1
		.amdhsa_uses_dynamic_stack 0
		.amdhsa_enable_private_segment 0
		.amdhsa_system_sgpr_workgroup_id_x 1
		.amdhsa_system_sgpr_workgroup_id_y 1
		.amdhsa_system_sgpr_workgroup_id_z 1
		.amdhsa_system_sgpr_workgroup_info 0
		.amdhsa_system_vgpr_workitem_id 2
		.amdhsa_next_free_vgpr 16
		.amdhsa_next_free_sgpr 39
		.amdhsa_named_barrier_count 0
		.amdhsa_reserve_vcc 1
		.amdhsa_float_round_mode_32 0
		.amdhsa_float_round_mode_16_64 0
		.amdhsa_float_denorm_mode_32 3
		.amdhsa_float_denorm_mode_16_64 3
		.amdhsa_fp16_overflow 0
		.amdhsa_memory_ordered 1
		.amdhsa_forward_progress 1
		.amdhsa_inst_pref_size 8
		.amdhsa_round_robin_scheduling 0
		.amdhsa_exception_fp_ieee_invalid_op 0
		.amdhsa_exception_fp_denorm_src 0
		.amdhsa_exception_fp_ieee_div_zero 0
		.amdhsa_exception_fp_ieee_overflow 0
		.amdhsa_exception_fp_ieee_underflow 0
		.amdhsa_exception_fp_ieee_inexact 0
		.amdhsa_exception_int_div_zero 0
	.end_amdhsa_kernel
	.section	.text._ZL11k_bin_bcastIXadL_ZL6op_addffEE6__halffS0_JPKfS2_EEvPKT0_PKT1_PT2_iii15HIP_vector_typeIjLj3EESC_SC_SC_SC_iiiiiiiiiiiDpT3_,"axG",@progbits,_ZL11k_bin_bcastIXadL_ZL6op_addffEE6__halffS0_JPKfS2_EEvPKT0_PKT1_PT2_iii15HIP_vector_typeIjLj3EESC_SC_SC_SC_iiiiiiiiiiiDpT3_,comdat
.Lfunc_end45:
	.size	_ZL11k_bin_bcastIXadL_ZL6op_addffEE6__halffS0_JPKfS2_EEvPKT0_PKT1_PT2_iii15HIP_vector_typeIjLj3EESC_SC_SC_SC_iiiiiiiiiiiDpT3_, .Lfunc_end45-_ZL11k_bin_bcastIXadL_ZL6op_addffEE6__halffS0_JPKfS2_EEvPKT0_PKT1_PT2_iii15HIP_vector_typeIjLj3EESC_SC_SC_SC_iiiiiiiiiiiDpT3_
                                        ; -- End function
	.set _ZL11k_bin_bcastIXadL_ZL6op_addffEE6__halffS0_JPKfS2_EEvPKT0_PKT1_PT2_iii15HIP_vector_typeIjLj3EESC_SC_SC_SC_iiiiiiiiiiiDpT3_.num_vgpr, 16
	.set _ZL11k_bin_bcastIXadL_ZL6op_addffEE6__halffS0_JPKfS2_EEvPKT0_PKT1_PT2_iii15HIP_vector_typeIjLj3EESC_SC_SC_SC_iiiiiiiiiiiDpT3_.num_agpr, 0
	.set _ZL11k_bin_bcastIXadL_ZL6op_addffEE6__halffS0_JPKfS2_EEvPKT0_PKT1_PT2_iii15HIP_vector_typeIjLj3EESC_SC_SC_SC_iiiiiiiiiiiDpT3_.numbered_sgpr, 39
	.set _ZL11k_bin_bcastIXadL_ZL6op_addffEE6__halffS0_JPKfS2_EEvPKT0_PKT1_PT2_iii15HIP_vector_typeIjLj3EESC_SC_SC_SC_iiiiiiiiiiiDpT3_.num_named_barrier, 0
	.set _ZL11k_bin_bcastIXadL_ZL6op_addffEE6__halffS0_JPKfS2_EEvPKT0_PKT1_PT2_iii15HIP_vector_typeIjLj3EESC_SC_SC_SC_iiiiiiiiiiiDpT3_.private_seg_size, 0
	.set _ZL11k_bin_bcastIXadL_ZL6op_addffEE6__halffS0_JPKfS2_EEvPKT0_PKT1_PT2_iii15HIP_vector_typeIjLj3EESC_SC_SC_SC_iiiiiiiiiiiDpT3_.uses_vcc, 1
	.set _ZL11k_bin_bcastIXadL_ZL6op_addffEE6__halffS0_JPKfS2_EEvPKT0_PKT1_PT2_iii15HIP_vector_typeIjLj3EESC_SC_SC_SC_iiiiiiiiiiiDpT3_.uses_flat_scratch, 0
	.set _ZL11k_bin_bcastIXadL_ZL6op_addffEE6__halffS0_JPKfS2_EEvPKT0_PKT1_PT2_iii15HIP_vector_typeIjLj3EESC_SC_SC_SC_iiiiiiiiiiiDpT3_.has_dyn_sized_stack, 0
	.set _ZL11k_bin_bcastIXadL_ZL6op_addffEE6__halffS0_JPKfS2_EEvPKT0_PKT1_PT2_iii15HIP_vector_typeIjLj3EESC_SC_SC_SC_iiiiiiiiiiiDpT3_.has_recursion, 0
	.set _ZL11k_bin_bcastIXadL_ZL6op_addffEE6__halffS0_JPKfS2_EEvPKT0_PKT1_PT2_iii15HIP_vector_typeIjLj3EESC_SC_SC_SC_iiiiiiiiiiiDpT3_.has_indirect_call, 0
	.section	.AMDGPU.csdata,"",@progbits
; Kernel info:
; codeLenInByte = 916
; TotalNumSgprs: 41
; NumVgprs: 16
; ScratchSize: 0
; MemoryBound: 0
; FloatMode: 240
; IeeeMode: 1
; LDSByteSize: 0 bytes/workgroup (compile time only)
; SGPRBlocks: 0
; VGPRBlocks: 0
; NumSGPRsForWavesPerEU: 41
; NumVGPRsForWavesPerEU: 16
; NamedBarCnt: 0
; Occupancy: 16
; WaveLimiterHint : 1
; COMPUTE_PGM_RSRC2:SCRATCH_EN: 0
; COMPUTE_PGM_RSRC2:USER_SGPR: 2
; COMPUTE_PGM_RSRC2:TRAP_HANDLER: 0
; COMPUTE_PGM_RSRC2:TGID_X_EN: 1
; COMPUTE_PGM_RSRC2:TGID_Y_EN: 1
; COMPUTE_PGM_RSRC2:TGID_Z_EN: 1
; COMPUTE_PGM_RSRC2:TIDIG_COMP_CNT: 2
	.section	.text._ZL19k_bin_bcast_unravelIXadL_ZL6op_addffEE6__halfffJPKfS2_EEvPKT0_PKT1_PT2_15HIP_vector_typeIjLj3EESC_SC_jSC_SC_SC_SC_SC_SC_iiiiiiiiiiiDpT3_,"axG",@progbits,_ZL19k_bin_bcast_unravelIXadL_ZL6op_addffEE6__halfffJPKfS2_EEvPKT0_PKT1_PT2_15HIP_vector_typeIjLj3EESC_SC_jSC_SC_SC_SC_SC_SC_iiiiiiiiiiiDpT3_,comdat
	.globl	_ZL19k_bin_bcast_unravelIXadL_ZL6op_addffEE6__halfffJPKfS2_EEvPKT0_PKT1_PT2_15HIP_vector_typeIjLj3EESC_SC_jSC_SC_SC_SC_SC_SC_iiiiiiiiiiiDpT3_ ; -- Begin function _ZL19k_bin_bcast_unravelIXadL_ZL6op_addffEE6__halfffJPKfS2_EEvPKT0_PKT1_PT2_15HIP_vector_typeIjLj3EESC_SC_jSC_SC_SC_SC_SC_SC_iiiiiiiiiiiDpT3_
	.p2align	8
	.type	_ZL19k_bin_bcast_unravelIXadL_ZL6op_addffEE6__halfffJPKfS2_EEvPKT0_PKT1_PT2_15HIP_vector_typeIjLj3EESC_SC_jSC_SC_SC_SC_SC_SC_iiiiiiiiiiiDpT3_,@function
_ZL19k_bin_bcast_unravelIXadL_ZL6op_addffEE6__halfffJPKfS2_EEvPKT0_PKT1_PT2_15HIP_vector_typeIjLj3EESC_SC_jSC_SC_SC_SC_SC_SC_iiiiiiiiiiiDpT3_: ; @_ZL19k_bin_bcast_unravelIXadL_ZL6op_addffEE6__halfffJPKfS2_EEvPKT0_PKT1_PT2_15HIP_vector_typeIjLj3EESC_SC_jSC_SC_SC_SC_SC_SC_iiiiiiiiiiiDpT3_
; %bb.0:
	s_load_b32 s2, s[0:1], 0xd4
	s_bfe_u32 s3, ttmp6, 0x4000c
	s_load_b256 s[4:11], s[0:1], 0x38
	s_add_co_i32 s3, s3, 1
	s_and_b32 s12, ttmp6, 15
	s_mul_i32 s3, ttmp9, s3
	s_getreg_b32 s13, hwreg(HW_REG_IB_STS2, 6, 4)
	s_add_co_i32 s12, s12, s3
	s_wait_kmcnt 0x0
	s_and_b32 s2, s2, 0xffff
	s_cmp_eq_u32 s13, 0
	s_cselect_b32 s3, ttmp9, s12
	s_delay_alu instid0(SALU_CYCLE_1) | instskip(SKIP_1) | instid1(VALU_DEP_1)
	v_mad_u32 v0, s3, s2, v0
	s_load_b32 s2, s[0:1], 0x2c
	v_mul_hi_u32 v1, v0, s6
	s_delay_alu instid0(VALU_DEP_1) | instskip(NEXT) | instid1(VALU_DEP_1)
	v_add_nc_u32_e32 v1, v0, v1
	v_lshrrev_b32_e32 v1, s7, v1
	s_delay_alu instid0(VALU_DEP_1) | instskip(NEXT) | instid1(VALU_DEP_1)
	v_mul_lo_u32 v2, v1, s8
	v_sub_nc_u32_e32 v0, v0, v2
	s_delay_alu instid0(VALU_DEP_1) | instskip(NEXT) | instid1(VALU_DEP_1)
	v_mul_hi_u32 v2, v0, s9
	v_add_nc_u32_e32 v2, v0, v2
	s_delay_alu instid0(VALU_DEP_1) | instskip(SKIP_1) | instid1(VALU_DEP_1)
	v_lshrrev_b32_e32 v2, s10, v2
	s_load_b96 s[8:10], s[0:1], 0x18
	v_mul_lo_u32 v3, v2, s11
	s_delay_alu instid0(VALU_DEP_1) | instskip(SKIP_3) | instid1(VALU_DEP_3)
	v_sub_nc_u32_e32 v0, v0, v3
	v_cmp_gt_u32_e64 s3, s4, v2
	v_cmp_gt_u32_e64 s4, s5, v1
	s_wait_kmcnt 0x0
	v_mul_hi_u32 v3, v0, s8
	s_delay_alu instid0(VALU_DEP_1) | instskip(NEXT) | instid1(VALU_DEP_1)
	v_add_nc_u32_e32 v3, v0, v3
	v_lshrrev_b32_e32 v4, s9, v3
	s_delay_alu instid0(VALU_DEP_1) | instskip(NEXT) | instid1(VALU_DEP_1)
	v_mul_lo_u32 v3, v4, s10
	v_sub_nc_u32_e32 v0, v0, v3
	v_cmp_gt_u32_e64 s2, s2, v4
	s_delay_alu instid0(VALU_DEP_2) | instskip(SKIP_1) | instid1(SALU_CYCLE_1)
	v_cmp_gt_u32_e32 vcc_lo, s10, v0
	s_and_b32 s2, vcc_lo, s2
	s_and_b32 s2, s2, s3
	s_delay_alu instid0(SALU_CYCLE_1) | instskip(NEXT) | instid1(SALU_CYCLE_1)
	s_and_b32 s2, s4, s2
	s_and_saveexec_b32 s3, s2
	s_cbranch_execz .LBB46_4
; %bb.1:
	s_clause 0x4
	s_load_b64 s[2:3], s[0:1], 0x0
	s_load_b96 s[24:26], s[0:1], 0xa8
	s_load_b256 s[4:11], s[0:1], 0x88
	s_load_b128 s[20:23], s[0:1], 0x78
	s_load_b256 s[12:19], s[0:1], 0x58
	v_dual_mov_b32 v3, 0 :: v_dual_mov_b32 v5, 0
	s_wait_kmcnt 0x0
	s_cmp_eq_u64 s[2:3], 0
	s_cbranch_scc1 .LBB46_3
; %bb.2:
	v_mul_lo_u32 v5, v1, s10
	v_mov_b32_e32 v7, 0
	s_delay_alu instid0(VALU_DEP_2) | instskip(NEXT) | instid1(VALU_DEP_1)
	v_mad_u32 v5, v2, s9, v5
	v_mad_u32 v6, v4, s8, v5
	s_delay_alu instid0(VALU_DEP_1) | instskip(SKIP_1) | instid1(VALU_DEP_1)
	v_lshl_add_u64 v[8:9], v[6:7], 1, s[2:3]
	v_mul_lo_u32 v6, v0, s7
	v_lshl_add_u64 v[6:7], v[6:7], 1, v[8:9]
	global_load_u16 v5, v[6:7], off
	s_wait_loadcnt 0x0
	v_cvt_f32_f16_e32 v5, v5
.LBB46_3:
	v_mul_hi_u32 v6, s21, v1
	v_mul_hi_u32 v7, s18, v2
	;; [unrolled: 1-line block ×4, first 2 shown]
	s_delay_alu instid0(VALU_DEP_3) | instskip(NEXT) | instid1(VALU_DEP_1)
	v_dual_add_nc_u32 v6, v1, v6 :: v_dual_add_nc_u32 v7, v2, v7
	v_dual_lshrrev_b32 v6, s22, v6 :: v_dual_lshrrev_b32 v7, s19, v7
	s_delay_alu instid0(VALU_DEP_1) | instskip(SKIP_1) | instid1(VALU_DEP_3)
	v_mul_lo_u32 v6, v6, s23
	v_add_nc_u32_e32 v8, v4, v8
	v_mul_lo_u32 v7, v7, s20
	s_delay_alu instid0(VALU_DEP_3) | instskip(NEXT) | instid1(VALU_DEP_3)
	v_dual_sub_nc_u32 v6, v1, v6 :: v_dual_add_nc_u32 v9, v0, v9
	v_lshrrev_b32_e32 v8, s16, v8
	v_mul_lo_u32 v1, v1, s6
	s_delay_alu instid0(VALU_DEP_4) | instskip(NEXT) | instid1(VALU_DEP_4)
	v_sub_nc_u32_e32 v7, v2, v7
	v_mul_lo_u32 v6, v6, s26
	v_lshrrev_b32_e32 v9, s13, v9
	v_mul_lo_u32 v8, v8, s17
	s_delay_alu instid0(VALU_DEP_2) | instskip(SKIP_2) | instid1(VALU_DEP_4)
	v_mul_lo_u32 v9, v9, s14
	v_mad_u32 v1, v2, s5, v1
	v_mad_u32 v7, v7, s25, v6
	v_sub_nc_u32_e32 v8, v4, v8
	s_delay_alu instid0(VALU_DEP_3) | instskip(NEXT) | instid1(VALU_DEP_2)
	v_mad_u32 v2, v4, s4, v1
	v_mad_u32 v8, v8, s24, v7
	s_delay_alu instid0(VALU_DEP_1) | instskip(NEXT) | instid1(VALU_DEP_1)
	v_dual_sub_nc_u32 v6, v0, v9 :: v_dual_ashrrev_i32 v9, 31, v8
	v_mul_lo_u32 v6, v6, s11
	s_load_b128 s[8:11], s[0:1], 0xb8
	s_delay_alu instid0(VALU_DEP_1) | instskip(SKIP_2) | instid1(VALU_DEP_1)
	v_ashrrev_i32_e32 v7, 31, v6
	s_wait_xcnt 0x0
	s_load_b64 s[0:1], s[0:1], 0x10
	v_add_nc_u64_e32 v[6:7], v[6:7], v[8:9]
	s_delay_alu instid0(VALU_DEP_1) | instskip(SKIP_1) | instid1(VALU_DEP_1)
	v_lshlrev_b64_e32 v[6:7], 2, v[6:7]
	s_wait_kmcnt 0x0
	v_add_nc_u64_e32 v[8:9], s[8:9], v[6:7]
	v_add_nc_u64_e32 v[6:7], s[10:11], v[6:7]
	global_load_b32 v10, v[8:9], off
	global_load_b32 v11, v[6:7], off
	v_mov_b32_e32 v1, v3
	v_lshl_add_u64 v[2:3], v[2:3], 2, s[0:1]
	s_wait_loadcnt 0x1
	v_add_f32_e32 v4, v5, v10
	s_delay_alu instid0(VALU_DEP_2) | instskip(SKIP_1) | instid1(VALU_DEP_2)
	v_lshl_add_u64 v[0:1], v[0:1], 2, v[2:3]
	s_wait_loadcnt 0x0
	v_add_f32_e32 v4, v4, v11
	global_store_b32 v[0:1], v4, off
.LBB46_4:
	s_endpgm
	.section	.rodata,"a",@progbits
	.p2align	6, 0x0
	.amdhsa_kernel _ZL19k_bin_bcast_unravelIXadL_ZL6op_addffEE6__halfffJPKfS2_EEvPKT0_PKT1_PT2_15HIP_vector_typeIjLj3EESC_SC_jSC_SC_SC_SC_SC_SC_iiiiiiiiiiiDpT3_
		.amdhsa_group_segment_fixed_size 0
		.amdhsa_private_segment_fixed_size 0
		.amdhsa_kernarg_size 456
		.amdhsa_user_sgpr_count 2
		.amdhsa_user_sgpr_dispatch_ptr 0
		.amdhsa_user_sgpr_queue_ptr 0
		.amdhsa_user_sgpr_kernarg_segment_ptr 1
		.amdhsa_user_sgpr_dispatch_id 0
		.amdhsa_user_sgpr_kernarg_preload_length 0
		.amdhsa_user_sgpr_kernarg_preload_offset 0
		.amdhsa_user_sgpr_private_segment_size 0
		.amdhsa_wavefront_size32 1
		.amdhsa_uses_dynamic_stack 0
		.amdhsa_enable_private_segment 0
		.amdhsa_system_sgpr_workgroup_id_x 1
		.amdhsa_system_sgpr_workgroup_id_y 0
		.amdhsa_system_sgpr_workgroup_id_z 0
		.amdhsa_system_sgpr_workgroup_info 0
		.amdhsa_system_vgpr_workitem_id 0
		.amdhsa_next_free_vgpr 12
		.amdhsa_next_free_sgpr 27
		.amdhsa_named_barrier_count 0
		.amdhsa_reserve_vcc 1
		.amdhsa_float_round_mode_32 0
		.amdhsa_float_round_mode_16_64 0
		.amdhsa_float_denorm_mode_32 3
		.amdhsa_float_denorm_mode_16_64 3
		.amdhsa_fp16_overflow 0
		.amdhsa_memory_ordered 1
		.amdhsa_forward_progress 1
		.amdhsa_inst_pref_size 6
		.amdhsa_round_robin_scheduling 0
		.amdhsa_exception_fp_ieee_invalid_op 0
		.amdhsa_exception_fp_denorm_src 0
		.amdhsa_exception_fp_ieee_div_zero 0
		.amdhsa_exception_fp_ieee_overflow 0
		.amdhsa_exception_fp_ieee_underflow 0
		.amdhsa_exception_fp_ieee_inexact 0
		.amdhsa_exception_int_div_zero 0
	.end_amdhsa_kernel
	.section	.text._ZL19k_bin_bcast_unravelIXadL_ZL6op_addffEE6__halfffJPKfS2_EEvPKT0_PKT1_PT2_15HIP_vector_typeIjLj3EESC_SC_jSC_SC_SC_SC_SC_SC_iiiiiiiiiiiDpT3_,"axG",@progbits,_ZL19k_bin_bcast_unravelIXadL_ZL6op_addffEE6__halfffJPKfS2_EEvPKT0_PKT1_PT2_15HIP_vector_typeIjLj3EESC_SC_jSC_SC_SC_SC_SC_SC_iiiiiiiiiiiDpT3_,comdat
.Lfunc_end46:
	.size	_ZL19k_bin_bcast_unravelIXadL_ZL6op_addffEE6__halfffJPKfS2_EEvPKT0_PKT1_PT2_15HIP_vector_typeIjLj3EESC_SC_jSC_SC_SC_SC_SC_SC_iiiiiiiiiiiDpT3_, .Lfunc_end46-_ZL19k_bin_bcast_unravelIXadL_ZL6op_addffEE6__halfffJPKfS2_EEvPKT0_PKT1_PT2_15HIP_vector_typeIjLj3EESC_SC_jSC_SC_SC_SC_SC_SC_iiiiiiiiiiiDpT3_
                                        ; -- End function
	.set _ZL19k_bin_bcast_unravelIXadL_ZL6op_addffEE6__halfffJPKfS2_EEvPKT0_PKT1_PT2_15HIP_vector_typeIjLj3EESC_SC_jSC_SC_SC_SC_SC_SC_iiiiiiiiiiiDpT3_.num_vgpr, 12
	.set _ZL19k_bin_bcast_unravelIXadL_ZL6op_addffEE6__halfffJPKfS2_EEvPKT0_PKT1_PT2_15HIP_vector_typeIjLj3EESC_SC_jSC_SC_SC_SC_SC_SC_iiiiiiiiiiiDpT3_.num_agpr, 0
	.set _ZL19k_bin_bcast_unravelIXadL_ZL6op_addffEE6__halfffJPKfS2_EEvPKT0_PKT1_PT2_15HIP_vector_typeIjLj3EESC_SC_jSC_SC_SC_SC_SC_SC_iiiiiiiiiiiDpT3_.numbered_sgpr, 27
	.set _ZL19k_bin_bcast_unravelIXadL_ZL6op_addffEE6__halfffJPKfS2_EEvPKT0_PKT1_PT2_15HIP_vector_typeIjLj3EESC_SC_jSC_SC_SC_SC_SC_SC_iiiiiiiiiiiDpT3_.num_named_barrier, 0
	.set _ZL19k_bin_bcast_unravelIXadL_ZL6op_addffEE6__halfffJPKfS2_EEvPKT0_PKT1_PT2_15HIP_vector_typeIjLj3EESC_SC_jSC_SC_SC_SC_SC_SC_iiiiiiiiiiiDpT3_.private_seg_size, 0
	.set _ZL19k_bin_bcast_unravelIXadL_ZL6op_addffEE6__halfffJPKfS2_EEvPKT0_PKT1_PT2_15HIP_vector_typeIjLj3EESC_SC_jSC_SC_SC_SC_SC_SC_iiiiiiiiiiiDpT3_.uses_vcc, 1
	.set _ZL19k_bin_bcast_unravelIXadL_ZL6op_addffEE6__halfffJPKfS2_EEvPKT0_PKT1_PT2_15HIP_vector_typeIjLj3EESC_SC_jSC_SC_SC_SC_SC_SC_iiiiiiiiiiiDpT3_.uses_flat_scratch, 0
	.set _ZL19k_bin_bcast_unravelIXadL_ZL6op_addffEE6__halfffJPKfS2_EEvPKT0_PKT1_PT2_15HIP_vector_typeIjLj3EESC_SC_jSC_SC_SC_SC_SC_SC_iiiiiiiiiiiDpT3_.has_dyn_sized_stack, 0
	.set _ZL19k_bin_bcast_unravelIXadL_ZL6op_addffEE6__halfffJPKfS2_EEvPKT0_PKT1_PT2_15HIP_vector_typeIjLj3EESC_SC_jSC_SC_SC_SC_SC_SC_iiiiiiiiiiiDpT3_.has_recursion, 0
	.set _ZL19k_bin_bcast_unravelIXadL_ZL6op_addffEE6__halfffJPKfS2_EEvPKT0_PKT1_PT2_15HIP_vector_typeIjLj3EESC_SC_jSC_SC_SC_SC_SC_SC_iiiiiiiiiiiDpT3_.has_indirect_call, 0
	.section	.AMDGPU.csdata,"",@progbits
; Kernel info:
; codeLenInByte = 760
; TotalNumSgprs: 29
; NumVgprs: 12
; ScratchSize: 0
; MemoryBound: 0
; FloatMode: 240
; IeeeMode: 1
; LDSByteSize: 0 bytes/workgroup (compile time only)
; SGPRBlocks: 0
; VGPRBlocks: 0
; NumSGPRsForWavesPerEU: 29
; NumVGPRsForWavesPerEU: 12
; NamedBarCnt: 0
; Occupancy: 16
; WaveLimiterHint : 1
; COMPUTE_PGM_RSRC2:SCRATCH_EN: 0
; COMPUTE_PGM_RSRC2:USER_SGPR: 2
; COMPUTE_PGM_RSRC2:TRAP_HANDLER: 0
; COMPUTE_PGM_RSRC2:TGID_X_EN: 1
; COMPUTE_PGM_RSRC2:TGID_Y_EN: 0
; COMPUTE_PGM_RSRC2:TGID_Z_EN: 0
; COMPUTE_PGM_RSRC2:TIDIG_COMP_CNT: 0
	.section	.text._ZL11k_bin_bcastIXadL_ZL6op_addffEE6__halfffJPKfS2_EEvPKT0_PKT1_PT2_iii15HIP_vector_typeIjLj3EESC_SC_SC_SC_iiiiiiiiiiiDpT3_,"axG",@progbits,_ZL11k_bin_bcastIXadL_ZL6op_addffEE6__halfffJPKfS2_EEvPKT0_PKT1_PT2_iii15HIP_vector_typeIjLj3EESC_SC_SC_SC_iiiiiiiiiiiDpT3_,comdat
	.globl	_ZL11k_bin_bcastIXadL_ZL6op_addffEE6__halfffJPKfS2_EEvPKT0_PKT1_PT2_iii15HIP_vector_typeIjLj3EESC_SC_SC_SC_iiiiiiiiiiiDpT3_ ; -- Begin function _ZL11k_bin_bcastIXadL_ZL6op_addffEE6__halfffJPKfS2_EEvPKT0_PKT1_PT2_iii15HIP_vector_typeIjLj3EESC_SC_SC_SC_iiiiiiiiiiiDpT3_
	.p2align	8
	.type	_ZL11k_bin_bcastIXadL_ZL6op_addffEE6__halfffJPKfS2_EEvPKT0_PKT1_PT2_iii15HIP_vector_typeIjLj3EESC_SC_SC_SC_iiiiiiiiiiiDpT3_,@function
_ZL11k_bin_bcastIXadL_ZL6op_addffEE6__halfffJPKfS2_EEvPKT0_PKT1_PT2_iii15HIP_vector_typeIjLj3EESC_SC_SC_SC_iiiiiiiiiiiDpT3_: ; @_ZL11k_bin_bcastIXadL_ZL6op_addffEE6__halfffJPKfS2_EEvPKT0_PKT1_PT2_iii15HIP_vector_typeIjLj3EESC_SC_SC_SC_iiiiiiiiiiiDpT3_
; %bb.0:
	s_load_b64 s[2:3], s[0:1], 0xac
	s_bfe_u32 s5, ttmp6, 0x40014
	s_bfe_u32 s16, ttmp6, 0x40010
	;; [unrolled: 1-line block ×3, first 2 shown]
	s_lshr_b32 s4, ttmp7, 16
	s_add_co_i32 s5, s5, 1
	s_and_b32 s7, ttmp7, 0xffff
	s_load_b256 s[8:15], s[0:1], 0x18
	s_add_co_i32 s16, s16, 1
	s_add_co_i32 s19, s19, 1
	s_bfe_u32 s6, ttmp6, 0x40008
	s_mul_i32 s5, s4, s5
	s_bfe_u32 s17, ttmp6, 0x40004
	s_and_b32 s18, ttmp6, 15
	s_mul_i32 s16, s7, s16
	s_mul_i32 s19, ttmp9, s19
	s_add_co_i32 s6, s6, s5
	s_add_co_i32 s17, s17, s16
	;; [unrolled: 1-line block ×3, first 2 shown]
	v_bfe_u32 v1, v0, 20, 10
	s_wait_kmcnt 0x0
	s_lshr_b32 s5, s2, 16
	s_and_b32 s33, s2, 0xffff
	s_getreg_b32 s2, hwreg(HW_REG_IB_STS2, 6, 4)
	s_and_b32 s3, s3, 0xffff
	s_cmp_eq_u32 s2, 0
	v_and_b32_e32 v2, 0x3ff, v0
	s_cselect_b32 s2, s4, s6
	v_bfe_u32 v4, v0, 10, 10
	v_mad_u32 v3, s2, s3, v1
	s_cselect_b32 s2, ttmp9, s18
	s_cselect_b32 s3, s7, s17
	v_mad_u32 v0, s2, s33, v2
	v_mad_u32 v2, s3, s5, v4
	s_delay_alu instid0(VALU_DEP_3) | instskip(NEXT) | instid1(VALU_DEP_3)
	v_mul_hi_u32 v1, v3, s11
	v_cmp_gt_u32_e32 vcc_lo, s8, v0
	s_delay_alu instid0(VALU_DEP_3) | instskip(SKIP_2) | instid1(VALU_DEP_1)
	v_cmp_gt_u32_e64 s2, s9, v2
	s_and_b32 s2, vcc_lo, s2
	v_add_nc_u32_e32 v1, v3, v1
	v_lshrrev_b32_e32 v1, s12, v1
	s_delay_alu instid0(VALU_DEP_1) | instskip(SKIP_3) | instid1(VALU_DEP_1)
	v_mul_lo_u32 v5, v1, s13
	v_cmp_gt_u32_e64 s3, s10, v1
	s_and_b32 s2, s2, s3
	v_sub_nc_u32_e32 v3, v3, v5
	v_cmp_gt_u32_e64 s4, s13, v3
	s_and_b32 s2, s2, s4
	s_delay_alu instid0(SALU_CYCLE_1)
	s_and_saveexec_b32 s3, s2
	s_cbranch_execz .LBB47_6
; %bb.1:
	v_cmp_gt_i32_e32 vcc_lo, s8, v0
	s_and_b32 exec_lo, exec_lo, vcc_lo
	s_cbranch_execz .LBB47_6
; %bb.2:
	s_clause 0x4
	s_load_b256 s[24:31], s[0:1], 0x3c
	s_load_b32 s2, s[0:1], 0x5c
	s_load_b256 s[16:23], s[0:1], 0x60
	s_load_b96 s[36:38], s[0:1], 0x80
	s_load_b128 s[4:7], s[0:1], 0x90
	s_add_nc_u64 s[10:11], s[0:1], 0xa0
	s_load_b64 s[12:13], s[0:1], 0x10
	s_wait_kmcnt 0x0
	v_mul_hi_u32 v4, s30, v3
	v_mul_hi_u32 v5, s27, v1
	;; [unrolled: 1-line block ×3, first 2 shown]
	v_mul_lo_u32 v7, v2, s20
	v_mul_lo_u32 v8, v2, s16
	s_load_b32 s9, s[10:11], 0x0
	s_load_b32 s16, s[0:1], 0x38
	s_delay_alu instid0(VALU_DEP_4) | instskip(NEXT) | instid1(VALU_DEP_3)
	v_dual_add_nc_u32 v4, v3, v4 :: v_dual_add_nc_u32 v5, v1, v5
	v_mad_u32 v7, v1, s21, v7
	s_delay_alu instid0(VALU_DEP_3) | instskip(NEXT) | instid1(VALU_DEP_3)
	v_mad_u32 v8, v1, s17, v8
	v_dual_lshrrev_b32 v4, s31, v4 :: v_dual_lshrrev_b32 v5, s28, v5
	s_delay_alu instid0(VALU_DEP_1) | instskip(SKIP_1) | instid1(VALU_DEP_3)
	v_mul_lo_u32 v4, v4, s2
	v_add_nc_u32_e32 v6, v2, v6
	v_mul_lo_u32 v5, v5, s29
	s_load_b64 s[2:3], s[0:1], 0x0
	s_wait_xcnt 0x0
	s_mov_b32 s1, 0
	v_mad_u32 v8, v3, s18, v8
	s_mov_b32 s0, s14
	s_mov_b32 s11, s1
	s_delay_alu instid0(VALU_DEP_4) | instskip(NEXT) | instid1(VALU_DEP_3)
	v_dual_sub_nc_u32 v4, v3, v4 :: v_dual_lshrrev_b32 v6, s25, v6
	v_sub_nc_u32_e32 v5, v1, v5
	s_delay_alu instid0(VALU_DEP_2) | instskip(NEXT) | instid1(VALU_DEP_3)
	v_mul_lo_u32 v9, v4, s38
	v_mul_lo_u32 v6, v6, s26
	v_mad_u32 v4, v3, s22, v7
	v_mov_b32_e32 v1, 0
	s_wait_kmcnt 0x0
	s_cmp_lg_u64 s[2:3], 0
	s_delay_alu instid0(VALU_DEP_4) | instskip(NEXT) | instid1(VALU_DEP_4)
	v_mad_u32 v7, v5, s37, v9
	v_sub_nc_u32_e32 v2, v2, v6
	v_mul_lo_u32 v6, s19, v0
	v_dual_mov_b32 v5, v1 :: v_dual_mov_b32 v9, v1
	v_mov_b32_e32 v3, v1
	s_delay_alu instid0(VALU_DEP_2) | instskip(NEXT) | instid1(VALU_DEP_3)
	v_lshl_add_u64 v[4:5], v[4:5], 1, s[2:3]
	v_lshl_add_u64 v[8:9], v[8:9], 2, s[12:13]
	s_mul_i32 s2, s9, s33
	v_mad_u32 v2, v2, s36, v7
	s_cselect_b32 s3, -1, 0
	s_mul_i32 s9, s2, s19
	s_sub_co_i32 s10, 0, s16
	s_branch .LBB47_4
.LBB47_3:                               ;   in Loop: Header=BB47_4 Depth=1
	s_wait_xcnt 0x0
	v_mul_u64_e32 v[10:11], s[0:1], v[0:1]
	s_delay_alu instid0(VALU_DEP_1) | instskip(NEXT) | instid1(VALU_DEP_1)
	v_dual_add_nc_u32 v6, s9, v6 :: v_dual_add_nc_u32 v10, v0, v11
	v_dual_mov_b32 v11, v1 :: v_dual_lshrrev_b32 v10, s15, v10
	s_delay_alu instid0(VALU_DEP_1) | instskip(NEXT) | instid1(VALU_DEP_1)
	v_mad_u32 v10, s10, v10, v0
	v_mul_lo_u32 v10, v10, s23
	s_delay_alu instid0(VALU_DEP_1) | instskip(NEXT) | instid1(VALU_DEP_1)
	v_add_nc_u64_e32 v[10:11], v[10:11], v[2:3]
	v_lshlrev_b64_e32 v[10:11], 2, v[10:11]
	s_delay_alu instid0(VALU_DEP_1)
	v_add_nc_u64_e32 v[12:13], s[4:5], v[10:11]
	v_add_nc_u64_e32 v[10:11], s[6:7], v[10:11]
	global_load_b32 v14, v[12:13], off
	global_load_b32 v15, v[10:11], off
	s_wait_xcnt 0x0
	v_dual_mov_b32 v10, v0 :: v_dual_ashrrev_i32 v11, 31, v0
	v_add_nc_u32_e32 v0, s2, v0
	s_delay_alu instid0(VALU_DEP_2) | instskip(NEXT) | instid1(VALU_DEP_2)
	v_lshl_add_u64 v[10:11], v[10:11], 2, v[8:9]
	v_cmp_le_i32_e32 vcc_lo, s8, v0
	s_or_b32 s11, vcc_lo, s11
	s_wait_loadcnt 0x1
	v_add_f32_e32 v7, v7, v14
	s_wait_loadcnt 0x0
	s_delay_alu instid0(VALU_DEP_1)
	v_add_f32_e32 v7, v7, v15
	global_store_b32 v[10:11], v7, off
	s_wait_xcnt 0x0
	s_and_not1_b32 exec_lo, exec_lo, s11
	s_cbranch_execz .LBB47_6
.LBB47_4:                               ; =>This Inner Loop Header: Depth=1
	v_mov_b32_e32 v7, 0
	s_and_not1_b32 vcc_lo, exec_lo, s3
	s_cbranch_vccnz .LBB47_3
; %bb.5:                                ;   in Loop: Header=BB47_4 Depth=1
	v_ashrrev_i32_e32 v7, 31, v6
	s_delay_alu instid0(VALU_DEP_1)
	v_lshl_add_u64 v[10:11], v[6:7], 1, v[4:5]
	global_load_u16 v7, v[10:11], off
	s_wait_loadcnt 0x0
	v_cvt_f32_f16_e32 v7, v7
	s_branch .LBB47_3
.LBB47_6:
	s_endpgm
	.section	.rodata,"a",@progbits
	.p2align	6, 0x0
	.amdhsa_kernel _ZL11k_bin_bcastIXadL_ZL6op_addffEE6__halfffJPKfS2_EEvPKT0_PKT1_PT2_iii15HIP_vector_typeIjLj3EESC_SC_SC_SC_iiiiiiiiiiiDpT3_
		.amdhsa_group_segment_fixed_size 0
		.amdhsa_private_segment_fixed_size 0
		.amdhsa_kernarg_size 416
		.amdhsa_user_sgpr_count 2
		.amdhsa_user_sgpr_dispatch_ptr 0
		.amdhsa_user_sgpr_queue_ptr 0
		.amdhsa_user_sgpr_kernarg_segment_ptr 1
		.amdhsa_user_sgpr_dispatch_id 0
		.amdhsa_user_sgpr_kernarg_preload_length 0
		.amdhsa_user_sgpr_kernarg_preload_offset 0
		.amdhsa_user_sgpr_private_segment_size 0
		.amdhsa_wavefront_size32 1
		.amdhsa_uses_dynamic_stack 0
		.amdhsa_enable_private_segment 0
		.amdhsa_system_sgpr_workgroup_id_x 1
		.amdhsa_system_sgpr_workgroup_id_y 1
		.amdhsa_system_sgpr_workgroup_id_z 1
		.amdhsa_system_sgpr_workgroup_info 0
		.amdhsa_system_vgpr_workitem_id 2
		.amdhsa_next_free_vgpr 16
		.amdhsa_next_free_sgpr 39
		.amdhsa_named_barrier_count 0
		.amdhsa_reserve_vcc 1
		.amdhsa_float_round_mode_32 0
		.amdhsa_float_round_mode_16_64 0
		.amdhsa_float_denorm_mode_32 3
		.amdhsa_float_denorm_mode_16_64 3
		.amdhsa_fp16_overflow 0
		.amdhsa_memory_ordered 1
		.amdhsa_forward_progress 1
		.amdhsa_inst_pref_size 8
		.amdhsa_round_robin_scheduling 0
		.amdhsa_exception_fp_ieee_invalid_op 0
		.amdhsa_exception_fp_denorm_src 0
		.amdhsa_exception_fp_ieee_div_zero 0
		.amdhsa_exception_fp_ieee_overflow 0
		.amdhsa_exception_fp_ieee_underflow 0
		.amdhsa_exception_fp_ieee_inexact 0
		.amdhsa_exception_int_div_zero 0
	.end_amdhsa_kernel
	.section	.text._ZL11k_bin_bcastIXadL_ZL6op_addffEE6__halfffJPKfS2_EEvPKT0_PKT1_PT2_iii15HIP_vector_typeIjLj3EESC_SC_SC_SC_iiiiiiiiiiiDpT3_,"axG",@progbits,_ZL11k_bin_bcastIXadL_ZL6op_addffEE6__halfffJPKfS2_EEvPKT0_PKT1_PT2_iii15HIP_vector_typeIjLj3EESC_SC_SC_SC_iiiiiiiiiiiDpT3_,comdat
.Lfunc_end47:
	.size	_ZL11k_bin_bcastIXadL_ZL6op_addffEE6__halfffJPKfS2_EEvPKT0_PKT1_PT2_iii15HIP_vector_typeIjLj3EESC_SC_SC_SC_iiiiiiiiiiiDpT3_, .Lfunc_end47-_ZL11k_bin_bcastIXadL_ZL6op_addffEE6__halfffJPKfS2_EEvPKT0_PKT1_PT2_iii15HIP_vector_typeIjLj3EESC_SC_SC_SC_iiiiiiiiiiiDpT3_
                                        ; -- End function
	.set _ZL11k_bin_bcastIXadL_ZL6op_addffEE6__halfffJPKfS2_EEvPKT0_PKT1_PT2_iii15HIP_vector_typeIjLj3EESC_SC_SC_SC_iiiiiiiiiiiDpT3_.num_vgpr, 16
	.set _ZL11k_bin_bcastIXadL_ZL6op_addffEE6__halfffJPKfS2_EEvPKT0_PKT1_PT2_iii15HIP_vector_typeIjLj3EESC_SC_SC_SC_iiiiiiiiiiiDpT3_.num_agpr, 0
	.set _ZL11k_bin_bcastIXadL_ZL6op_addffEE6__halfffJPKfS2_EEvPKT0_PKT1_PT2_iii15HIP_vector_typeIjLj3EESC_SC_SC_SC_iiiiiiiiiiiDpT3_.numbered_sgpr, 39
	.set _ZL11k_bin_bcastIXadL_ZL6op_addffEE6__halfffJPKfS2_EEvPKT0_PKT1_PT2_iii15HIP_vector_typeIjLj3EESC_SC_SC_SC_iiiiiiiiiiiDpT3_.num_named_barrier, 0
	.set _ZL11k_bin_bcastIXadL_ZL6op_addffEE6__halfffJPKfS2_EEvPKT0_PKT1_PT2_iii15HIP_vector_typeIjLj3EESC_SC_SC_SC_iiiiiiiiiiiDpT3_.private_seg_size, 0
	.set _ZL11k_bin_bcastIXadL_ZL6op_addffEE6__halfffJPKfS2_EEvPKT0_PKT1_PT2_iii15HIP_vector_typeIjLj3EESC_SC_SC_SC_iiiiiiiiiiiDpT3_.uses_vcc, 1
	.set _ZL11k_bin_bcastIXadL_ZL6op_addffEE6__halfffJPKfS2_EEvPKT0_PKT1_PT2_iii15HIP_vector_typeIjLj3EESC_SC_SC_SC_iiiiiiiiiiiDpT3_.uses_flat_scratch, 0
	.set _ZL11k_bin_bcastIXadL_ZL6op_addffEE6__halfffJPKfS2_EEvPKT0_PKT1_PT2_iii15HIP_vector_typeIjLj3EESC_SC_SC_SC_iiiiiiiiiiiDpT3_.has_dyn_sized_stack, 0
	.set _ZL11k_bin_bcastIXadL_ZL6op_addffEE6__halfffJPKfS2_EEvPKT0_PKT1_PT2_iii15HIP_vector_typeIjLj3EESC_SC_SC_SC_iiiiiiiiiiiDpT3_.has_recursion, 0
	.set _ZL11k_bin_bcastIXadL_ZL6op_addffEE6__halfffJPKfS2_EEvPKT0_PKT1_PT2_iii15HIP_vector_typeIjLj3EESC_SC_SC_SC_iiiiiiiiiiiDpT3_.has_indirect_call, 0
	.section	.AMDGPU.csdata,"",@progbits
; Kernel info:
; codeLenInByte = 912
; TotalNumSgprs: 41
; NumVgprs: 16
; ScratchSize: 0
; MemoryBound: 0
; FloatMode: 240
; IeeeMode: 1
; LDSByteSize: 0 bytes/workgroup (compile time only)
; SGPRBlocks: 0
; VGPRBlocks: 0
; NumSGPRsForWavesPerEU: 41
; NumVGPRsForWavesPerEU: 16
; NamedBarCnt: 0
; Occupancy: 16
; WaveLimiterHint : 1
; COMPUTE_PGM_RSRC2:SCRATCH_EN: 0
; COMPUTE_PGM_RSRC2:USER_SGPR: 2
; COMPUTE_PGM_RSRC2:TRAP_HANDLER: 0
; COMPUTE_PGM_RSRC2:TGID_X_EN: 1
; COMPUTE_PGM_RSRC2:TGID_Y_EN: 1
; COMPUTE_PGM_RSRC2:TGID_Z_EN: 1
; COMPUTE_PGM_RSRC2:TIDIG_COMP_CNT: 2
	.section	.text._ZL19k_bin_bcast_unravelIXadL_ZL6op_addffEEfffJPKfS1_S1_EEvPKT0_PKT1_PT2_15HIP_vector_typeIjLj3EESB_SB_jSB_SB_SB_SB_SB_SB_iiiiiiiiiiiDpT3_,"axG",@progbits,_ZL19k_bin_bcast_unravelIXadL_ZL6op_addffEEfffJPKfS1_S1_EEvPKT0_PKT1_PT2_15HIP_vector_typeIjLj3EESB_SB_jSB_SB_SB_SB_SB_SB_iiiiiiiiiiiDpT3_,comdat
	.globl	_ZL19k_bin_bcast_unravelIXadL_ZL6op_addffEEfffJPKfS1_S1_EEvPKT0_PKT1_PT2_15HIP_vector_typeIjLj3EESB_SB_jSB_SB_SB_SB_SB_SB_iiiiiiiiiiiDpT3_ ; -- Begin function _ZL19k_bin_bcast_unravelIXadL_ZL6op_addffEEfffJPKfS1_S1_EEvPKT0_PKT1_PT2_15HIP_vector_typeIjLj3EESB_SB_jSB_SB_SB_SB_SB_SB_iiiiiiiiiiiDpT3_
	.p2align	8
	.type	_ZL19k_bin_bcast_unravelIXadL_ZL6op_addffEEfffJPKfS1_S1_EEvPKT0_PKT1_PT2_15HIP_vector_typeIjLj3EESB_SB_jSB_SB_SB_SB_SB_SB_iiiiiiiiiiiDpT3_,@function
_ZL19k_bin_bcast_unravelIXadL_ZL6op_addffEEfffJPKfS1_S1_EEvPKT0_PKT1_PT2_15HIP_vector_typeIjLj3EESB_SB_jSB_SB_SB_SB_SB_SB_iiiiiiiiiiiDpT3_: ; @_ZL19k_bin_bcast_unravelIXadL_ZL6op_addffEEfffJPKfS1_S1_EEvPKT0_PKT1_PT2_15HIP_vector_typeIjLj3EESB_SB_jSB_SB_SB_SB_SB_SB_iiiiiiiiiiiDpT3_
; %bb.0:
	s_load_b32 s2, s[0:1], 0xdc
	s_bfe_u32 s3, ttmp6, 0x4000c
	s_load_b256 s[4:11], s[0:1], 0x38
	s_add_co_i32 s3, s3, 1
	s_and_b32 s12, ttmp6, 15
	s_mul_i32 s3, ttmp9, s3
	s_getreg_b32 s13, hwreg(HW_REG_IB_STS2, 6, 4)
	s_add_co_i32 s12, s12, s3
	s_wait_kmcnt 0x0
	s_and_b32 s2, s2, 0xffff
	s_cmp_eq_u32 s13, 0
	s_cselect_b32 s3, ttmp9, s12
	s_delay_alu instid0(SALU_CYCLE_1) | instskip(SKIP_1) | instid1(VALU_DEP_1)
	v_mad_u32 v0, s3, s2, v0
	s_load_b32 s2, s[0:1], 0x2c
	v_mul_hi_u32 v1, v0, s6
	s_delay_alu instid0(VALU_DEP_1) | instskip(NEXT) | instid1(VALU_DEP_1)
	v_add_nc_u32_e32 v1, v0, v1
	v_lshrrev_b32_e32 v1, s7, v1
	s_delay_alu instid0(VALU_DEP_1) | instskip(NEXT) | instid1(VALU_DEP_1)
	v_mul_lo_u32 v2, v1, s8
	v_sub_nc_u32_e32 v0, v0, v2
	s_delay_alu instid0(VALU_DEP_1) | instskip(NEXT) | instid1(VALU_DEP_1)
	v_mul_hi_u32 v2, v0, s9
	v_add_nc_u32_e32 v2, v0, v2
	s_delay_alu instid0(VALU_DEP_1) | instskip(SKIP_1) | instid1(VALU_DEP_1)
	v_lshrrev_b32_e32 v2, s10, v2
	s_load_b96 s[8:10], s[0:1], 0x18
	v_mul_lo_u32 v3, v2, s11
	s_delay_alu instid0(VALU_DEP_1) | instskip(SKIP_3) | instid1(VALU_DEP_3)
	v_sub_nc_u32_e32 v0, v0, v3
	v_cmp_gt_u32_e64 s3, s4, v2
	v_cmp_gt_u32_e64 s4, s5, v1
	s_wait_kmcnt 0x0
	v_mul_hi_u32 v3, v0, s8
	s_delay_alu instid0(VALU_DEP_1) | instskip(NEXT) | instid1(VALU_DEP_1)
	v_add_nc_u32_e32 v3, v0, v3
	v_lshrrev_b32_e32 v4, s9, v3
	s_delay_alu instid0(VALU_DEP_1) | instskip(NEXT) | instid1(VALU_DEP_1)
	v_mul_lo_u32 v3, v4, s10
	v_sub_nc_u32_e32 v0, v0, v3
	v_cmp_gt_u32_e64 s2, s2, v4
	s_delay_alu instid0(VALU_DEP_2) | instskip(SKIP_1) | instid1(SALU_CYCLE_1)
	v_cmp_gt_u32_e32 vcc_lo, s10, v0
	s_and_b32 s2, vcc_lo, s2
	s_and_b32 s2, s2, s3
	s_delay_alu instid0(SALU_CYCLE_1) | instskip(NEXT) | instid1(SALU_CYCLE_1)
	s_and_b32 s2, s4, s2
	s_and_saveexec_b32 s3, s2
	s_cbranch_execz .LBB48_4
; %bb.1:
	s_clause 0x4
	s_load_b64 s[2:3], s[0:1], 0x0
	s_load_b96 s[24:26], s[0:1], 0xa8
	s_load_b256 s[4:11], s[0:1], 0x88
	s_load_b128 s[20:23], s[0:1], 0x78
	s_load_b256 s[12:19], s[0:1], 0x58
	v_dual_mov_b32 v3, 0 :: v_dual_mov_b32 v5, 0
	s_wait_kmcnt 0x0
	s_cmp_eq_u64 s[2:3], 0
	s_cbranch_scc1 .LBB48_3
; %bb.2:
	v_mul_lo_u32 v5, v1, s10
	v_mov_b32_e32 v7, 0
	s_delay_alu instid0(VALU_DEP_2) | instskip(NEXT) | instid1(VALU_DEP_1)
	v_mad_u32 v5, v2, s9, v5
	v_mad_u32 v6, v4, s8, v5
	s_delay_alu instid0(VALU_DEP_1) | instskip(SKIP_1) | instid1(VALU_DEP_1)
	v_lshl_add_u64 v[8:9], v[6:7], 2, s[2:3]
	v_mul_lo_u32 v6, v0, s7
	v_lshl_add_u64 v[6:7], v[6:7], 2, v[8:9]
	global_load_b32 v5, v[6:7], off
.LBB48_3:
	s_wait_xcnt 0x0
	v_mul_hi_u32 v6, s21, v1
	v_mul_hi_u32 v7, s18, v2
	;; [unrolled: 1-line block ×4, first 2 shown]
	s_load_b64 s[2:3], s[0:1], 0xc8
	s_delay_alu instid0(VALU_DEP_3) | instskip(NEXT) | instid1(VALU_DEP_1)
	v_dual_add_nc_u32 v6, v1, v6 :: v_dual_add_nc_u32 v7, v2, v7
	v_dual_lshrrev_b32 v6, s22, v6 :: v_dual_lshrrev_b32 v7, s19, v7
	s_delay_alu instid0(VALU_DEP_1) | instskip(SKIP_1) | instid1(VALU_DEP_3)
	v_mul_lo_u32 v6, v6, s23
	v_add_nc_u32_e32 v8, v4, v8
	v_mul_lo_u32 v7, v7, s20
	s_delay_alu instid0(VALU_DEP_3) | instskip(NEXT) | instid1(VALU_DEP_2)
	v_dual_sub_nc_u32 v6, v1, v6 :: v_dual_add_nc_u32 v9, v0, v9
	v_dual_lshrrev_b32 v8, s16, v8 :: v_dual_sub_nc_u32 v7, v2, v7
	v_mul_lo_u32 v1, v1, s6
	s_delay_alu instid0(VALU_DEP_3) | instskip(NEXT) | instid1(VALU_DEP_4)
	v_mul_lo_u32 v6, v6, s26
	v_lshrrev_b32_e32 v9, s13, v9
	s_delay_alu instid0(VALU_DEP_4) | instskip(NEXT) | instid1(VALU_DEP_2)
	v_mul_lo_u32 v8, v8, s17
	v_mul_lo_u32 v9, v9, s14
	v_mad_u32 v1, v2, s5, v1
	v_mad_u32 v7, v7, s25, v6
	s_delay_alu instid0(VALU_DEP_4) | instskip(NEXT) | instid1(VALU_DEP_3)
	v_sub_nc_u32_e32 v8, v4, v8
	v_mad_u32 v2, v4, s4, v1
	s_delay_alu instid0(VALU_DEP_2) | instskip(SKIP_1) | instid1(VALU_DEP_2)
	v_mad_u32 v8, v8, s24, v7
	v_dual_mov_b32 v1, v3 :: v_dual_sub_nc_u32 v6, v0, v9
	v_ashrrev_i32_e32 v9, 31, v8
	s_delay_alu instid0(VALU_DEP_2) | instskip(SKIP_1) | instid1(VALU_DEP_1)
	v_mul_lo_u32 v6, v6, s11
	s_load_b128 s[8:11], s[0:1], 0xb8
	v_ashrrev_i32_e32 v7, 31, v6
	s_wait_xcnt 0x0
	s_load_b64 s[0:1], s[0:1], 0x10
	s_delay_alu instid0(VALU_DEP_1) | instskip(NEXT) | instid1(VALU_DEP_1)
	v_add_nc_u64_e32 v[6:7], v[6:7], v[8:9]
	v_lshlrev_b64_e32 v[6:7], 2, v[6:7]
	s_wait_kmcnt 0x0
	s_delay_alu instid0(VALU_DEP_1)
	v_add_nc_u64_e32 v[8:9], s[8:9], v[6:7]
	v_add_nc_u64_e32 v[10:11], s[10:11], v[6:7]
	v_add_nc_u64_e32 v[6:7], s[2:3], v[6:7]
	v_lshl_add_u64 v[2:3], v[2:3], 2, s[0:1]
	global_load_b32 v8, v[8:9], off
	global_load_b32 v9, v[10:11], off
	global_load_b32 v12, v[6:7], off
	v_lshl_add_u64 v[0:1], v[0:1], 2, v[2:3]
	s_wait_loadcnt 0x2
	v_add_f32_e32 v4, v5, v8
	s_wait_loadcnt 0x1
	s_delay_alu instid0(VALU_DEP_1) | instskip(SKIP_1) | instid1(VALU_DEP_1)
	v_add_f32_e32 v4, v4, v9
	s_wait_loadcnt 0x0
	v_add_f32_e32 v4, v4, v12
	global_store_b32 v[0:1], v4, off
.LBB48_4:
	s_endpgm
	.section	.rodata,"a",@progbits
	.p2align	6, 0x0
	.amdhsa_kernel _ZL19k_bin_bcast_unravelIXadL_ZL6op_addffEEfffJPKfS1_S1_EEvPKT0_PKT1_PT2_15HIP_vector_typeIjLj3EESB_SB_jSB_SB_SB_SB_SB_SB_iiiiiiiiiiiDpT3_
		.amdhsa_group_segment_fixed_size 0
		.amdhsa_private_segment_fixed_size 0
		.amdhsa_kernarg_size 464
		.amdhsa_user_sgpr_count 2
		.amdhsa_user_sgpr_dispatch_ptr 0
		.amdhsa_user_sgpr_queue_ptr 0
		.amdhsa_user_sgpr_kernarg_segment_ptr 1
		.amdhsa_user_sgpr_dispatch_id 0
		.amdhsa_user_sgpr_kernarg_preload_length 0
		.amdhsa_user_sgpr_kernarg_preload_offset 0
		.amdhsa_user_sgpr_private_segment_size 0
		.amdhsa_wavefront_size32 1
		.amdhsa_uses_dynamic_stack 0
		.amdhsa_enable_private_segment 0
		.amdhsa_system_sgpr_workgroup_id_x 1
		.amdhsa_system_sgpr_workgroup_id_y 0
		.amdhsa_system_sgpr_workgroup_id_z 0
		.amdhsa_system_sgpr_workgroup_info 0
		.amdhsa_system_vgpr_workitem_id 0
		.amdhsa_next_free_vgpr 13
		.amdhsa_next_free_sgpr 27
		.amdhsa_named_barrier_count 0
		.amdhsa_reserve_vcc 1
		.amdhsa_float_round_mode_32 0
		.amdhsa_float_round_mode_16_64 0
		.amdhsa_float_denorm_mode_32 3
		.amdhsa_float_denorm_mode_16_64 3
		.amdhsa_fp16_overflow 0
		.amdhsa_memory_ordered 1
		.amdhsa_forward_progress 1
		.amdhsa_inst_pref_size 7
		.amdhsa_round_robin_scheduling 0
		.amdhsa_exception_fp_ieee_invalid_op 0
		.amdhsa_exception_fp_denorm_src 0
		.amdhsa_exception_fp_ieee_div_zero 0
		.amdhsa_exception_fp_ieee_overflow 0
		.amdhsa_exception_fp_ieee_underflow 0
		.amdhsa_exception_fp_ieee_inexact 0
		.amdhsa_exception_int_div_zero 0
	.end_amdhsa_kernel
	.section	.text._ZL19k_bin_bcast_unravelIXadL_ZL6op_addffEEfffJPKfS1_S1_EEvPKT0_PKT1_PT2_15HIP_vector_typeIjLj3EESB_SB_jSB_SB_SB_SB_SB_SB_iiiiiiiiiiiDpT3_,"axG",@progbits,_ZL19k_bin_bcast_unravelIXadL_ZL6op_addffEEfffJPKfS1_S1_EEvPKT0_PKT1_PT2_15HIP_vector_typeIjLj3EESB_SB_jSB_SB_SB_SB_SB_SB_iiiiiiiiiiiDpT3_,comdat
.Lfunc_end48:
	.size	_ZL19k_bin_bcast_unravelIXadL_ZL6op_addffEEfffJPKfS1_S1_EEvPKT0_PKT1_PT2_15HIP_vector_typeIjLj3EESB_SB_jSB_SB_SB_SB_SB_SB_iiiiiiiiiiiDpT3_, .Lfunc_end48-_ZL19k_bin_bcast_unravelIXadL_ZL6op_addffEEfffJPKfS1_S1_EEvPKT0_PKT1_PT2_15HIP_vector_typeIjLj3EESB_SB_jSB_SB_SB_SB_SB_SB_iiiiiiiiiiiDpT3_
                                        ; -- End function
	.set _ZL19k_bin_bcast_unravelIXadL_ZL6op_addffEEfffJPKfS1_S1_EEvPKT0_PKT1_PT2_15HIP_vector_typeIjLj3EESB_SB_jSB_SB_SB_SB_SB_SB_iiiiiiiiiiiDpT3_.num_vgpr, 13
	.set _ZL19k_bin_bcast_unravelIXadL_ZL6op_addffEEfffJPKfS1_S1_EEvPKT0_PKT1_PT2_15HIP_vector_typeIjLj3EESB_SB_jSB_SB_SB_SB_SB_SB_iiiiiiiiiiiDpT3_.num_agpr, 0
	.set _ZL19k_bin_bcast_unravelIXadL_ZL6op_addffEEfffJPKfS1_S1_EEvPKT0_PKT1_PT2_15HIP_vector_typeIjLj3EESB_SB_jSB_SB_SB_SB_SB_SB_iiiiiiiiiiiDpT3_.numbered_sgpr, 27
	.set _ZL19k_bin_bcast_unravelIXadL_ZL6op_addffEEfffJPKfS1_S1_EEvPKT0_PKT1_PT2_15HIP_vector_typeIjLj3EESB_SB_jSB_SB_SB_SB_SB_SB_iiiiiiiiiiiDpT3_.num_named_barrier, 0
	.set _ZL19k_bin_bcast_unravelIXadL_ZL6op_addffEEfffJPKfS1_S1_EEvPKT0_PKT1_PT2_15HIP_vector_typeIjLj3EESB_SB_jSB_SB_SB_SB_SB_SB_iiiiiiiiiiiDpT3_.private_seg_size, 0
	.set _ZL19k_bin_bcast_unravelIXadL_ZL6op_addffEEfffJPKfS1_S1_EEvPKT0_PKT1_PT2_15HIP_vector_typeIjLj3EESB_SB_jSB_SB_SB_SB_SB_SB_iiiiiiiiiiiDpT3_.uses_vcc, 1
	.set _ZL19k_bin_bcast_unravelIXadL_ZL6op_addffEEfffJPKfS1_S1_EEvPKT0_PKT1_PT2_15HIP_vector_typeIjLj3EESB_SB_jSB_SB_SB_SB_SB_SB_iiiiiiiiiiiDpT3_.uses_flat_scratch, 0
	.set _ZL19k_bin_bcast_unravelIXadL_ZL6op_addffEEfffJPKfS1_S1_EEvPKT0_PKT1_PT2_15HIP_vector_typeIjLj3EESB_SB_jSB_SB_SB_SB_SB_SB_iiiiiiiiiiiDpT3_.has_dyn_sized_stack, 0
	.set _ZL19k_bin_bcast_unravelIXadL_ZL6op_addffEEfffJPKfS1_S1_EEvPKT0_PKT1_PT2_15HIP_vector_typeIjLj3EESB_SB_jSB_SB_SB_SB_SB_SB_iiiiiiiiiiiDpT3_.has_recursion, 0
	.set _ZL19k_bin_bcast_unravelIXadL_ZL6op_addffEEfffJPKfS1_S1_EEvPKT0_PKT1_PT2_15HIP_vector_typeIjLj3EESB_SB_jSB_SB_SB_SB_SB_SB_iiiiiiiiiiiDpT3_.has_indirect_call, 0
	.section	.AMDGPU.csdata,"",@progbits
; Kernel info:
; codeLenInByte = 792
; TotalNumSgprs: 29
; NumVgprs: 13
; ScratchSize: 0
; MemoryBound: 0
; FloatMode: 240
; IeeeMode: 1
; LDSByteSize: 0 bytes/workgroup (compile time only)
; SGPRBlocks: 0
; VGPRBlocks: 0
; NumSGPRsForWavesPerEU: 29
; NumVGPRsForWavesPerEU: 13
; NamedBarCnt: 0
; Occupancy: 16
; WaveLimiterHint : 1
; COMPUTE_PGM_RSRC2:SCRATCH_EN: 0
; COMPUTE_PGM_RSRC2:USER_SGPR: 2
; COMPUTE_PGM_RSRC2:TRAP_HANDLER: 0
; COMPUTE_PGM_RSRC2:TGID_X_EN: 1
; COMPUTE_PGM_RSRC2:TGID_Y_EN: 0
; COMPUTE_PGM_RSRC2:TGID_Z_EN: 0
; COMPUTE_PGM_RSRC2:TIDIG_COMP_CNT: 0
	.section	.text._ZL11k_bin_bcastIXadL_ZL6op_addffEEfffJPKfS1_S1_EEvPKT0_PKT1_PT2_iii15HIP_vector_typeIjLj3EESB_SB_SB_SB_iiiiiiiiiiiDpT3_,"axG",@progbits,_ZL11k_bin_bcastIXadL_ZL6op_addffEEfffJPKfS1_S1_EEvPKT0_PKT1_PT2_iii15HIP_vector_typeIjLj3EESB_SB_SB_SB_iiiiiiiiiiiDpT3_,comdat
	.globl	_ZL11k_bin_bcastIXadL_ZL6op_addffEEfffJPKfS1_S1_EEvPKT0_PKT1_PT2_iii15HIP_vector_typeIjLj3EESB_SB_SB_SB_iiiiiiiiiiiDpT3_ ; -- Begin function _ZL11k_bin_bcastIXadL_ZL6op_addffEEfffJPKfS1_S1_EEvPKT0_PKT1_PT2_iii15HIP_vector_typeIjLj3EESB_SB_SB_SB_iiiiiiiiiiiDpT3_
	.p2align	8
	.type	_ZL11k_bin_bcastIXadL_ZL6op_addffEEfffJPKfS1_S1_EEvPKT0_PKT1_PT2_iii15HIP_vector_typeIjLj3EESB_SB_SB_SB_iiiiiiiiiiiDpT3_,@function
_ZL11k_bin_bcastIXadL_ZL6op_addffEEfffJPKfS1_S1_EEvPKT0_PKT1_PT2_iii15HIP_vector_typeIjLj3EESB_SB_SB_SB_iiiiiiiiiiiDpT3_: ; @_ZL11k_bin_bcastIXadL_ZL6op_addffEEfffJPKfS1_S1_EEvPKT0_PKT1_PT2_iii15HIP_vector_typeIjLj3EESB_SB_SB_SB_iiiiiiiiiiiDpT3_
; %bb.0:
	s_load_b64 s[2:3], s[0:1], 0xb4
	s_bfe_u32 s5, ttmp6, 0x40014
	s_bfe_u32 s16, ttmp6, 0x40010
	;; [unrolled: 1-line block ×3, first 2 shown]
	s_lshr_b32 s4, ttmp7, 16
	s_add_co_i32 s5, s5, 1
	s_and_b32 s7, ttmp7, 0xffff
	s_load_b256 s[8:15], s[0:1], 0x18
	s_add_co_i32 s16, s16, 1
	s_add_co_i32 s19, s19, 1
	s_bfe_u32 s6, ttmp6, 0x40008
	s_mul_i32 s5, s4, s5
	s_bfe_u32 s17, ttmp6, 0x40004
	s_and_b32 s18, ttmp6, 15
	s_mul_i32 s16, s7, s16
	s_mul_i32 s19, ttmp9, s19
	s_add_co_i32 s6, s6, s5
	s_add_co_i32 s17, s17, s16
	;; [unrolled: 1-line block ×3, first 2 shown]
	v_bfe_u32 v1, v0, 20, 10
	s_wait_kmcnt 0x0
	s_lshr_b32 s5, s2, 16
	s_and_b32 s33, s2, 0xffff
	s_getreg_b32 s2, hwreg(HW_REG_IB_STS2, 6, 4)
	s_and_b32 s3, s3, 0xffff
	s_cmp_eq_u32 s2, 0
	v_and_b32_e32 v2, 0x3ff, v0
	s_cselect_b32 s2, s4, s6
	v_bfe_u32 v4, v0, 10, 10
	v_mad_u32 v3, s2, s3, v1
	s_cselect_b32 s2, ttmp9, s18
	s_cselect_b32 s3, s7, s17
	v_mad_u32 v0, s2, s33, v2
	v_mad_u32 v2, s3, s5, v4
	s_delay_alu instid0(VALU_DEP_3) | instskip(NEXT) | instid1(VALU_DEP_3)
	v_mul_hi_u32 v1, v3, s11
	v_cmp_gt_u32_e32 vcc_lo, s8, v0
	s_delay_alu instid0(VALU_DEP_3) | instskip(SKIP_2) | instid1(VALU_DEP_1)
	v_cmp_gt_u32_e64 s2, s9, v2
	s_and_b32 s2, vcc_lo, s2
	v_add_nc_u32_e32 v1, v3, v1
	v_lshrrev_b32_e32 v1, s12, v1
	s_delay_alu instid0(VALU_DEP_1) | instskip(SKIP_3) | instid1(VALU_DEP_1)
	v_mul_lo_u32 v5, v1, s13
	v_cmp_gt_u32_e64 s3, s10, v1
	s_and_b32 s2, s2, s3
	v_sub_nc_u32_e32 v3, v3, v5
	v_cmp_gt_u32_e64 s4, s13, v3
	s_and_b32 s2, s2, s4
	s_delay_alu instid0(SALU_CYCLE_1)
	s_and_saveexec_b32 s3, s2
	s_cbranch_execz .LBB49_6
; %bb.1:
	v_cmp_gt_i32_e32 vcc_lo, s8, v0
	s_and_b32 exec_lo, exec_lo, vcc_lo
	s_cbranch_execz .LBB49_6
; %bb.2:
	s_clause 0x6
	s_load_b256 s[24:31], s[0:1], 0x3c
	s_load_b32 s2, s[0:1], 0x5c
	s_load_b256 s[16:23], s[0:1], 0x60
	s_load_b96 s[36:38], s[0:1], 0x80
	s_load_b128 s[4:7], s[0:1], 0x90
	s_load_b64 s[10:11], s[0:1], 0x0
	s_load_b64 s[12:13], s[0:1], 0x10
	s_wait_kmcnt 0x0
	v_mul_hi_u32 v4, s30, v3
	v_mul_hi_u32 v5, s27, v1
	;; [unrolled: 1-line block ×3, first 2 shown]
	v_mul_lo_u32 v7, v2, s20
	v_mul_lo_u32 v8, v2, s16
	s_cmp_lg_u64 s[10:11], 0
	s_delay_alu instid0(VALU_DEP_4) | instskip(NEXT) | instid1(VALU_DEP_3)
	v_dual_add_nc_u32 v4, v3, v4 :: v_dual_add_nc_u32 v5, v1, v5
	v_mad_u32 v7, v1, s21, v7
	s_delay_alu instid0(VALU_DEP_3) | instskip(NEXT) | instid1(VALU_DEP_3)
	v_mad_u32 v8, v1, s17, v8
	v_dual_lshrrev_b32 v4, s31, v4 :: v_dual_lshrrev_b32 v5, s28, v5
	s_delay_alu instid0(VALU_DEP_1) | instskip(SKIP_1) | instid1(VALU_DEP_3)
	v_mul_lo_u32 v4, v4, s2
	v_add_nc_u32_e32 v6, v2, v6
	v_mul_lo_u32 v5, v5, s29
	s_add_nc_u64 s[2:3], s[0:1], 0xa8
	s_load_b32 s9, s[2:3], 0x0
	s_load_b32 s16, s[0:1], 0x38
	s_wait_xcnt 0x0
	s_load_b64 s[0:1], s[0:1], 0xa0
	v_mad_u32 v8, v3, s18, v8
	s_mov_b32 s3, 0
	s_mov_b32 s2, s14
	v_dual_sub_nc_u32 v4, v3, v4 :: v_dual_lshrrev_b32 v6, s25, v6
	s_delay_alu instid0(VALU_DEP_3) | instskip(NEXT) | instid1(VALU_DEP_2)
	v_sub_nc_u32_e32 v5, v1, v5
	v_mul_lo_u32 v9, v4, s38
	s_delay_alu instid0(VALU_DEP_3) | instskip(SKIP_4) | instid1(VALU_DEP_4)
	v_mul_lo_u32 v6, v6, s26
	v_mad_u32 v4, v3, s22, v7
	v_mov_b32_e32 v1, 0
	s_wait_kmcnt 0x0
	s_mul_i32 s9, s9, s33
	v_mad_u32 v7, v5, s37, v9
	s_delay_alu instid0(VALU_DEP_4) | instskip(SKIP_3) | instid1(VALU_DEP_2)
	v_sub_nc_u32_e32 v2, v2, v6
	v_mul_lo_u32 v6, s19, v0
	v_dual_mov_b32 v5, v1 :: v_dual_mov_b32 v9, v1
	v_mov_b32_e32 v3, v1
	v_lshl_add_u64 v[4:5], v[4:5], 2, s[10:11]
	s_delay_alu instid0(VALU_DEP_3)
	v_lshl_add_u64 v[8:9], v[8:9], 2, s[12:13]
	s_cselect_b32 s10, -1, 0
	v_mad_u32 v2, v2, s36, v7
	s_mul_i32 s11, s9, s19
	s_sub_co_i32 s12, 0, s16
	s_mov_b32 s13, s3
	s_branch .LBB49_4
.LBB49_3:                               ;   in Loop: Header=BB49_4 Depth=1
	s_wait_xcnt 0x0
	v_mul_u64_e32 v[10:11], s[2:3], v[0:1]
	s_delay_alu instid0(VALU_DEP_1) | instskip(NEXT) | instid1(VALU_DEP_1)
	v_dual_add_nc_u32 v6, s11, v6 :: v_dual_add_nc_u32 v10, v0, v11
	v_dual_mov_b32 v11, v1 :: v_dual_lshrrev_b32 v10, s15, v10
	s_delay_alu instid0(VALU_DEP_1) | instskip(NEXT) | instid1(VALU_DEP_1)
	v_mad_u32 v10, s12, v10, v0
	v_mul_lo_u32 v10, v10, s23
	s_delay_alu instid0(VALU_DEP_1) | instskip(NEXT) | instid1(VALU_DEP_1)
	v_add_nc_u64_e32 v[10:11], v[10:11], v[2:3]
	v_lshlrev_b64_e32 v[10:11], 2, v[10:11]
	s_delay_alu instid0(VALU_DEP_1)
	v_add_nc_u64_e32 v[12:13], s[4:5], v[10:11]
	v_add_nc_u64_e32 v[14:15], s[6:7], v[10:11]
	;; [unrolled: 1-line block ×3, first 2 shown]
	global_load_b32 v12, v[12:13], off
	global_load_b32 v13, v[14:15], off
	;; [unrolled: 1-line block ×3, first 2 shown]
	s_wait_xcnt 0x0
	v_dual_mov_b32 v10, v0 :: v_dual_ashrrev_i32 v11, 31, v0
	s_delay_alu instid0(VALU_DEP_1) | instskip(SKIP_3) | instid1(VALU_DEP_1)
	v_lshl_add_u64 v[10:11], v[10:11], 2, v[8:9]
	s_wait_loadcnt 0x2
	v_add_f32_e32 v7, v7, v12
	s_wait_loadcnt 0x1
	v_dual_add_f32 v7, v7, v13 :: v_dual_add_nc_u32 v0, s9, v0
	s_delay_alu instid0(VALU_DEP_1) | instskip(SKIP_1) | instid1(VALU_DEP_2)
	v_cmp_le_i32_e32 vcc_lo, s8, v0
	s_wait_loadcnt 0x0
	v_add_f32_e32 v7, v7, v16
	s_or_b32 s13, vcc_lo, s13
	global_store_b32 v[10:11], v7, off
	s_wait_xcnt 0x0
	s_and_not1_b32 exec_lo, exec_lo, s13
	s_cbranch_execz .LBB49_6
.LBB49_4:                               ; =>This Inner Loop Header: Depth=1
	v_mov_b32_e32 v7, 0
	s_and_not1_b32 vcc_lo, exec_lo, s10
	s_cbranch_vccnz .LBB49_3
; %bb.5:                                ;   in Loop: Header=BB49_4 Depth=1
	v_ashrrev_i32_e32 v7, 31, v6
	s_delay_alu instid0(VALU_DEP_1)
	v_lshl_add_u64 v[10:11], v[6:7], 2, v[4:5]
	global_load_b32 v7, v[10:11], off
	s_branch .LBB49_3
.LBB49_6:
	s_endpgm
	.section	.rodata,"a",@progbits
	.p2align	6, 0x0
	.amdhsa_kernel _ZL11k_bin_bcastIXadL_ZL6op_addffEEfffJPKfS1_S1_EEvPKT0_PKT1_PT2_iii15HIP_vector_typeIjLj3EESB_SB_SB_SB_iiiiiiiiiiiDpT3_
		.amdhsa_group_segment_fixed_size 0
		.amdhsa_private_segment_fixed_size 0
		.amdhsa_kernarg_size 424
		.amdhsa_user_sgpr_count 2
		.amdhsa_user_sgpr_dispatch_ptr 0
		.amdhsa_user_sgpr_queue_ptr 0
		.amdhsa_user_sgpr_kernarg_segment_ptr 1
		.amdhsa_user_sgpr_dispatch_id 0
		.amdhsa_user_sgpr_kernarg_preload_length 0
		.amdhsa_user_sgpr_kernarg_preload_offset 0
		.amdhsa_user_sgpr_private_segment_size 0
		.amdhsa_wavefront_size32 1
		.amdhsa_uses_dynamic_stack 0
		.amdhsa_enable_private_segment 0
		.amdhsa_system_sgpr_workgroup_id_x 1
		.amdhsa_system_sgpr_workgroup_id_y 1
		.amdhsa_system_sgpr_workgroup_id_z 1
		.amdhsa_system_sgpr_workgroup_info 0
		.amdhsa_system_vgpr_workitem_id 2
		.amdhsa_next_free_vgpr 17
		.amdhsa_next_free_sgpr 39
		.amdhsa_named_barrier_count 0
		.amdhsa_reserve_vcc 1
		.amdhsa_float_round_mode_32 0
		.amdhsa_float_round_mode_16_64 0
		.amdhsa_float_denorm_mode_32 3
		.amdhsa_float_denorm_mode_16_64 3
		.amdhsa_fp16_overflow 0
		.amdhsa_memory_ordered 1
		.amdhsa_forward_progress 1
		.amdhsa_inst_pref_size 8
		.amdhsa_round_robin_scheduling 0
		.amdhsa_exception_fp_ieee_invalid_op 0
		.amdhsa_exception_fp_denorm_src 0
		.amdhsa_exception_fp_ieee_div_zero 0
		.amdhsa_exception_fp_ieee_overflow 0
		.amdhsa_exception_fp_ieee_underflow 0
		.amdhsa_exception_fp_ieee_inexact 0
		.amdhsa_exception_int_div_zero 0
	.end_amdhsa_kernel
	.section	.text._ZL11k_bin_bcastIXadL_ZL6op_addffEEfffJPKfS1_S1_EEvPKT0_PKT1_PT2_iii15HIP_vector_typeIjLj3EESB_SB_SB_SB_iiiiiiiiiiiDpT3_,"axG",@progbits,_ZL11k_bin_bcastIXadL_ZL6op_addffEEfffJPKfS1_S1_EEvPKT0_PKT1_PT2_iii15HIP_vector_typeIjLj3EESB_SB_SB_SB_iiiiiiiiiiiDpT3_,comdat
.Lfunc_end49:
	.size	_ZL11k_bin_bcastIXadL_ZL6op_addffEEfffJPKfS1_S1_EEvPKT0_PKT1_PT2_iii15HIP_vector_typeIjLj3EESB_SB_SB_SB_iiiiiiiiiiiDpT3_, .Lfunc_end49-_ZL11k_bin_bcastIXadL_ZL6op_addffEEfffJPKfS1_S1_EEvPKT0_PKT1_PT2_iii15HIP_vector_typeIjLj3EESB_SB_SB_SB_iiiiiiiiiiiDpT3_
                                        ; -- End function
	.set _ZL11k_bin_bcastIXadL_ZL6op_addffEEfffJPKfS1_S1_EEvPKT0_PKT1_PT2_iii15HIP_vector_typeIjLj3EESB_SB_SB_SB_iiiiiiiiiiiDpT3_.num_vgpr, 17
	.set _ZL11k_bin_bcastIXadL_ZL6op_addffEEfffJPKfS1_S1_EEvPKT0_PKT1_PT2_iii15HIP_vector_typeIjLj3EESB_SB_SB_SB_iiiiiiiiiiiDpT3_.num_agpr, 0
	.set _ZL11k_bin_bcastIXadL_ZL6op_addffEEfffJPKfS1_S1_EEvPKT0_PKT1_PT2_iii15HIP_vector_typeIjLj3EESB_SB_SB_SB_iiiiiiiiiiiDpT3_.numbered_sgpr, 39
	.set _ZL11k_bin_bcastIXadL_ZL6op_addffEEfffJPKfS1_S1_EEvPKT0_PKT1_PT2_iii15HIP_vector_typeIjLj3EESB_SB_SB_SB_iiiiiiiiiiiDpT3_.num_named_barrier, 0
	.set _ZL11k_bin_bcastIXadL_ZL6op_addffEEfffJPKfS1_S1_EEvPKT0_PKT1_PT2_iii15HIP_vector_typeIjLj3EESB_SB_SB_SB_iiiiiiiiiiiDpT3_.private_seg_size, 0
	.set _ZL11k_bin_bcastIXadL_ZL6op_addffEEfffJPKfS1_S1_EEvPKT0_PKT1_PT2_iii15HIP_vector_typeIjLj3EESB_SB_SB_SB_iiiiiiiiiiiDpT3_.uses_vcc, 1
	.set _ZL11k_bin_bcastIXadL_ZL6op_addffEEfffJPKfS1_S1_EEvPKT0_PKT1_PT2_iii15HIP_vector_typeIjLj3EESB_SB_SB_SB_iiiiiiiiiiiDpT3_.uses_flat_scratch, 0
	.set _ZL11k_bin_bcastIXadL_ZL6op_addffEEfffJPKfS1_S1_EEvPKT0_PKT1_PT2_iii15HIP_vector_typeIjLj3EESB_SB_SB_SB_iiiiiiiiiiiDpT3_.has_dyn_sized_stack, 0
	.set _ZL11k_bin_bcastIXadL_ZL6op_addffEEfffJPKfS1_S1_EEvPKT0_PKT1_PT2_iii15HIP_vector_typeIjLj3EESB_SB_SB_SB_iiiiiiiiiiiDpT3_.has_recursion, 0
	.set _ZL11k_bin_bcastIXadL_ZL6op_addffEEfffJPKfS1_S1_EEvPKT0_PKT1_PT2_iii15HIP_vector_typeIjLj3EESB_SB_SB_SB_iiiiiiiiiiiDpT3_.has_indirect_call, 0
	.section	.AMDGPU.csdata,"",@progbits
; Kernel info:
; codeLenInByte = 936
; TotalNumSgprs: 41
; NumVgprs: 17
; ScratchSize: 0
; MemoryBound: 0
; FloatMode: 240
; IeeeMode: 1
; LDSByteSize: 0 bytes/workgroup (compile time only)
; SGPRBlocks: 0
; VGPRBlocks: 1
; NumSGPRsForWavesPerEU: 41
; NumVGPRsForWavesPerEU: 17
; NamedBarCnt: 0
; Occupancy: 16
; WaveLimiterHint : 1
; COMPUTE_PGM_RSRC2:SCRATCH_EN: 0
; COMPUTE_PGM_RSRC2:USER_SGPR: 2
; COMPUTE_PGM_RSRC2:TRAP_HANDLER: 0
; COMPUTE_PGM_RSRC2:TGID_X_EN: 1
; COMPUTE_PGM_RSRC2:TGID_Y_EN: 1
; COMPUTE_PGM_RSRC2:TGID_Z_EN: 1
; COMPUTE_PGM_RSRC2:TIDIG_COMP_CNT: 2
	.section	.text._ZL19k_bin_bcast_unravelIXadL_ZL6op_addffEE6__halfS0_S0_JPKS0_S2_S2_EEvPKT0_PKT1_PT2_15HIP_vector_typeIjLj3EESC_SC_jSC_SC_SC_SC_SC_SC_iiiiiiiiiiiDpT3_,"axG",@progbits,_ZL19k_bin_bcast_unravelIXadL_ZL6op_addffEE6__halfS0_S0_JPKS0_S2_S2_EEvPKT0_PKT1_PT2_15HIP_vector_typeIjLj3EESC_SC_jSC_SC_SC_SC_SC_SC_iiiiiiiiiiiDpT3_,comdat
	.globl	_ZL19k_bin_bcast_unravelIXadL_ZL6op_addffEE6__halfS0_S0_JPKS0_S2_S2_EEvPKT0_PKT1_PT2_15HIP_vector_typeIjLj3EESC_SC_jSC_SC_SC_SC_SC_SC_iiiiiiiiiiiDpT3_ ; -- Begin function _ZL19k_bin_bcast_unravelIXadL_ZL6op_addffEE6__halfS0_S0_JPKS0_S2_S2_EEvPKT0_PKT1_PT2_15HIP_vector_typeIjLj3EESC_SC_jSC_SC_SC_SC_SC_SC_iiiiiiiiiiiDpT3_
	.p2align	8
	.type	_ZL19k_bin_bcast_unravelIXadL_ZL6op_addffEE6__halfS0_S0_JPKS0_S2_S2_EEvPKT0_PKT1_PT2_15HIP_vector_typeIjLj3EESC_SC_jSC_SC_SC_SC_SC_SC_iiiiiiiiiiiDpT3_,@function
_ZL19k_bin_bcast_unravelIXadL_ZL6op_addffEE6__halfS0_S0_JPKS0_S2_S2_EEvPKT0_PKT1_PT2_15HIP_vector_typeIjLj3EESC_SC_jSC_SC_SC_SC_SC_SC_iiiiiiiiiiiDpT3_: ; @_ZL19k_bin_bcast_unravelIXadL_ZL6op_addffEE6__halfS0_S0_JPKS0_S2_S2_EEvPKT0_PKT1_PT2_15HIP_vector_typeIjLj3EESC_SC_jSC_SC_SC_SC_SC_SC_iiiiiiiiiiiDpT3_
; %bb.0:
	s_load_b32 s2, s[0:1], 0xdc
	s_bfe_u32 s3, ttmp6, 0x4000c
	s_load_b256 s[4:11], s[0:1], 0x38
	s_add_co_i32 s3, s3, 1
	s_and_b32 s12, ttmp6, 15
	s_mul_i32 s3, ttmp9, s3
	s_getreg_b32 s13, hwreg(HW_REG_IB_STS2, 6, 4)
	s_add_co_i32 s12, s12, s3
	s_wait_kmcnt 0x0
	s_and_b32 s2, s2, 0xffff
	s_cmp_eq_u32 s13, 0
	s_cselect_b32 s3, ttmp9, s12
	s_delay_alu instid0(SALU_CYCLE_1) | instskip(SKIP_1) | instid1(VALU_DEP_1)
	v_mad_u32 v0, s3, s2, v0
	s_load_b32 s2, s[0:1], 0x2c
	v_mul_hi_u32 v1, v0, s6
	s_delay_alu instid0(VALU_DEP_1) | instskip(NEXT) | instid1(VALU_DEP_1)
	v_add_nc_u32_e32 v1, v0, v1
	v_lshrrev_b32_e32 v1, s7, v1
	s_delay_alu instid0(VALU_DEP_1) | instskip(NEXT) | instid1(VALU_DEP_1)
	v_mul_lo_u32 v2, v1, s8
	v_sub_nc_u32_e32 v0, v0, v2
	s_delay_alu instid0(VALU_DEP_1) | instskip(NEXT) | instid1(VALU_DEP_1)
	v_mul_hi_u32 v2, v0, s9
	v_add_nc_u32_e32 v2, v0, v2
	s_delay_alu instid0(VALU_DEP_1) | instskip(SKIP_1) | instid1(VALU_DEP_1)
	v_lshrrev_b32_e32 v2, s10, v2
	s_load_b96 s[8:10], s[0:1], 0x18
	v_mul_lo_u32 v3, v2, s11
	s_delay_alu instid0(VALU_DEP_1) | instskip(SKIP_3) | instid1(VALU_DEP_3)
	v_sub_nc_u32_e32 v0, v0, v3
	v_cmp_gt_u32_e64 s3, s4, v2
	v_cmp_gt_u32_e64 s4, s5, v1
	s_wait_kmcnt 0x0
	v_mul_hi_u32 v3, v0, s8
	s_delay_alu instid0(VALU_DEP_1) | instskip(NEXT) | instid1(VALU_DEP_1)
	v_add_nc_u32_e32 v3, v0, v3
	v_lshrrev_b32_e32 v4, s9, v3
	s_delay_alu instid0(VALU_DEP_1) | instskip(NEXT) | instid1(VALU_DEP_1)
	v_mul_lo_u32 v3, v4, s10
	v_sub_nc_u32_e32 v0, v0, v3
	v_cmp_gt_u32_e64 s2, s2, v4
	s_delay_alu instid0(VALU_DEP_2) | instskip(SKIP_1) | instid1(SALU_CYCLE_1)
	v_cmp_gt_u32_e32 vcc_lo, s10, v0
	s_and_b32 s2, vcc_lo, s2
	s_and_b32 s2, s2, s3
	s_delay_alu instid0(SALU_CYCLE_1) | instskip(NEXT) | instid1(SALU_CYCLE_1)
	s_and_b32 s2, s4, s2
	s_and_saveexec_b32 s3, s2
	s_cbranch_execz .LBB50_4
; %bb.1:
	s_clause 0x4
	s_load_b64 s[2:3], s[0:1], 0x0
	s_load_b96 s[24:26], s[0:1], 0xa8
	s_load_b256 s[4:11], s[0:1], 0x88
	s_load_b128 s[20:23], s[0:1], 0x78
	s_load_b256 s[12:19], s[0:1], 0x58
	v_dual_mov_b32 v3, 0 :: v_dual_mov_b32 v5, 0
	s_wait_kmcnt 0x0
	s_cmp_eq_u64 s[2:3], 0
	s_cbranch_scc1 .LBB50_3
; %bb.2:
	v_mul_lo_u32 v5, v1, s10
	v_mov_b32_e32 v7, 0
	s_delay_alu instid0(VALU_DEP_2) | instskip(NEXT) | instid1(VALU_DEP_1)
	v_mad_u32 v5, v2, s9, v5
	v_mad_u32 v6, v4, s8, v5
	s_delay_alu instid0(VALU_DEP_1) | instskip(SKIP_1) | instid1(VALU_DEP_1)
	v_lshl_add_u64 v[8:9], v[6:7], 1, s[2:3]
	v_mul_lo_u32 v6, v0, s7
	v_lshl_add_u64 v[6:7], v[6:7], 1, v[8:9]
	global_load_u16 v5, v[6:7], off
	s_wait_loadcnt 0x0
	v_cvt_f32_f16_e32 v5, v5
.LBB50_3:
	v_mul_hi_u32 v6, s21, v1
	v_mul_hi_u32 v7, s18, v2
	;; [unrolled: 1-line block ×4, first 2 shown]
	s_load_b64 s[2:3], s[0:1], 0xc8
	s_delay_alu instid0(VALU_DEP_3) | instskip(NEXT) | instid1(VALU_DEP_1)
	v_dual_add_nc_u32 v6, v1, v6 :: v_dual_add_nc_u32 v7, v2, v7
	v_dual_lshrrev_b32 v6, s22, v6 :: v_dual_lshrrev_b32 v7, s19, v7
	s_delay_alu instid0(VALU_DEP_1) | instskip(SKIP_1) | instid1(VALU_DEP_3)
	v_mul_lo_u32 v6, v6, s23
	v_add_nc_u32_e32 v8, v4, v8
	v_mul_lo_u32 v7, v7, s20
	s_delay_alu instid0(VALU_DEP_3) | instskip(NEXT) | instid1(VALU_DEP_2)
	v_dual_sub_nc_u32 v6, v1, v6 :: v_dual_add_nc_u32 v9, v0, v9
	v_dual_lshrrev_b32 v8, s16, v8 :: v_dual_sub_nc_u32 v7, v2, v7
	v_mul_lo_u32 v1, v1, s6
	s_delay_alu instid0(VALU_DEP_3) | instskip(NEXT) | instid1(VALU_DEP_4)
	v_mul_lo_u32 v6, v6, s26
	v_lshrrev_b32_e32 v9, s13, v9
	s_delay_alu instid0(VALU_DEP_4) | instskip(NEXT) | instid1(VALU_DEP_2)
	v_mul_lo_u32 v8, v8, s17
	v_mul_lo_u32 v9, v9, s14
	v_mad_u32 v1, v2, s5, v1
	v_mad_u32 v7, v7, s25, v6
	s_delay_alu instid0(VALU_DEP_4) | instskip(NEXT) | instid1(VALU_DEP_3)
	v_sub_nc_u32_e32 v8, v4, v8
	v_mad_u32 v2, v4, s4, v1
	s_delay_alu instid0(VALU_DEP_2) | instskip(NEXT) | instid1(VALU_DEP_1)
	v_mad_u32 v8, v8, s24, v7
	v_dual_sub_nc_u32 v6, v0, v9 :: v_dual_ashrrev_i32 v9, 31, v8
	s_delay_alu instid0(VALU_DEP_1) | instskip(SKIP_1) | instid1(VALU_DEP_1)
	v_mul_lo_u32 v6, v6, s11
	s_load_b128 s[8:11], s[0:1], 0xb8
	v_ashrrev_i32_e32 v7, 31, v6
	s_wait_xcnt 0x0
	s_load_b64 s[0:1], s[0:1], 0x10
	s_delay_alu instid0(VALU_DEP_1) | instskip(NEXT) | instid1(VALU_DEP_1)
	v_add_nc_u64_e32 v[6:7], v[6:7], v[8:9]
	v_lshlrev_b64_e32 v[6:7], 1, v[6:7]
	s_wait_kmcnt 0x0
	s_delay_alu instid0(VALU_DEP_1)
	v_add_nc_u64_e32 v[8:9], s[8:9], v[6:7]
	v_add_nc_u64_e32 v[10:11], s[10:11], v[6:7]
	;; [unrolled: 1-line block ×3, first 2 shown]
	global_load_u16 v8, v[8:9], off
	global_load_u16 v9, v[10:11], off
	;; [unrolled: 1-line block ×3, first 2 shown]
	s_wait_loadcnt 0x1
	v_cvt_f32_f16_e32 v1, v9
	s_wait_xcnt 0x0
	v_cvt_f32_f16_e32 v6, v8
	s_delay_alu instid0(VALU_DEP_1) | instskip(SKIP_2) | instid1(VALU_DEP_2)
	v_add_f32_e32 v4, v5, v6
	s_wait_loadcnt 0x0
	v_cvt_f32_f16_e32 v5, v12
	v_dual_add_f32 v4, v4, v1 :: v_dual_mov_b32 v1, v3
	v_lshl_add_u64 v[2:3], v[2:3], 1, s[0:1]
	s_delay_alu instid0(VALU_DEP_2) | instskip(NEXT) | instid1(VALU_DEP_2)
	v_add_f32_e32 v4, v4, v5
	v_lshl_add_u64 v[0:1], v[0:1], 1, v[2:3]
	s_delay_alu instid0(VALU_DEP_2)
	v_cvt_f16_f32_e32 v4, v4
	global_store_b16 v[0:1], v4, off
.LBB50_4:
	s_endpgm
	.section	.rodata,"a",@progbits
	.p2align	6, 0x0
	.amdhsa_kernel _ZL19k_bin_bcast_unravelIXadL_ZL6op_addffEE6__halfS0_S0_JPKS0_S2_S2_EEvPKT0_PKT1_PT2_15HIP_vector_typeIjLj3EESC_SC_jSC_SC_SC_SC_SC_SC_iiiiiiiiiiiDpT3_
		.amdhsa_group_segment_fixed_size 0
		.amdhsa_private_segment_fixed_size 0
		.amdhsa_kernarg_size 464
		.amdhsa_user_sgpr_count 2
		.amdhsa_user_sgpr_dispatch_ptr 0
		.amdhsa_user_sgpr_queue_ptr 0
		.amdhsa_user_sgpr_kernarg_segment_ptr 1
		.amdhsa_user_sgpr_dispatch_id 0
		.amdhsa_user_sgpr_kernarg_preload_length 0
		.amdhsa_user_sgpr_kernarg_preload_offset 0
		.amdhsa_user_sgpr_private_segment_size 0
		.amdhsa_wavefront_size32 1
		.amdhsa_uses_dynamic_stack 0
		.amdhsa_enable_private_segment 0
		.amdhsa_system_sgpr_workgroup_id_x 1
		.amdhsa_system_sgpr_workgroup_id_y 0
		.amdhsa_system_sgpr_workgroup_id_z 0
		.amdhsa_system_sgpr_workgroup_info 0
		.amdhsa_system_vgpr_workitem_id 0
		.amdhsa_next_free_vgpr 13
		.amdhsa_next_free_sgpr 27
		.amdhsa_named_barrier_count 0
		.amdhsa_reserve_vcc 1
		.amdhsa_float_round_mode_32 0
		.amdhsa_float_round_mode_16_64 0
		.amdhsa_float_denorm_mode_32 3
		.amdhsa_float_denorm_mode_16_64 3
		.amdhsa_fp16_overflow 0
		.amdhsa_memory_ordered 1
		.amdhsa_forward_progress 1
		.amdhsa_inst_pref_size 7
		.amdhsa_round_robin_scheduling 0
		.amdhsa_exception_fp_ieee_invalid_op 0
		.amdhsa_exception_fp_denorm_src 0
		.amdhsa_exception_fp_ieee_div_zero 0
		.amdhsa_exception_fp_ieee_overflow 0
		.amdhsa_exception_fp_ieee_underflow 0
		.amdhsa_exception_fp_ieee_inexact 0
		.amdhsa_exception_int_div_zero 0
	.end_amdhsa_kernel
	.section	.text._ZL19k_bin_bcast_unravelIXadL_ZL6op_addffEE6__halfS0_S0_JPKS0_S2_S2_EEvPKT0_PKT1_PT2_15HIP_vector_typeIjLj3EESC_SC_jSC_SC_SC_SC_SC_SC_iiiiiiiiiiiDpT3_,"axG",@progbits,_ZL19k_bin_bcast_unravelIXadL_ZL6op_addffEE6__halfS0_S0_JPKS0_S2_S2_EEvPKT0_PKT1_PT2_15HIP_vector_typeIjLj3EESC_SC_jSC_SC_SC_SC_SC_SC_iiiiiiiiiiiDpT3_,comdat
.Lfunc_end50:
	.size	_ZL19k_bin_bcast_unravelIXadL_ZL6op_addffEE6__halfS0_S0_JPKS0_S2_S2_EEvPKT0_PKT1_PT2_15HIP_vector_typeIjLj3EESC_SC_jSC_SC_SC_SC_SC_SC_iiiiiiiiiiiDpT3_, .Lfunc_end50-_ZL19k_bin_bcast_unravelIXadL_ZL6op_addffEE6__halfS0_S0_JPKS0_S2_S2_EEvPKT0_PKT1_PT2_15HIP_vector_typeIjLj3EESC_SC_jSC_SC_SC_SC_SC_SC_iiiiiiiiiiiDpT3_
                                        ; -- End function
	.set _ZL19k_bin_bcast_unravelIXadL_ZL6op_addffEE6__halfS0_S0_JPKS0_S2_S2_EEvPKT0_PKT1_PT2_15HIP_vector_typeIjLj3EESC_SC_jSC_SC_SC_SC_SC_SC_iiiiiiiiiiiDpT3_.num_vgpr, 13
	.set _ZL19k_bin_bcast_unravelIXadL_ZL6op_addffEE6__halfS0_S0_JPKS0_S2_S2_EEvPKT0_PKT1_PT2_15HIP_vector_typeIjLj3EESC_SC_jSC_SC_SC_SC_SC_SC_iiiiiiiiiiiDpT3_.num_agpr, 0
	.set _ZL19k_bin_bcast_unravelIXadL_ZL6op_addffEE6__halfS0_S0_JPKS0_S2_S2_EEvPKT0_PKT1_PT2_15HIP_vector_typeIjLj3EESC_SC_jSC_SC_SC_SC_SC_SC_iiiiiiiiiiiDpT3_.numbered_sgpr, 27
	.set _ZL19k_bin_bcast_unravelIXadL_ZL6op_addffEE6__halfS0_S0_JPKS0_S2_S2_EEvPKT0_PKT1_PT2_15HIP_vector_typeIjLj3EESC_SC_jSC_SC_SC_SC_SC_SC_iiiiiiiiiiiDpT3_.num_named_barrier, 0
	.set _ZL19k_bin_bcast_unravelIXadL_ZL6op_addffEE6__halfS0_S0_JPKS0_S2_S2_EEvPKT0_PKT1_PT2_15HIP_vector_typeIjLj3EESC_SC_jSC_SC_SC_SC_SC_SC_iiiiiiiiiiiDpT3_.private_seg_size, 0
	.set _ZL19k_bin_bcast_unravelIXadL_ZL6op_addffEE6__halfS0_S0_JPKS0_S2_S2_EEvPKT0_PKT1_PT2_15HIP_vector_typeIjLj3EESC_SC_jSC_SC_SC_SC_SC_SC_iiiiiiiiiiiDpT3_.uses_vcc, 1
	.set _ZL19k_bin_bcast_unravelIXadL_ZL6op_addffEE6__halfS0_S0_JPKS0_S2_S2_EEvPKT0_PKT1_PT2_15HIP_vector_typeIjLj3EESC_SC_jSC_SC_SC_SC_SC_SC_iiiiiiiiiiiDpT3_.uses_flat_scratch, 0
	.set _ZL19k_bin_bcast_unravelIXadL_ZL6op_addffEE6__halfS0_S0_JPKS0_S2_S2_EEvPKT0_PKT1_PT2_15HIP_vector_typeIjLj3EESC_SC_jSC_SC_SC_SC_SC_SC_iiiiiiiiiiiDpT3_.has_dyn_sized_stack, 0
	.set _ZL19k_bin_bcast_unravelIXadL_ZL6op_addffEE6__halfS0_S0_JPKS0_S2_S2_EEvPKT0_PKT1_PT2_15HIP_vector_typeIjLj3EESC_SC_jSC_SC_SC_SC_SC_SC_iiiiiiiiiiiDpT3_.has_recursion, 0
	.set _ZL19k_bin_bcast_unravelIXadL_ZL6op_addffEE6__halfS0_S0_JPKS0_S2_S2_EEvPKT0_PKT1_PT2_15HIP_vector_typeIjLj3EESC_SC_jSC_SC_SC_SC_SC_SC_iiiiiiiiiiiDpT3_.has_indirect_call, 0
	.section	.AMDGPU.csdata,"",@progbits
; Kernel info:
; codeLenInByte = 824
; TotalNumSgprs: 29
; NumVgprs: 13
; ScratchSize: 0
; MemoryBound: 0
; FloatMode: 240
; IeeeMode: 1
; LDSByteSize: 0 bytes/workgroup (compile time only)
; SGPRBlocks: 0
; VGPRBlocks: 0
; NumSGPRsForWavesPerEU: 29
; NumVGPRsForWavesPerEU: 13
; NamedBarCnt: 0
; Occupancy: 16
; WaveLimiterHint : 1
; COMPUTE_PGM_RSRC2:SCRATCH_EN: 0
; COMPUTE_PGM_RSRC2:USER_SGPR: 2
; COMPUTE_PGM_RSRC2:TRAP_HANDLER: 0
; COMPUTE_PGM_RSRC2:TGID_X_EN: 1
; COMPUTE_PGM_RSRC2:TGID_Y_EN: 0
; COMPUTE_PGM_RSRC2:TGID_Z_EN: 0
; COMPUTE_PGM_RSRC2:TIDIG_COMP_CNT: 0
	.section	.text._ZL11k_bin_bcastIXadL_ZL6op_addffEE6__halfS0_S0_JPKS0_S2_S2_EEvPKT0_PKT1_PT2_iii15HIP_vector_typeIjLj3EESC_SC_SC_SC_iiiiiiiiiiiDpT3_,"axG",@progbits,_ZL11k_bin_bcastIXadL_ZL6op_addffEE6__halfS0_S0_JPKS0_S2_S2_EEvPKT0_PKT1_PT2_iii15HIP_vector_typeIjLj3EESC_SC_SC_SC_iiiiiiiiiiiDpT3_,comdat
	.globl	_ZL11k_bin_bcastIXadL_ZL6op_addffEE6__halfS0_S0_JPKS0_S2_S2_EEvPKT0_PKT1_PT2_iii15HIP_vector_typeIjLj3EESC_SC_SC_SC_iiiiiiiiiiiDpT3_ ; -- Begin function _ZL11k_bin_bcastIXadL_ZL6op_addffEE6__halfS0_S0_JPKS0_S2_S2_EEvPKT0_PKT1_PT2_iii15HIP_vector_typeIjLj3EESC_SC_SC_SC_iiiiiiiiiiiDpT3_
	.p2align	8
	.type	_ZL11k_bin_bcastIXadL_ZL6op_addffEE6__halfS0_S0_JPKS0_S2_S2_EEvPKT0_PKT1_PT2_iii15HIP_vector_typeIjLj3EESC_SC_SC_SC_iiiiiiiiiiiDpT3_,@function
_ZL11k_bin_bcastIXadL_ZL6op_addffEE6__halfS0_S0_JPKS0_S2_S2_EEvPKT0_PKT1_PT2_iii15HIP_vector_typeIjLj3EESC_SC_SC_SC_iiiiiiiiiiiDpT3_: ; @_ZL11k_bin_bcastIXadL_ZL6op_addffEE6__halfS0_S0_JPKS0_S2_S2_EEvPKT0_PKT1_PT2_iii15HIP_vector_typeIjLj3EESC_SC_SC_SC_iiiiiiiiiiiDpT3_
; %bb.0:
	s_load_b64 s[2:3], s[0:1], 0xb4
	s_bfe_u32 s5, ttmp6, 0x40014
	s_bfe_u32 s16, ttmp6, 0x40010
	;; [unrolled: 1-line block ×3, first 2 shown]
	s_lshr_b32 s4, ttmp7, 16
	s_add_co_i32 s5, s5, 1
	s_and_b32 s7, ttmp7, 0xffff
	s_load_b256 s[8:15], s[0:1], 0x18
	s_add_co_i32 s16, s16, 1
	s_add_co_i32 s19, s19, 1
	s_bfe_u32 s6, ttmp6, 0x40008
	s_mul_i32 s5, s4, s5
	s_bfe_u32 s17, ttmp6, 0x40004
	s_and_b32 s18, ttmp6, 15
	s_mul_i32 s16, s7, s16
	s_mul_i32 s19, ttmp9, s19
	s_add_co_i32 s6, s6, s5
	s_add_co_i32 s17, s17, s16
	;; [unrolled: 1-line block ×3, first 2 shown]
	v_bfe_u32 v1, v0, 20, 10
	s_wait_kmcnt 0x0
	s_lshr_b32 s5, s2, 16
	s_and_b32 s33, s2, 0xffff
	s_getreg_b32 s2, hwreg(HW_REG_IB_STS2, 6, 4)
	s_and_b32 s3, s3, 0xffff
	s_cmp_eq_u32 s2, 0
	v_and_b32_e32 v2, 0x3ff, v0
	s_cselect_b32 s2, s4, s6
	v_bfe_u32 v4, v0, 10, 10
	v_mad_u32 v3, s2, s3, v1
	s_cselect_b32 s2, ttmp9, s18
	s_cselect_b32 s3, s7, s17
	v_mad_u32 v0, s2, s33, v2
	v_mad_u32 v2, s3, s5, v4
	s_delay_alu instid0(VALU_DEP_3) | instskip(NEXT) | instid1(VALU_DEP_3)
	v_mul_hi_u32 v1, v3, s11
	v_cmp_gt_u32_e32 vcc_lo, s8, v0
	s_delay_alu instid0(VALU_DEP_3) | instskip(SKIP_2) | instid1(VALU_DEP_1)
	v_cmp_gt_u32_e64 s2, s9, v2
	s_and_b32 s2, vcc_lo, s2
	v_add_nc_u32_e32 v1, v3, v1
	v_lshrrev_b32_e32 v1, s12, v1
	s_delay_alu instid0(VALU_DEP_1) | instskip(SKIP_3) | instid1(VALU_DEP_1)
	v_mul_lo_u32 v5, v1, s13
	v_cmp_gt_u32_e64 s3, s10, v1
	s_and_b32 s2, s2, s3
	v_sub_nc_u32_e32 v3, v3, v5
	v_cmp_gt_u32_e64 s4, s13, v3
	s_and_b32 s2, s2, s4
	s_delay_alu instid0(SALU_CYCLE_1)
	s_and_saveexec_b32 s3, s2
	s_cbranch_execz .LBB51_6
; %bb.1:
	v_cmp_gt_i32_e32 vcc_lo, s8, v0
	s_and_b32 exec_lo, exec_lo, vcc_lo
	s_cbranch_execz .LBB51_6
; %bb.2:
	s_clause 0x6
	s_load_b256 s[24:31], s[0:1], 0x3c
	s_load_b32 s2, s[0:1], 0x5c
	s_load_b256 s[16:23], s[0:1], 0x60
	s_load_b96 s[36:38], s[0:1], 0x80
	s_load_b128 s[4:7], s[0:1], 0x90
	s_load_b64 s[10:11], s[0:1], 0x0
	s_load_b64 s[12:13], s[0:1], 0x10
	s_wait_kmcnt 0x0
	v_mul_hi_u32 v4, s30, v3
	v_mul_hi_u32 v5, s27, v1
	;; [unrolled: 1-line block ×3, first 2 shown]
	v_mul_lo_u32 v7, v2, s20
	v_mul_lo_u32 v8, v2, s16
	s_cmp_lg_u64 s[10:11], 0
	s_delay_alu instid0(VALU_DEP_4) | instskip(NEXT) | instid1(VALU_DEP_3)
	v_dual_add_nc_u32 v4, v3, v4 :: v_dual_add_nc_u32 v5, v1, v5
	v_mad_u32 v7, v1, s21, v7
	s_delay_alu instid0(VALU_DEP_3) | instskip(NEXT) | instid1(VALU_DEP_3)
	v_mad_u32 v8, v1, s17, v8
	v_dual_lshrrev_b32 v4, s31, v4 :: v_dual_lshrrev_b32 v5, s28, v5
	s_delay_alu instid0(VALU_DEP_1) | instskip(SKIP_1) | instid1(VALU_DEP_3)
	v_mul_lo_u32 v4, v4, s2
	v_add_nc_u32_e32 v6, v2, v6
	v_mul_lo_u32 v5, v5, s29
	s_add_nc_u64 s[2:3], s[0:1], 0xa8
	s_load_b32 s9, s[2:3], 0x0
	s_load_b32 s16, s[0:1], 0x38
	s_wait_xcnt 0x0
	s_load_b64 s[0:1], s[0:1], 0xa0
	v_mad_u32 v8, v3, s18, v8
	s_mov_b32 s3, 0
	s_mov_b32 s2, s14
	v_dual_sub_nc_u32 v4, v3, v4 :: v_dual_lshrrev_b32 v6, s25, v6
	s_delay_alu instid0(VALU_DEP_3) | instskip(NEXT) | instid1(VALU_DEP_2)
	v_sub_nc_u32_e32 v5, v1, v5
	v_mul_lo_u32 v9, v4, s38
	s_delay_alu instid0(VALU_DEP_3) | instskip(SKIP_4) | instid1(VALU_DEP_4)
	v_mul_lo_u32 v6, v6, s26
	v_mad_u32 v4, v3, s22, v7
	v_mov_b32_e32 v1, 0
	s_wait_kmcnt 0x0
	s_mul_i32 s9, s9, s33
	v_mad_u32 v7, v5, s37, v9
	s_delay_alu instid0(VALU_DEP_4) | instskip(SKIP_3) | instid1(VALU_DEP_2)
	v_sub_nc_u32_e32 v2, v2, v6
	v_mul_lo_u32 v6, s19, v0
	v_dual_mov_b32 v5, v1 :: v_dual_mov_b32 v9, v1
	v_mov_b32_e32 v3, v1
	v_lshl_add_u64 v[4:5], v[4:5], 1, s[10:11]
	s_delay_alu instid0(VALU_DEP_3)
	v_lshl_add_u64 v[8:9], v[8:9], 1, s[12:13]
	s_cselect_b32 s10, -1, 0
	v_mad_u32 v2, v2, s36, v7
	s_mul_i32 s11, s9, s19
	s_sub_co_i32 s12, 0, s16
	s_mov_b32 s13, s3
	s_branch .LBB51_4
.LBB51_3:                               ;   in Loop: Header=BB51_4 Depth=1
	s_wait_xcnt 0x0
	v_mul_u64_e32 v[10:11], s[2:3], v[0:1]
	s_delay_alu instid0(VALU_DEP_1) | instskip(NEXT) | instid1(VALU_DEP_1)
	v_dual_add_nc_u32 v6, s11, v6 :: v_dual_add_nc_u32 v10, v0, v11
	v_dual_mov_b32 v11, v1 :: v_dual_lshrrev_b32 v10, s15, v10
	s_delay_alu instid0(VALU_DEP_1) | instskip(NEXT) | instid1(VALU_DEP_1)
	v_mad_u32 v10, s12, v10, v0
	v_mul_lo_u32 v10, v10, s23
	s_delay_alu instid0(VALU_DEP_1) | instskip(NEXT) | instid1(VALU_DEP_1)
	v_add_nc_u64_e32 v[10:11], v[10:11], v[2:3]
	v_lshlrev_b64_e32 v[10:11], 1, v[10:11]
	s_delay_alu instid0(VALU_DEP_1)
	v_add_nc_u64_e32 v[12:13], s[4:5], v[10:11]
	v_add_nc_u64_e32 v[14:15], s[6:7], v[10:11]
	;; [unrolled: 1-line block ×3, first 2 shown]
	global_load_u16 v12, v[12:13], off
	global_load_u16 v13, v[14:15], off
	;; [unrolled: 1-line block ×3, first 2 shown]
	s_wait_loadcnt 0x2
	s_wait_xcnt 0x0
	v_cvt_f32_f16_e32 v10, v12
	s_wait_loadcnt 0x1
	v_cvt_f32_f16_e32 v11, v13
	s_wait_loadcnt 0x0
	v_cvt_f32_f16_e32 v12, v16
	v_dual_add_f32 v7, v7, v10 :: v_dual_mov_b32 v10, v0
	s_delay_alu instid0(VALU_DEP_1) | instskip(SKIP_1) | instid1(VALU_DEP_2)
	v_dual_add_f32 v7, v7, v11 :: v_dual_ashrrev_i32 v11, 31, v0
	v_add_nc_u32_e32 v0, s9, v0
	v_add_f32_e32 v7, v7, v12
	s_delay_alu instid0(VALU_DEP_3) | instskip(NEXT) | instid1(VALU_DEP_3)
	v_lshl_add_u64 v[10:11], v[10:11], 1, v[8:9]
	v_cmp_le_i32_e32 vcc_lo, s8, v0
	s_delay_alu instid0(VALU_DEP_3)
	v_cvt_f16_f32_e32 v7, v7
	s_or_b32 s13, vcc_lo, s13
	global_store_b16 v[10:11], v7, off
	s_wait_xcnt 0x0
	s_and_not1_b32 exec_lo, exec_lo, s13
	s_cbranch_execz .LBB51_6
.LBB51_4:                               ; =>This Inner Loop Header: Depth=1
	v_mov_b32_e32 v7, 0
	s_and_not1_b32 vcc_lo, exec_lo, s10
	s_cbranch_vccnz .LBB51_3
; %bb.5:                                ;   in Loop: Header=BB51_4 Depth=1
	v_ashrrev_i32_e32 v7, 31, v6
	s_delay_alu instid0(VALU_DEP_1)
	v_lshl_add_u64 v[10:11], v[6:7], 1, v[4:5]
	global_load_u16 v7, v[10:11], off
	s_wait_loadcnt 0x0
	v_cvt_f32_f16_e32 v7, v7
	s_branch .LBB51_3
.LBB51_6:
	s_endpgm
	.section	.rodata,"a",@progbits
	.p2align	6, 0x0
	.amdhsa_kernel _ZL11k_bin_bcastIXadL_ZL6op_addffEE6__halfS0_S0_JPKS0_S2_S2_EEvPKT0_PKT1_PT2_iii15HIP_vector_typeIjLj3EESC_SC_SC_SC_iiiiiiiiiiiDpT3_
		.amdhsa_group_segment_fixed_size 0
		.amdhsa_private_segment_fixed_size 0
		.amdhsa_kernarg_size 424
		.amdhsa_user_sgpr_count 2
		.amdhsa_user_sgpr_dispatch_ptr 0
		.amdhsa_user_sgpr_queue_ptr 0
		.amdhsa_user_sgpr_kernarg_segment_ptr 1
		.amdhsa_user_sgpr_dispatch_id 0
		.amdhsa_user_sgpr_kernarg_preload_length 0
		.amdhsa_user_sgpr_kernarg_preload_offset 0
		.amdhsa_user_sgpr_private_segment_size 0
		.amdhsa_wavefront_size32 1
		.amdhsa_uses_dynamic_stack 0
		.amdhsa_enable_private_segment 0
		.amdhsa_system_sgpr_workgroup_id_x 1
		.amdhsa_system_sgpr_workgroup_id_y 1
		.amdhsa_system_sgpr_workgroup_id_z 1
		.amdhsa_system_sgpr_workgroup_info 0
		.amdhsa_system_vgpr_workitem_id 2
		.amdhsa_next_free_vgpr 17
		.amdhsa_next_free_sgpr 39
		.amdhsa_named_barrier_count 0
		.amdhsa_reserve_vcc 1
		.amdhsa_float_round_mode_32 0
		.amdhsa_float_round_mode_16_64 0
		.amdhsa_float_denorm_mode_32 3
		.amdhsa_float_denorm_mode_16_64 3
		.amdhsa_fp16_overflow 0
		.amdhsa_memory_ordered 1
		.amdhsa_forward_progress 1
		.amdhsa_inst_pref_size 8
		.amdhsa_round_robin_scheduling 0
		.amdhsa_exception_fp_ieee_invalid_op 0
		.amdhsa_exception_fp_denorm_src 0
		.amdhsa_exception_fp_ieee_div_zero 0
		.amdhsa_exception_fp_ieee_overflow 0
		.amdhsa_exception_fp_ieee_underflow 0
		.amdhsa_exception_fp_ieee_inexact 0
		.amdhsa_exception_int_div_zero 0
	.end_amdhsa_kernel
	.section	.text._ZL11k_bin_bcastIXadL_ZL6op_addffEE6__halfS0_S0_JPKS0_S2_S2_EEvPKT0_PKT1_PT2_iii15HIP_vector_typeIjLj3EESC_SC_SC_SC_iiiiiiiiiiiDpT3_,"axG",@progbits,_ZL11k_bin_bcastIXadL_ZL6op_addffEE6__halfS0_S0_JPKS0_S2_S2_EEvPKT0_PKT1_PT2_iii15HIP_vector_typeIjLj3EESC_SC_SC_SC_iiiiiiiiiiiDpT3_,comdat
.Lfunc_end51:
	.size	_ZL11k_bin_bcastIXadL_ZL6op_addffEE6__halfS0_S0_JPKS0_S2_S2_EEvPKT0_PKT1_PT2_iii15HIP_vector_typeIjLj3EESC_SC_SC_SC_iiiiiiiiiiiDpT3_, .Lfunc_end51-_ZL11k_bin_bcastIXadL_ZL6op_addffEE6__halfS0_S0_JPKS0_S2_S2_EEvPKT0_PKT1_PT2_iii15HIP_vector_typeIjLj3EESC_SC_SC_SC_iiiiiiiiiiiDpT3_
                                        ; -- End function
	.set _ZL11k_bin_bcastIXadL_ZL6op_addffEE6__halfS0_S0_JPKS0_S2_S2_EEvPKT0_PKT1_PT2_iii15HIP_vector_typeIjLj3EESC_SC_SC_SC_iiiiiiiiiiiDpT3_.num_vgpr, 17
	.set _ZL11k_bin_bcastIXadL_ZL6op_addffEE6__halfS0_S0_JPKS0_S2_S2_EEvPKT0_PKT1_PT2_iii15HIP_vector_typeIjLj3EESC_SC_SC_SC_iiiiiiiiiiiDpT3_.num_agpr, 0
	.set _ZL11k_bin_bcastIXadL_ZL6op_addffEE6__halfS0_S0_JPKS0_S2_S2_EEvPKT0_PKT1_PT2_iii15HIP_vector_typeIjLj3EESC_SC_SC_SC_iiiiiiiiiiiDpT3_.numbered_sgpr, 39
	.set _ZL11k_bin_bcastIXadL_ZL6op_addffEE6__halfS0_S0_JPKS0_S2_S2_EEvPKT0_PKT1_PT2_iii15HIP_vector_typeIjLj3EESC_SC_SC_SC_iiiiiiiiiiiDpT3_.num_named_barrier, 0
	.set _ZL11k_bin_bcastIXadL_ZL6op_addffEE6__halfS0_S0_JPKS0_S2_S2_EEvPKT0_PKT1_PT2_iii15HIP_vector_typeIjLj3EESC_SC_SC_SC_iiiiiiiiiiiDpT3_.private_seg_size, 0
	.set _ZL11k_bin_bcastIXadL_ZL6op_addffEE6__halfS0_S0_JPKS0_S2_S2_EEvPKT0_PKT1_PT2_iii15HIP_vector_typeIjLj3EESC_SC_SC_SC_iiiiiiiiiiiDpT3_.uses_vcc, 1
	.set _ZL11k_bin_bcastIXadL_ZL6op_addffEE6__halfS0_S0_JPKS0_S2_S2_EEvPKT0_PKT1_PT2_iii15HIP_vector_typeIjLj3EESC_SC_SC_SC_iiiiiiiiiiiDpT3_.uses_flat_scratch, 0
	.set _ZL11k_bin_bcastIXadL_ZL6op_addffEE6__halfS0_S0_JPKS0_S2_S2_EEvPKT0_PKT1_PT2_iii15HIP_vector_typeIjLj3EESC_SC_SC_SC_iiiiiiiiiiiDpT3_.has_dyn_sized_stack, 0
	.set _ZL11k_bin_bcastIXadL_ZL6op_addffEE6__halfS0_S0_JPKS0_S2_S2_EEvPKT0_PKT1_PT2_iii15HIP_vector_typeIjLj3EESC_SC_SC_SC_iiiiiiiiiiiDpT3_.has_recursion, 0
	.set _ZL11k_bin_bcastIXadL_ZL6op_addffEE6__halfS0_S0_JPKS0_S2_S2_EEvPKT0_PKT1_PT2_iii15HIP_vector_typeIjLj3EESC_SC_SC_SC_iiiiiiiiiiiDpT3_.has_indirect_call, 0
	.section	.AMDGPU.csdata,"",@progbits
; Kernel info:
; codeLenInByte = 968
; TotalNumSgprs: 41
; NumVgprs: 17
; ScratchSize: 0
; MemoryBound: 0
; FloatMode: 240
; IeeeMode: 1
; LDSByteSize: 0 bytes/workgroup (compile time only)
; SGPRBlocks: 0
; VGPRBlocks: 1
; NumSGPRsForWavesPerEU: 41
; NumVGPRsForWavesPerEU: 17
; NamedBarCnt: 0
; Occupancy: 16
; WaveLimiterHint : 1
; COMPUTE_PGM_RSRC2:SCRATCH_EN: 0
; COMPUTE_PGM_RSRC2:USER_SGPR: 2
; COMPUTE_PGM_RSRC2:TRAP_HANDLER: 0
; COMPUTE_PGM_RSRC2:TGID_X_EN: 1
; COMPUTE_PGM_RSRC2:TGID_Y_EN: 1
; COMPUTE_PGM_RSRC2:TGID_Z_EN: 1
; COMPUTE_PGM_RSRC2:TIDIG_COMP_CNT: 2
	.section	.text._ZL19k_bin_bcast_unravelIXadL_ZL6op_addffEE6__halffS0_JPKfS2_S2_EEvPKT0_PKT1_PT2_15HIP_vector_typeIjLj3EESC_SC_jSC_SC_SC_SC_SC_SC_iiiiiiiiiiiDpT3_,"axG",@progbits,_ZL19k_bin_bcast_unravelIXadL_ZL6op_addffEE6__halffS0_JPKfS2_S2_EEvPKT0_PKT1_PT2_15HIP_vector_typeIjLj3EESC_SC_jSC_SC_SC_SC_SC_SC_iiiiiiiiiiiDpT3_,comdat
	.globl	_ZL19k_bin_bcast_unravelIXadL_ZL6op_addffEE6__halffS0_JPKfS2_S2_EEvPKT0_PKT1_PT2_15HIP_vector_typeIjLj3EESC_SC_jSC_SC_SC_SC_SC_SC_iiiiiiiiiiiDpT3_ ; -- Begin function _ZL19k_bin_bcast_unravelIXadL_ZL6op_addffEE6__halffS0_JPKfS2_S2_EEvPKT0_PKT1_PT2_15HIP_vector_typeIjLj3EESC_SC_jSC_SC_SC_SC_SC_SC_iiiiiiiiiiiDpT3_
	.p2align	8
	.type	_ZL19k_bin_bcast_unravelIXadL_ZL6op_addffEE6__halffS0_JPKfS2_S2_EEvPKT0_PKT1_PT2_15HIP_vector_typeIjLj3EESC_SC_jSC_SC_SC_SC_SC_SC_iiiiiiiiiiiDpT3_,@function
_ZL19k_bin_bcast_unravelIXadL_ZL6op_addffEE6__halffS0_JPKfS2_S2_EEvPKT0_PKT1_PT2_15HIP_vector_typeIjLj3EESC_SC_jSC_SC_SC_SC_SC_SC_iiiiiiiiiiiDpT3_: ; @_ZL19k_bin_bcast_unravelIXadL_ZL6op_addffEE6__halffS0_JPKfS2_S2_EEvPKT0_PKT1_PT2_15HIP_vector_typeIjLj3EESC_SC_jSC_SC_SC_SC_SC_SC_iiiiiiiiiiiDpT3_
; %bb.0:
	s_load_b32 s2, s[0:1], 0xdc
	s_bfe_u32 s3, ttmp6, 0x4000c
	s_load_b256 s[4:11], s[0:1], 0x38
	s_add_co_i32 s3, s3, 1
	s_and_b32 s12, ttmp6, 15
	s_mul_i32 s3, ttmp9, s3
	s_getreg_b32 s13, hwreg(HW_REG_IB_STS2, 6, 4)
	s_add_co_i32 s12, s12, s3
	s_wait_kmcnt 0x0
	s_and_b32 s2, s2, 0xffff
	s_cmp_eq_u32 s13, 0
	s_cselect_b32 s3, ttmp9, s12
	s_delay_alu instid0(SALU_CYCLE_1) | instskip(SKIP_1) | instid1(VALU_DEP_1)
	v_mad_u32 v0, s3, s2, v0
	s_load_b32 s2, s[0:1], 0x2c
	v_mul_hi_u32 v1, v0, s6
	s_delay_alu instid0(VALU_DEP_1) | instskip(NEXT) | instid1(VALU_DEP_1)
	v_add_nc_u32_e32 v1, v0, v1
	v_lshrrev_b32_e32 v1, s7, v1
	s_delay_alu instid0(VALU_DEP_1) | instskip(NEXT) | instid1(VALU_DEP_1)
	v_mul_lo_u32 v2, v1, s8
	v_sub_nc_u32_e32 v0, v0, v2
	s_delay_alu instid0(VALU_DEP_1) | instskip(NEXT) | instid1(VALU_DEP_1)
	v_mul_hi_u32 v2, v0, s9
	v_add_nc_u32_e32 v2, v0, v2
	s_delay_alu instid0(VALU_DEP_1) | instskip(SKIP_1) | instid1(VALU_DEP_1)
	v_lshrrev_b32_e32 v2, s10, v2
	s_load_b96 s[8:10], s[0:1], 0x18
	v_mul_lo_u32 v3, v2, s11
	s_delay_alu instid0(VALU_DEP_1) | instskip(SKIP_3) | instid1(VALU_DEP_3)
	v_sub_nc_u32_e32 v0, v0, v3
	v_cmp_gt_u32_e64 s3, s4, v2
	v_cmp_gt_u32_e64 s4, s5, v1
	s_wait_kmcnt 0x0
	v_mul_hi_u32 v3, v0, s8
	s_delay_alu instid0(VALU_DEP_1) | instskip(NEXT) | instid1(VALU_DEP_1)
	v_add_nc_u32_e32 v3, v0, v3
	v_lshrrev_b32_e32 v4, s9, v3
	s_delay_alu instid0(VALU_DEP_1) | instskip(NEXT) | instid1(VALU_DEP_1)
	v_mul_lo_u32 v3, v4, s10
	v_sub_nc_u32_e32 v0, v0, v3
	v_cmp_gt_u32_e64 s2, s2, v4
	s_delay_alu instid0(VALU_DEP_2) | instskip(SKIP_1) | instid1(SALU_CYCLE_1)
	v_cmp_gt_u32_e32 vcc_lo, s10, v0
	s_and_b32 s2, vcc_lo, s2
	s_and_b32 s2, s2, s3
	s_delay_alu instid0(SALU_CYCLE_1) | instskip(NEXT) | instid1(SALU_CYCLE_1)
	s_and_b32 s2, s4, s2
	s_and_saveexec_b32 s3, s2
	s_cbranch_execz .LBB52_4
; %bb.1:
	s_clause 0x4
	s_load_b64 s[2:3], s[0:1], 0x0
	s_load_b96 s[24:26], s[0:1], 0xa8
	s_load_b256 s[4:11], s[0:1], 0x88
	s_load_b128 s[20:23], s[0:1], 0x78
	s_load_b256 s[12:19], s[0:1], 0x58
	v_dual_mov_b32 v3, 0 :: v_dual_mov_b32 v5, 0
	s_wait_kmcnt 0x0
	s_cmp_eq_u64 s[2:3], 0
	s_cbranch_scc1 .LBB52_3
; %bb.2:
	v_mul_lo_u32 v5, v1, s10
	v_mov_b32_e32 v7, 0
	s_delay_alu instid0(VALU_DEP_2) | instskip(NEXT) | instid1(VALU_DEP_1)
	v_mad_u32 v5, v2, s9, v5
	v_mad_u32 v6, v4, s8, v5
	s_delay_alu instid0(VALU_DEP_1) | instskip(SKIP_1) | instid1(VALU_DEP_1)
	v_lshl_add_u64 v[8:9], v[6:7], 1, s[2:3]
	v_mul_lo_u32 v6, v0, s7
	v_lshl_add_u64 v[6:7], v[6:7], 1, v[8:9]
	global_load_u16 v5, v[6:7], off
	s_wait_loadcnt 0x0
	v_cvt_f32_f16_e32 v5, v5
.LBB52_3:
	v_mul_hi_u32 v6, s21, v1
	v_mul_hi_u32 v7, s18, v2
	;; [unrolled: 1-line block ×4, first 2 shown]
	s_load_b64 s[2:3], s[0:1], 0xc8
	s_delay_alu instid0(VALU_DEP_3) | instskip(NEXT) | instid1(VALU_DEP_1)
	v_dual_add_nc_u32 v6, v1, v6 :: v_dual_add_nc_u32 v7, v2, v7
	v_dual_lshrrev_b32 v6, s22, v6 :: v_dual_lshrrev_b32 v7, s19, v7
	s_delay_alu instid0(VALU_DEP_1) | instskip(SKIP_1) | instid1(VALU_DEP_3)
	v_mul_lo_u32 v6, v6, s23
	v_add_nc_u32_e32 v8, v4, v8
	v_mul_lo_u32 v7, v7, s20
	s_delay_alu instid0(VALU_DEP_3) | instskip(NEXT) | instid1(VALU_DEP_2)
	v_dual_sub_nc_u32 v6, v1, v6 :: v_dual_add_nc_u32 v9, v0, v9
	v_dual_lshrrev_b32 v8, s16, v8 :: v_dual_sub_nc_u32 v7, v2, v7
	v_mul_lo_u32 v1, v1, s6
	s_delay_alu instid0(VALU_DEP_3) | instskip(NEXT) | instid1(VALU_DEP_4)
	v_mul_lo_u32 v6, v6, s26
	v_lshrrev_b32_e32 v9, s13, v9
	s_delay_alu instid0(VALU_DEP_4) | instskip(NEXT) | instid1(VALU_DEP_2)
	v_mul_lo_u32 v8, v8, s17
	v_mul_lo_u32 v9, v9, s14
	v_mad_u32 v1, v2, s5, v1
	v_mad_u32 v7, v7, s25, v6
	s_delay_alu instid0(VALU_DEP_4) | instskip(NEXT) | instid1(VALU_DEP_3)
	v_sub_nc_u32_e32 v8, v4, v8
	v_mad_u32 v2, v4, s4, v1
	s_delay_alu instid0(VALU_DEP_2) | instskip(NEXT) | instid1(VALU_DEP_1)
	v_mad_u32 v8, v8, s24, v7
	v_dual_sub_nc_u32 v6, v0, v9 :: v_dual_ashrrev_i32 v9, 31, v8
	s_delay_alu instid0(VALU_DEP_1) | instskip(SKIP_1) | instid1(VALU_DEP_1)
	v_mul_lo_u32 v6, v6, s11
	s_load_b128 s[8:11], s[0:1], 0xb8
	v_ashrrev_i32_e32 v7, 31, v6
	s_wait_xcnt 0x0
	s_load_b64 s[0:1], s[0:1], 0x10
	s_delay_alu instid0(VALU_DEP_1) | instskip(NEXT) | instid1(VALU_DEP_1)
	v_add_nc_u64_e32 v[6:7], v[6:7], v[8:9]
	v_lshlrev_b64_e32 v[6:7], 2, v[6:7]
	s_wait_kmcnt 0x0
	s_delay_alu instid0(VALU_DEP_1)
	v_add_nc_u64_e32 v[8:9], s[8:9], v[6:7]
	v_add_nc_u64_e32 v[10:11], s[10:11], v[6:7]
	v_add_nc_u64_e32 v[6:7], s[2:3], v[6:7]
	global_load_b32 v8, v[8:9], off
	global_load_b32 v9, v[10:11], off
	;; [unrolled: 1-line block ×3, first 2 shown]
	s_wait_loadcnt 0x2
	v_add_f32_e32 v1, v5, v8
	s_wait_loadcnt 0x1
	s_delay_alu instid0(VALU_DEP_1) | instskip(SKIP_2) | instid1(VALU_DEP_2)
	v_dual_add_f32 v4, v1, v9 :: v_dual_mov_b32 v1, v3
	v_lshl_add_u64 v[2:3], v[2:3], 1, s[0:1]
	s_wait_loadcnt 0x0
	v_add_f32_e32 v4, v4, v12
	s_delay_alu instid0(VALU_DEP_2) | instskip(NEXT) | instid1(VALU_DEP_2)
	v_lshl_add_u64 v[0:1], v[0:1], 1, v[2:3]
	v_cvt_f16_f32_e32 v4, v4
	global_store_b16 v[0:1], v4, off
.LBB52_4:
	s_endpgm
	.section	.rodata,"a",@progbits
	.p2align	6, 0x0
	.amdhsa_kernel _ZL19k_bin_bcast_unravelIXadL_ZL6op_addffEE6__halffS0_JPKfS2_S2_EEvPKT0_PKT1_PT2_15HIP_vector_typeIjLj3EESC_SC_jSC_SC_SC_SC_SC_SC_iiiiiiiiiiiDpT3_
		.amdhsa_group_segment_fixed_size 0
		.amdhsa_private_segment_fixed_size 0
		.amdhsa_kernarg_size 464
		.amdhsa_user_sgpr_count 2
		.amdhsa_user_sgpr_dispatch_ptr 0
		.amdhsa_user_sgpr_queue_ptr 0
		.amdhsa_user_sgpr_kernarg_segment_ptr 1
		.amdhsa_user_sgpr_dispatch_id 0
		.amdhsa_user_sgpr_kernarg_preload_length 0
		.amdhsa_user_sgpr_kernarg_preload_offset 0
		.amdhsa_user_sgpr_private_segment_size 0
		.amdhsa_wavefront_size32 1
		.amdhsa_uses_dynamic_stack 0
		.amdhsa_enable_private_segment 0
		.amdhsa_system_sgpr_workgroup_id_x 1
		.amdhsa_system_sgpr_workgroup_id_y 0
		.amdhsa_system_sgpr_workgroup_id_z 0
		.amdhsa_system_sgpr_workgroup_info 0
		.amdhsa_system_vgpr_workitem_id 0
		.amdhsa_next_free_vgpr 13
		.amdhsa_next_free_sgpr 27
		.amdhsa_named_barrier_count 0
		.amdhsa_reserve_vcc 1
		.amdhsa_float_round_mode_32 0
		.amdhsa_float_round_mode_16_64 0
		.amdhsa_float_denorm_mode_32 3
		.amdhsa_float_denorm_mode_16_64 3
		.amdhsa_fp16_overflow 0
		.amdhsa_memory_ordered 1
		.amdhsa_forward_progress 1
		.amdhsa_inst_pref_size 7
		.amdhsa_round_robin_scheduling 0
		.amdhsa_exception_fp_ieee_invalid_op 0
		.amdhsa_exception_fp_denorm_src 0
		.amdhsa_exception_fp_ieee_div_zero 0
		.amdhsa_exception_fp_ieee_overflow 0
		.amdhsa_exception_fp_ieee_underflow 0
		.amdhsa_exception_fp_ieee_inexact 0
		.amdhsa_exception_int_div_zero 0
	.end_amdhsa_kernel
	.section	.text._ZL19k_bin_bcast_unravelIXadL_ZL6op_addffEE6__halffS0_JPKfS2_S2_EEvPKT0_PKT1_PT2_15HIP_vector_typeIjLj3EESC_SC_jSC_SC_SC_SC_SC_SC_iiiiiiiiiiiDpT3_,"axG",@progbits,_ZL19k_bin_bcast_unravelIXadL_ZL6op_addffEE6__halffS0_JPKfS2_S2_EEvPKT0_PKT1_PT2_15HIP_vector_typeIjLj3EESC_SC_jSC_SC_SC_SC_SC_SC_iiiiiiiiiiiDpT3_,comdat
.Lfunc_end52:
	.size	_ZL19k_bin_bcast_unravelIXadL_ZL6op_addffEE6__halffS0_JPKfS2_S2_EEvPKT0_PKT1_PT2_15HIP_vector_typeIjLj3EESC_SC_jSC_SC_SC_SC_SC_SC_iiiiiiiiiiiDpT3_, .Lfunc_end52-_ZL19k_bin_bcast_unravelIXadL_ZL6op_addffEE6__halffS0_JPKfS2_S2_EEvPKT0_PKT1_PT2_15HIP_vector_typeIjLj3EESC_SC_jSC_SC_SC_SC_SC_SC_iiiiiiiiiiiDpT3_
                                        ; -- End function
	.set _ZL19k_bin_bcast_unravelIXadL_ZL6op_addffEE6__halffS0_JPKfS2_S2_EEvPKT0_PKT1_PT2_15HIP_vector_typeIjLj3EESC_SC_jSC_SC_SC_SC_SC_SC_iiiiiiiiiiiDpT3_.num_vgpr, 13
	.set _ZL19k_bin_bcast_unravelIXadL_ZL6op_addffEE6__halffS0_JPKfS2_S2_EEvPKT0_PKT1_PT2_15HIP_vector_typeIjLj3EESC_SC_jSC_SC_SC_SC_SC_SC_iiiiiiiiiiiDpT3_.num_agpr, 0
	.set _ZL19k_bin_bcast_unravelIXadL_ZL6op_addffEE6__halffS0_JPKfS2_S2_EEvPKT0_PKT1_PT2_15HIP_vector_typeIjLj3EESC_SC_jSC_SC_SC_SC_SC_SC_iiiiiiiiiiiDpT3_.numbered_sgpr, 27
	.set _ZL19k_bin_bcast_unravelIXadL_ZL6op_addffEE6__halffS0_JPKfS2_S2_EEvPKT0_PKT1_PT2_15HIP_vector_typeIjLj3EESC_SC_jSC_SC_SC_SC_SC_SC_iiiiiiiiiiiDpT3_.num_named_barrier, 0
	.set _ZL19k_bin_bcast_unravelIXadL_ZL6op_addffEE6__halffS0_JPKfS2_S2_EEvPKT0_PKT1_PT2_15HIP_vector_typeIjLj3EESC_SC_jSC_SC_SC_SC_SC_SC_iiiiiiiiiiiDpT3_.private_seg_size, 0
	.set _ZL19k_bin_bcast_unravelIXadL_ZL6op_addffEE6__halffS0_JPKfS2_S2_EEvPKT0_PKT1_PT2_15HIP_vector_typeIjLj3EESC_SC_jSC_SC_SC_SC_SC_SC_iiiiiiiiiiiDpT3_.uses_vcc, 1
	.set _ZL19k_bin_bcast_unravelIXadL_ZL6op_addffEE6__halffS0_JPKfS2_S2_EEvPKT0_PKT1_PT2_15HIP_vector_typeIjLj3EESC_SC_jSC_SC_SC_SC_SC_SC_iiiiiiiiiiiDpT3_.uses_flat_scratch, 0
	.set _ZL19k_bin_bcast_unravelIXadL_ZL6op_addffEE6__halffS0_JPKfS2_S2_EEvPKT0_PKT1_PT2_15HIP_vector_typeIjLj3EESC_SC_jSC_SC_SC_SC_SC_SC_iiiiiiiiiiiDpT3_.has_dyn_sized_stack, 0
	.set _ZL19k_bin_bcast_unravelIXadL_ZL6op_addffEE6__halffS0_JPKfS2_S2_EEvPKT0_PKT1_PT2_15HIP_vector_typeIjLj3EESC_SC_jSC_SC_SC_SC_SC_SC_iiiiiiiiiiiDpT3_.has_recursion, 0
	.set _ZL19k_bin_bcast_unravelIXadL_ZL6op_addffEE6__halffS0_JPKfS2_S2_EEvPKT0_PKT1_PT2_15HIP_vector_typeIjLj3EESC_SC_jSC_SC_SC_SC_SC_SC_iiiiiiiiiiiDpT3_.has_indirect_call, 0
	.section	.AMDGPU.csdata,"",@progbits
; Kernel info:
; codeLenInByte = 808
; TotalNumSgprs: 29
; NumVgprs: 13
; ScratchSize: 0
; MemoryBound: 0
; FloatMode: 240
; IeeeMode: 1
; LDSByteSize: 0 bytes/workgroup (compile time only)
; SGPRBlocks: 0
; VGPRBlocks: 0
; NumSGPRsForWavesPerEU: 29
; NumVGPRsForWavesPerEU: 13
; NamedBarCnt: 0
; Occupancy: 16
; WaveLimiterHint : 1
; COMPUTE_PGM_RSRC2:SCRATCH_EN: 0
; COMPUTE_PGM_RSRC2:USER_SGPR: 2
; COMPUTE_PGM_RSRC2:TRAP_HANDLER: 0
; COMPUTE_PGM_RSRC2:TGID_X_EN: 1
; COMPUTE_PGM_RSRC2:TGID_Y_EN: 0
; COMPUTE_PGM_RSRC2:TGID_Z_EN: 0
; COMPUTE_PGM_RSRC2:TIDIG_COMP_CNT: 0
	.section	.text._ZL11k_bin_bcastIXadL_ZL6op_addffEE6__halffS0_JPKfS2_S2_EEvPKT0_PKT1_PT2_iii15HIP_vector_typeIjLj3EESC_SC_SC_SC_iiiiiiiiiiiDpT3_,"axG",@progbits,_ZL11k_bin_bcastIXadL_ZL6op_addffEE6__halffS0_JPKfS2_S2_EEvPKT0_PKT1_PT2_iii15HIP_vector_typeIjLj3EESC_SC_SC_SC_iiiiiiiiiiiDpT3_,comdat
	.globl	_ZL11k_bin_bcastIXadL_ZL6op_addffEE6__halffS0_JPKfS2_S2_EEvPKT0_PKT1_PT2_iii15HIP_vector_typeIjLj3EESC_SC_SC_SC_iiiiiiiiiiiDpT3_ ; -- Begin function _ZL11k_bin_bcastIXadL_ZL6op_addffEE6__halffS0_JPKfS2_S2_EEvPKT0_PKT1_PT2_iii15HIP_vector_typeIjLj3EESC_SC_SC_SC_iiiiiiiiiiiDpT3_
	.p2align	8
	.type	_ZL11k_bin_bcastIXadL_ZL6op_addffEE6__halffS0_JPKfS2_S2_EEvPKT0_PKT1_PT2_iii15HIP_vector_typeIjLj3EESC_SC_SC_SC_iiiiiiiiiiiDpT3_,@function
_ZL11k_bin_bcastIXadL_ZL6op_addffEE6__halffS0_JPKfS2_S2_EEvPKT0_PKT1_PT2_iii15HIP_vector_typeIjLj3EESC_SC_SC_SC_iiiiiiiiiiiDpT3_: ; @_ZL11k_bin_bcastIXadL_ZL6op_addffEE6__halffS0_JPKfS2_S2_EEvPKT0_PKT1_PT2_iii15HIP_vector_typeIjLj3EESC_SC_SC_SC_iiiiiiiiiiiDpT3_
; %bb.0:
	s_load_b64 s[2:3], s[0:1], 0xb4
	s_bfe_u32 s5, ttmp6, 0x40014
	s_bfe_u32 s16, ttmp6, 0x40010
	;; [unrolled: 1-line block ×3, first 2 shown]
	s_lshr_b32 s4, ttmp7, 16
	s_add_co_i32 s5, s5, 1
	s_and_b32 s7, ttmp7, 0xffff
	s_load_b256 s[8:15], s[0:1], 0x18
	s_add_co_i32 s16, s16, 1
	s_add_co_i32 s19, s19, 1
	s_bfe_u32 s6, ttmp6, 0x40008
	s_mul_i32 s5, s4, s5
	s_bfe_u32 s17, ttmp6, 0x40004
	s_and_b32 s18, ttmp6, 15
	s_mul_i32 s16, s7, s16
	s_mul_i32 s19, ttmp9, s19
	s_add_co_i32 s6, s6, s5
	s_add_co_i32 s17, s17, s16
	;; [unrolled: 1-line block ×3, first 2 shown]
	v_bfe_u32 v1, v0, 20, 10
	s_wait_kmcnt 0x0
	s_lshr_b32 s5, s2, 16
	s_and_b32 s33, s2, 0xffff
	s_getreg_b32 s2, hwreg(HW_REG_IB_STS2, 6, 4)
	s_and_b32 s3, s3, 0xffff
	s_cmp_eq_u32 s2, 0
	v_and_b32_e32 v2, 0x3ff, v0
	s_cselect_b32 s2, s4, s6
	v_bfe_u32 v4, v0, 10, 10
	v_mad_u32 v3, s2, s3, v1
	s_cselect_b32 s2, ttmp9, s18
	s_cselect_b32 s3, s7, s17
	v_mad_u32 v0, s2, s33, v2
	v_mad_u32 v2, s3, s5, v4
	s_delay_alu instid0(VALU_DEP_3) | instskip(NEXT) | instid1(VALU_DEP_3)
	v_mul_hi_u32 v1, v3, s11
	v_cmp_gt_u32_e32 vcc_lo, s8, v0
	s_delay_alu instid0(VALU_DEP_3) | instskip(SKIP_2) | instid1(VALU_DEP_1)
	v_cmp_gt_u32_e64 s2, s9, v2
	s_and_b32 s2, vcc_lo, s2
	v_add_nc_u32_e32 v1, v3, v1
	v_lshrrev_b32_e32 v1, s12, v1
	s_delay_alu instid0(VALU_DEP_1) | instskip(SKIP_3) | instid1(VALU_DEP_1)
	v_mul_lo_u32 v5, v1, s13
	v_cmp_gt_u32_e64 s3, s10, v1
	s_and_b32 s2, s2, s3
	v_sub_nc_u32_e32 v3, v3, v5
	v_cmp_gt_u32_e64 s4, s13, v3
	s_and_b32 s2, s2, s4
	s_delay_alu instid0(SALU_CYCLE_1)
	s_and_saveexec_b32 s3, s2
	s_cbranch_execz .LBB53_6
; %bb.1:
	v_cmp_gt_i32_e32 vcc_lo, s8, v0
	s_and_b32 exec_lo, exec_lo, vcc_lo
	s_cbranch_execz .LBB53_6
; %bb.2:
	s_clause 0x6
	s_load_b256 s[24:31], s[0:1], 0x3c
	s_load_b32 s2, s[0:1], 0x5c
	s_load_b256 s[16:23], s[0:1], 0x60
	s_load_b96 s[36:38], s[0:1], 0x80
	s_load_b128 s[4:7], s[0:1], 0x90
	s_load_b64 s[10:11], s[0:1], 0x0
	s_load_b64 s[12:13], s[0:1], 0x10
	s_wait_kmcnt 0x0
	v_mul_hi_u32 v4, s30, v3
	v_mul_hi_u32 v5, s27, v1
	v_mul_hi_u32 v6, s24, v2
	v_mul_lo_u32 v7, v2, s20
	v_mul_lo_u32 v8, v2, s16
	s_cmp_lg_u64 s[10:11], 0
	s_delay_alu instid0(VALU_DEP_4) | instskip(NEXT) | instid1(VALU_DEP_3)
	v_dual_add_nc_u32 v4, v3, v4 :: v_dual_add_nc_u32 v5, v1, v5
	v_mad_u32 v7, v1, s21, v7
	s_delay_alu instid0(VALU_DEP_3) | instskip(NEXT) | instid1(VALU_DEP_3)
	v_mad_u32 v8, v1, s17, v8
	v_dual_lshrrev_b32 v4, s31, v4 :: v_dual_lshrrev_b32 v5, s28, v5
	s_delay_alu instid0(VALU_DEP_1) | instskip(SKIP_1) | instid1(VALU_DEP_3)
	v_mul_lo_u32 v4, v4, s2
	v_add_nc_u32_e32 v6, v2, v6
	v_mul_lo_u32 v5, v5, s29
	s_add_nc_u64 s[2:3], s[0:1], 0xa8
	s_load_b32 s9, s[2:3], 0x0
	s_load_b32 s16, s[0:1], 0x38
	s_wait_xcnt 0x0
	s_load_b64 s[0:1], s[0:1], 0xa0
	v_mad_u32 v8, v3, s18, v8
	s_mov_b32 s3, 0
	s_mov_b32 s2, s14
	v_dual_sub_nc_u32 v4, v3, v4 :: v_dual_lshrrev_b32 v6, s25, v6
	s_delay_alu instid0(VALU_DEP_3) | instskip(NEXT) | instid1(VALU_DEP_2)
	v_sub_nc_u32_e32 v5, v1, v5
	v_mul_lo_u32 v9, v4, s38
	s_delay_alu instid0(VALU_DEP_3) | instskip(SKIP_4) | instid1(VALU_DEP_4)
	v_mul_lo_u32 v6, v6, s26
	v_mad_u32 v4, v3, s22, v7
	v_mov_b32_e32 v1, 0
	s_wait_kmcnt 0x0
	s_mul_i32 s9, s9, s33
	v_mad_u32 v7, v5, s37, v9
	s_delay_alu instid0(VALU_DEP_4) | instskip(SKIP_3) | instid1(VALU_DEP_2)
	v_sub_nc_u32_e32 v2, v2, v6
	v_mul_lo_u32 v6, s19, v0
	v_dual_mov_b32 v5, v1 :: v_dual_mov_b32 v9, v1
	v_mov_b32_e32 v3, v1
	v_lshl_add_u64 v[4:5], v[4:5], 1, s[10:11]
	s_delay_alu instid0(VALU_DEP_3)
	v_lshl_add_u64 v[8:9], v[8:9], 1, s[12:13]
	s_cselect_b32 s10, -1, 0
	v_mad_u32 v2, v2, s36, v7
	s_mul_i32 s11, s9, s19
	s_sub_co_i32 s12, 0, s16
	s_mov_b32 s13, s3
	s_branch .LBB53_4
.LBB53_3:                               ;   in Loop: Header=BB53_4 Depth=1
	s_wait_xcnt 0x0
	v_mul_u64_e32 v[10:11], s[2:3], v[0:1]
	s_delay_alu instid0(VALU_DEP_1) | instskip(NEXT) | instid1(VALU_DEP_1)
	v_dual_add_nc_u32 v6, s11, v6 :: v_dual_add_nc_u32 v10, v0, v11
	v_dual_mov_b32 v11, v1 :: v_dual_lshrrev_b32 v10, s15, v10
	s_delay_alu instid0(VALU_DEP_1) | instskip(NEXT) | instid1(VALU_DEP_1)
	v_mad_u32 v10, s12, v10, v0
	v_mul_lo_u32 v10, v10, s23
	s_delay_alu instid0(VALU_DEP_1) | instskip(NEXT) | instid1(VALU_DEP_1)
	v_add_nc_u64_e32 v[10:11], v[10:11], v[2:3]
	v_lshlrev_b64_e32 v[10:11], 2, v[10:11]
	s_delay_alu instid0(VALU_DEP_1)
	v_add_nc_u64_e32 v[12:13], s[4:5], v[10:11]
	v_add_nc_u64_e32 v[14:15], s[6:7], v[10:11]
	;; [unrolled: 1-line block ×3, first 2 shown]
	global_load_b32 v12, v[12:13], off
	global_load_b32 v13, v[14:15], off
	;; [unrolled: 1-line block ×3, first 2 shown]
	s_wait_xcnt 0x0
	v_dual_mov_b32 v10, v0 :: v_dual_ashrrev_i32 v11, 31, v0
	v_add_nc_u32_e32 v0, s9, v0
	s_delay_alu instid0(VALU_DEP_2) | instskip(NEXT) | instid1(VALU_DEP_2)
	v_lshl_add_u64 v[10:11], v[10:11], 1, v[8:9]
	v_cmp_le_i32_e32 vcc_lo, s8, v0
	s_or_b32 s13, vcc_lo, s13
	s_wait_loadcnt 0x2
	v_add_f32_e32 v7, v7, v12
	s_wait_loadcnt 0x1
	s_delay_alu instid0(VALU_DEP_1) | instskip(SKIP_1) | instid1(VALU_DEP_1)
	v_add_f32_e32 v7, v7, v13
	s_wait_loadcnt 0x0
	v_add_f32_e32 v7, v7, v16
	s_delay_alu instid0(VALU_DEP_1)
	v_cvt_f16_f32_e32 v7, v7
	global_store_b16 v[10:11], v7, off
	s_wait_xcnt 0x0
	s_and_not1_b32 exec_lo, exec_lo, s13
	s_cbranch_execz .LBB53_6
.LBB53_4:                               ; =>This Inner Loop Header: Depth=1
	v_mov_b32_e32 v7, 0
	s_and_not1_b32 vcc_lo, exec_lo, s10
	s_cbranch_vccnz .LBB53_3
; %bb.5:                                ;   in Loop: Header=BB53_4 Depth=1
	v_ashrrev_i32_e32 v7, 31, v6
	s_delay_alu instid0(VALU_DEP_1)
	v_lshl_add_u64 v[10:11], v[6:7], 1, v[4:5]
	global_load_u16 v7, v[10:11], off
	s_wait_loadcnt 0x0
	v_cvt_f32_f16_e32 v7, v7
	s_branch .LBB53_3
.LBB53_6:
	s_endpgm
	.section	.rodata,"a",@progbits
	.p2align	6, 0x0
	.amdhsa_kernel _ZL11k_bin_bcastIXadL_ZL6op_addffEE6__halffS0_JPKfS2_S2_EEvPKT0_PKT1_PT2_iii15HIP_vector_typeIjLj3EESC_SC_SC_SC_iiiiiiiiiiiDpT3_
		.amdhsa_group_segment_fixed_size 0
		.amdhsa_private_segment_fixed_size 0
		.amdhsa_kernarg_size 424
		.amdhsa_user_sgpr_count 2
		.amdhsa_user_sgpr_dispatch_ptr 0
		.amdhsa_user_sgpr_queue_ptr 0
		.amdhsa_user_sgpr_kernarg_segment_ptr 1
		.amdhsa_user_sgpr_dispatch_id 0
		.amdhsa_user_sgpr_kernarg_preload_length 0
		.amdhsa_user_sgpr_kernarg_preload_offset 0
		.amdhsa_user_sgpr_private_segment_size 0
		.amdhsa_wavefront_size32 1
		.amdhsa_uses_dynamic_stack 0
		.amdhsa_enable_private_segment 0
		.amdhsa_system_sgpr_workgroup_id_x 1
		.amdhsa_system_sgpr_workgroup_id_y 1
		.amdhsa_system_sgpr_workgroup_id_z 1
		.amdhsa_system_sgpr_workgroup_info 0
		.amdhsa_system_vgpr_workitem_id 2
		.amdhsa_next_free_vgpr 17
		.amdhsa_next_free_sgpr 39
		.amdhsa_named_barrier_count 0
		.amdhsa_reserve_vcc 1
		.amdhsa_float_round_mode_32 0
		.amdhsa_float_round_mode_16_64 0
		.amdhsa_float_denorm_mode_32 3
		.amdhsa_float_denorm_mode_16_64 3
		.amdhsa_fp16_overflow 0
		.amdhsa_memory_ordered 1
		.amdhsa_forward_progress 1
		.amdhsa_inst_pref_size 8
		.amdhsa_round_robin_scheduling 0
		.amdhsa_exception_fp_ieee_invalid_op 0
		.amdhsa_exception_fp_denorm_src 0
		.amdhsa_exception_fp_ieee_div_zero 0
		.amdhsa_exception_fp_ieee_overflow 0
		.amdhsa_exception_fp_ieee_underflow 0
		.amdhsa_exception_fp_ieee_inexact 0
		.amdhsa_exception_int_div_zero 0
	.end_amdhsa_kernel
	.section	.text._ZL11k_bin_bcastIXadL_ZL6op_addffEE6__halffS0_JPKfS2_S2_EEvPKT0_PKT1_PT2_iii15HIP_vector_typeIjLj3EESC_SC_SC_SC_iiiiiiiiiiiDpT3_,"axG",@progbits,_ZL11k_bin_bcastIXadL_ZL6op_addffEE6__halffS0_JPKfS2_S2_EEvPKT0_PKT1_PT2_iii15HIP_vector_typeIjLj3EESC_SC_SC_SC_iiiiiiiiiiiDpT3_,comdat
.Lfunc_end53:
	.size	_ZL11k_bin_bcastIXadL_ZL6op_addffEE6__halffS0_JPKfS2_S2_EEvPKT0_PKT1_PT2_iii15HIP_vector_typeIjLj3EESC_SC_SC_SC_iiiiiiiiiiiDpT3_, .Lfunc_end53-_ZL11k_bin_bcastIXadL_ZL6op_addffEE6__halffS0_JPKfS2_S2_EEvPKT0_PKT1_PT2_iii15HIP_vector_typeIjLj3EESC_SC_SC_SC_iiiiiiiiiiiDpT3_
                                        ; -- End function
	.set _ZL11k_bin_bcastIXadL_ZL6op_addffEE6__halffS0_JPKfS2_S2_EEvPKT0_PKT1_PT2_iii15HIP_vector_typeIjLj3EESC_SC_SC_SC_iiiiiiiiiiiDpT3_.num_vgpr, 17
	.set _ZL11k_bin_bcastIXadL_ZL6op_addffEE6__halffS0_JPKfS2_S2_EEvPKT0_PKT1_PT2_iii15HIP_vector_typeIjLj3EESC_SC_SC_SC_iiiiiiiiiiiDpT3_.num_agpr, 0
	.set _ZL11k_bin_bcastIXadL_ZL6op_addffEE6__halffS0_JPKfS2_S2_EEvPKT0_PKT1_PT2_iii15HIP_vector_typeIjLj3EESC_SC_SC_SC_iiiiiiiiiiiDpT3_.numbered_sgpr, 39
	.set _ZL11k_bin_bcastIXadL_ZL6op_addffEE6__halffS0_JPKfS2_S2_EEvPKT0_PKT1_PT2_iii15HIP_vector_typeIjLj3EESC_SC_SC_SC_iiiiiiiiiiiDpT3_.num_named_barrier, 0
	.set _ZL11k_bin_bcastIXadL_ZL6op_addffEE6__halffS0_JPKfS2_S2_EEvPKT0_PKT1_PT2_iii15HIP_vector_typeIjLj3EESC_SC_SC_SC_iiiiiiiiiiiDpT3_.private_seg_size, 0
	.set _ZL11k_bin_bcastIXadL_ZL6op_addffEE6__halffS0_JPKfS2_S2_EEvPKT0_PKT1_PT2_iii15HIP_vector_typeIjLj3EESC_SC_SC_SC_iiiiiiiiiiiDpT3_.uses_vcc, 1
	.set _ZL11k_bin_bcastIXadL_ZL6op_addffEE6__halffS0_JPKfS2_S2_EEvPKT0_PKT1_PT2_iii15HIP_vector_typeIjLj3EESC_SC_SC_SC_iiiiiiiiiiiDpT3_.uses_flat_scratch, 0
	.set _ZL11k_bin_bcastIXadL_ZL6op_addffEE6__halffS0_JPKfS2_S2_EEvPKT0_PKT1_PT2_iii15HIP_vector_typeIjLj3EESC_SC_SC_SC_iiiiiiiiiiiDpT3_.has_dyn_sized_stack, 0
	.set _ZL11k_bin_bcastIXadL_ZL6op_addffEE6__halffS0_JPKfS2_S2_EEvPKT0_PKT1_PT2_iii15HIP_vector_typeIjLj3EESC_SC_SC_SC_iiiiiiiiiiiDpT3_.has_recursion, 0
	.set _ZL11k_bin_bcastIXadL_ZL6op_addffEE6__halffS0_JPKfS2_S2_EEvPKT0_PKT1_PT2_iii15HIP_vector_typeIjLj3EESC_SC_SC_SC_iiiiiiiiiiiDpT3_.has_indirect_call, 0
	.section	.AMDGPU.csdata,"",@progbits
; Kernel info:
; codeLenInByte = 952
; TotalNumSgprs: 41
; NumVgprs: 17
; ScratchSize: 0
; MemoryBound: 0
; FloatMode: 240
; IeeeMode: 1
; LDSByteSize: 0 bytes/workgroup (compile time only)
; SGPRBlocks: 0
; VGPRBlocks: 1
; NumSGPRsForWavesPerEU: 41
; NumVGPRsForWavesPerEU: 17
; NamedBarCnt: 0
; Occupancy: 16
; WaveLimiterHint : 1
; COMPUTE_PGM_RSRC2:SCRATCH_EN: 0
; COMPUTE_PGM_RSRC2:USER_SGPR: 2
; COMPUTE_PGM_RSRC2:TRAP_HANDLER: 0
; COMPUTE_PGM_RSRC2:TGID_X_EN: 1
; COMPUTE_PGM_RSRC2:TGID_Y_EN: 1
; COMPUTE_PGM_RSRC2:TGID_Z_EN: 1
; COMPUTE_PGM_RSRC2:TIDIG_COMP_CNT: 2
	.section	.text._ZL19k_bin_bcast_unravelIXadL_ZL6op_addffEE6__halfffJPKfS2_S2_EEvPKT0_PKT1_PT2_15HIP_vector_typeIjLj3EESC_SC_jSC_SC_SC_SC_SC_SC_iiiiiiiiiiiDpT3_,"axG",@progbits,_ZL19k_bin_bcast_unravelIXadL_ZL6op_addffEE6__halfffJPKfS2_S2_EEvPKT0_PKT1_PT2_15HIP_vector_typeIjLj3EESC_SC_jSC_SC_SC_SC_SC_SC_iiiiiiiiiiiDpT3_,comdat
	.globl	_ZL19k_bin_bcast_unravelIXadL_ZL6op_addffEE6__halfffJPKfS2_S2_EEvPKT0_PKT1_PT2_15HIP_vector_typeIjLj3EESC_SC_jSC_SC_SC_SC_SC_SC_iiiiiiiiiiiDpT3_ ; -- Begin function _ZL19k_bin_bcast_unravelIXadL_ZL6op_addffEE6__halfffJPKfS2_S2_EEvPKT0_PKT1_PT2_15HIP_vector_typeIjLj3EESC_SC_jSC_SC_SC_SC_SC_SC_iiiiiiiiiiiDpT3_
	.p2align	8
	.type	_ZL19k_bin_bcast_unravelIXadL_ZL6op_addffEE6__halfffJPKfS2_S2_EEvPKT0_PKT1_PT2_15HIP_vector_typeIjLj3EESC_SC_jSC_SC_SC_SC_SC_SC_iiiiiiiiiiiDpT3_,@function
_ZL19k_bin_bcast_unravelIXadL_ZL6op_addffEE6__halfffJPKfS2_S2_EEvPKT0_PKT1_PT2_15HIP_vector_typeIjLj3EESC_SC_jSC_SC_SC_SC_SC_SC_iiiiiiiiiiiDpT3_: ; @_ZL19k_bin_bcast_unravelIXadL_ZL6op_addffEE6__halfffJPKfS2_S2_EEvPKT0_PKT1_PT2_15HIP_vector_typeIjLj3EESC_SC_jSC_SC_SC_SC_SC_SC_iiiiiiiiiiiDpT3_
; %bb.0:
	s_load_b32 s2, s[0:1], 0xdc
	s_bfe_u32 s3, ttmp6, 0x4000c
	s_load_b256 s[4:11], s[0:1], 0x38
	s_add_co_i32 s3, s3, 1
	s_and_b32 s12, ttmp6, 15
	s_mul_i32 s3, ttmp9, s3
	s_getreg_b32 s13, hwreg(HW_REG_IB_STS2, 6, 4)
	s_add_co_i32 s12, s12, s3
	s_wait_kmcnt 0x0
	s_and_b32 s2, s2, 0xffff
	s_cmp_eq_u32 s13, 0
	s_cselect_b32 s3, ttmp9, s12
	s_delay_alu instid0(SALU_CYCLE_1) | instskip(SKIP_1) | instid1(VALU_DEP_1)
	v_mad_u32 v0, s3, s2, v0
	s_load_b32 s2, s[0:1], 0x2c
	v_mul_hi_u32 v1, v0, s6
	s_delay_alu instid0(VALU_DEP_1) | instskip(NEXT) | instid1(VALU_DEP_1)
	v_add_nc_u32_e32 v1, v0, v1
	v_lshrrev_b32_e32 v1, s7, v1
	s_delay_alu instid0(VALU_DEP_1) | instskip(NEXT) | instid1(VALU_DEP_1)
	v_mul_lo_u32 v2, v1, s8
	v_sub_nc_u32_e32 v0, v0, v2
	s_delay_alu instid0(VALU_DEP_1) | instskip(NEXT) | instid1(VALU_DEP_1)
	v_mul_hi_u32 v2, v0, s9
	v_add_nc_u32_e32 v2, v0, v2
	s_delay_alu instid0(VALU_DEP_1) | instskip(SKIP_1) | instid1(VALU_DEP_1)
	v_lshrrev_b32_e32 v2, s10, v2
	s_load_b96 s[8:10], s[0:1], 0x18
	v_mul_lo_u32 v3, v2, s11
	s_delay_alu instid0(VALU_DEP_1) | instskip(SKIP_3) | instid1(VALU_DEP_3)
	v_sub_nc_u32_e32 v0, v0, v3
	v_cmp_gt_u32_e64 s3, s4, v2
	v_cmp_gt_u32_e64 s4, s5, v1
	s_wait_kmcnt 0x0
	v_mul_hi_u32 v3, v0, s8
	s_delay_alu instid0(VALU_DEP_1) | instskip(NEXT) | instid1(VALU_DEP_1)
	v_add_nc_u32_e32 v3, v0, v3
	v_lshrrev_b32_e32 v4, s9, v3
	s_delay_alu instid0(VALU_DEP_1) | instskip(NEXT) | instid1(VALU_DEP_1)
	v_mul_lo_u32 v3, v4, s10
	v_sub_nc_u32_e32 v0, v0, v3
	v_cmp_gt_u32_e64 s2, s2, v4
	s_delay_alu instid0(VALU_DEP_2) | instskip(SKIP_1) | instid1(SALU_CYCLE_1)
	v_cmp_gt_u32_e32 vcc_lo, s10, v0
	s_and_b32 s2, vcc_lo, s2
	s_and_b32 s2, s2, s3
	s_delay_alu instid0(SALU_CYCLE_1) | instskip(NEXT) | instid1(SALU_CYCLE_1)
	s_and_b32 s2, s4, s2
	s_and_saveexec_b32 s3, s2
	s_cbranch_execz .LBB54_4
; %bb.1:
	s_clause 0x4
	s_load_b64 s[2:3], s[0:1], 0x0
	s_load_b96 s[24:26], s[0:1], 0xa8
	s_load_b256 s[4:11], s[0:1], 0x88
	s_load_b128 s[20:23], s[0:1], 0x78
	s_load_b256 s[12:19], s[0:1], 0x58
	v_dual_mov_b32 v3, 0 :: v_dual_mov_b32 v5, 0
	s_wait_kmcnt 0x0
	s_cmp_eq_u64 s[2:3], 0
	s_cbranch_scc1 .LBB54_3
; %bb.2:
	v_mul_lo_u32 v5, v1, s10
	v_mov_b32_e32 v7, 0
	s_delay_alu instid0(VALU_DEP_2) | instskip(NEXT) | instid1(VALU_DEP_1)
	v_mad_u32 v5, v2, s9, v5
	v_mad_u32 v6, v4, s8, v5
	s_delay_alu instid0(VALU_DEP_1) | instskip(SKIP_1) | instid1(VALU_DEP_1)
	v_lshl_add_u64 v[8:9], v[6:7], 1, s[2:3]
	v_mul_lo_u32 v6, v0, s7
	v_lshl_add_u64 v[6:7], v[6:7], 1, v[8:9]
	global_load_u16 v5, v[6:7], off
	s_wait_loadcnt 0x0
	v_cvt_f32_f16_e32 v5, v5
.LBB54_3:
	v_mul_hi_u32 v6, s21, v1
	v_mul_hi_u32 v7, s18, v2
	;; [unrolled: 1-line block ×4, first 2 shown]
	s_load_b64 s[2:3], s[0:1], 0xc8
	s_delay_alu instid0(VALU_DEP_3) | instskip(NEXT) | instid1(VALU_DEP_1)
	v_dual_add_nc_u32 v6, v1, v6 :: v_dual_add_nc_u32 v7, v2, v7
	v_dual_lshrrev_b32 v6, s22, v6 :: v_dual_lshrrev_b32 v7, s19, v7
	s_delay_alu instid0(VALU_DEP_1) | instskip(SKIP_1) | instid1(VALU_DEP_3)
	v_mul_lo_u32 v6, v6, s23
	v_add_nc_u32_e32 v8, v4, v8
	v_mul_lo_u32 v7, v7, s20
	s_delay_alu instid0(VALU_DEP_3) | instskip(NEXT) | instid1(VALU_DEP_2)
	v_dual_sub_nc_u32 v6, v1, v6 :: v_dual_add_nc_u32 v9, v0, v9
	v_dual_lshrrev_b32 v8, s16, v8 :: v_dual_sub_nc_u32 v7, v2, v7
	v_mul_lo_u32 v1, v1, s6
	s_delay_alu instid0(VALU_DEP_3) | instskip(NEXT) | instid1(VALU_DEP_4)
	v_mul_lo_u32 v6, v6, s26
	v_lshrrev_b32_e32 v9, s13, v9
	s_delay_alu instid0(VALU_DEP_4) | instskip(NEXT) | instid1(VALU_DEP_2)
	v_mul_lo_u32 v8, v8, s17
	v_mul_lo_u32 v9, v9, s14
	v_mad_u32 v1, v2, s5, v1
	v_mad_u32 v7, v7, s25, v6
	s_delay_alu instid0(VALU_DEP_4) | instskip(NEXT) | instid1(VALU_DEP_3)
	v_sub_nc_u32_e32 v8, v4, v8
	v_mad_u32 v2, v4, s4, v1
	s_delay_alu instid0(VALU_DEP_2) | instskip(SKIP_1) | instid1(VALU_DEP_2)
	v_mad_u32 v8, v8, s24, v7
	v_dual_mov_b32 v1, v3 :: v_dual_sub_nc_u32 v6, v0, v9
	v_ashrrev_i32_e32 v9, 31, v8
	s_delay_alu instid0(VALU_DEP_2) | instskip(SKIP_1) | instid1(VALU_DEP_1)
	v_mul_lo_u32 v6, v6, s11
	s_load_b128 s[8:11], s[0:1], 0xb8
	v_ashrrev_i32_e32 v7, 31, v6
	s_wait_xcnt 0x0
	s_load_b64 s[0:1], s[0:1], 0x10
	s_delay_alu instid0(VALU_DEP_1) | instskip(NEXT) | instid1(VALU_DEP_1)
	v_add_nc_u64_e32 v[6:7], v[6:7], v[8:9]
	v_lshlrev_b64_e32 v[6:7], 2, v[6:7]
	s_wait_kmcnt 0x0
	s_delay_alu instid0(VALU_DEP_1)
	v_add_nc_u64_e32 v[8:9], s[8:9], v[6:7]
	v_add_nc_u64_e32 v[10:11], s[10:11], v[6:7]
	;; [unrolled: 1-line block ×3, first 2 shown]
	v_lshl_add_u64 v[2:3], v[2:3], 2, s[0:1]
	global_load_b32 v8, v[8:9], off
	global_load_b32 v9, v[10:11], off
	global_load_b32 v12, v[6:7], off
	v_lshl_add_u64 v[0:1], v[0:1], 2, v[2:3]
	s_wait_loadcnt 0x2
	v_add_f32_e32 v4, v5, v8
	s_wait_loadcnt 0x1
	s_delay_alu instid0(VALU_DEP_1) | instskip(SKIP_1) | instid1(VALU_DEP_1)
	v_add_f32_e32 v4, v4, v9
	s_wait_loadcnt 0x0
	v_add_f32_e32 v4, v4, v12
	global_store_b32 v[0:1], v4, off
.LBB54_4:
	s_endpgm
	.section	.rodata,"a",@progbits
	.p2align	6, 0x0
	.amdhsa_kernel _ZL19k_bin_bcast_unravelIXadL_ZL6op_addffEE6__halfffJPKfS2_S2_EEvPKT0_PKT1_PT2_15HIP_vector_typeIjLj3EESC_SC_jSC_SC_SC_SC_SC_SC_iiiiiiiiiiiDpT3_
		.amdhsa_group_segment_fixed_size 0
		.amdhsa_private_segment_fixed_size 0
		.amdhsa_kernarg_size 464
		.amdhsa_user_sgpr_count 2
		.amdhsa_user_sgpr_dispatch_ptr 0
		.amdhsa_user_sgpr_queue_ptr 0
		.amdhsa_user_sgpr_kernarg_segment_ptr 1
		.amdhsa_user_sgpr_dispatch_id 0
		.amdhsa_user_sgpr_kernarg_preload_length 0
		.amdhsa_user_sgpr_kernarg_preload_offset 0
		.amdhsa_user_sgpr_private_segment_size 0
		.amdhsa_wavefront_size32 1
		.amdhsa_uses_dynamic_stack 0
		.amdhsa_enable_private_segment 0
		.amdhsa_system_sgpr_workgroup_id_x 1
		.amdhsa_system_sgpr_workgroup_id_y 0
		.amdhsa_system_sgpr_workgroup_id_z 0
		.amdhsa_system_sgpr_workgroup_info 0
		.amdhsa_system_vgpr_workitem_id 0
		.amdhsa_next_free_vgpr 13
		.amdhsa_next_free_sgpr 27
		.amdhsa_named_barrier_count 0
		.amdhsa_reserve_vcc 1
		.amdhsa_float_round_mode_32 0
		.amdhsa_float_round_mode_16_64 0
		.amdhsa_float_denorm_mode_32 3
		.amdhsa_float_denorm_mode_16_64 3
		.amdhsa_fp16_overflow 0
		.amdhsa_memory_ordered 1
		.amdhsa_forward_progress 1
		.amdhsa_inst_pref_size 7
		.amdhsa_round_robin_scheduling 0
		.amdhsa_exception_fp_ieee_invalid_op 0
		.amdhsa_exception_fp_denorm_src 0
		.amdhsa_exception_fp_ieee_div_zero 0
		.amdhsa_exception_fp_ieee_overflow 0
		.amdhsa_exception_fp_ieee_underflow 0
		.amdhsa_exception_fp_ieee_inexact 0
		.amdhsa_exception_int_div_zero 0
	.end_amdhsa_kernel
	.section	.text._ZL19k_bin_bcast_unravelIXadL_ZL6op_addffEE6__halfffJPKfS2_S2_EEvPKT0_PKT1_PT2_15HIP_vector_typeIjLj3EESC_SC_jSC_SC_SC_SC_SC_SC_iiiiiiiiiiiDpT3_,"axG",@progbits,_ZL19k_bin_bcast_unravelIXadL_ZL6op_addffEE6__halfffJPKfS2_S2_EEvPKT0_PKT1_PT2_15HIP_vector_typeIjLj3EESC_SC_jSC_SC_SC_SC_SC_SC_iiiiiiiiiiiDpT3_,comdat
.Lfunc_end54:
	.size	_ZL19k_bin_bcast_unravelIXadL_ZL6op_addffEE6__halfffJPKfS2_S2_EEvPKT0_PKT1_PT2_15HIP_vector_typeIjLj3EESC_SC_jSC_SC_SC_SC_SC_SC_iiiiiiiiiiiDpT3_, .Lfunc_end54-_ZL19k_bin_bcast_unravelIXadL_ZL6op_addffEE6__halfffJPKfS2_S2_EEvPKT0_PKT1_PT2_15HIP_vector_typeIjLj3EESC_SC_jSC_SC_SC_SC_SC_SC_iiiiiiiiiiiDpT3_
                                        ; -- End function
	.set _ZL19k_bin_bcast_unravelIXadL_ZL6op_addffEE6__halfffJPKfS2_S2_EEvPKT0_PKT1_PT2_15HIP_vector_typeIjLj3EESC_SC_jSC_SC_SC_SC_SC_SC_iiiiiiiiiiiDpT3_.num_vgpr, 13
	.set _ZL19k_bin_bcast_unravelIXadL_ZL6op_addffEE6__halfffJPKfS2_S2_EEvPKT0_PKT1_PT2_15HIP_vector_typeIjLj3EESC_SC_jSC_SC_SC_SC_SC_SC_iiiiiiiiiiiDpT3_.num_agpr, 0
	.set _ZL19k_bin_bcast_unravelIXadL_ZL6op_addffEE6__halfffJPKfS2_S2_EEvPKT0_PKT1_PT2_15HIP_vector_typeIjLj3EESC_SC_jSC_SC_SC_SC_SC_SC_iiiiiiiiiiiDpT3_.numbered_sgpr, 27
	.set _ZL19k_bin_bcast_unravelIXadL_ZL6op_addffEE6__halfffJPKfS2_S2_EEvPKT0_PKT1_PT2_15HIP_vector_typeIjLj3EESC_SC_jSC_SC_SC_SC_SC_SC_iiiiiiiiiiiDpT3_.num_named_barrier, 0
	.set _ZL19k_bin_bcast_unravelIXadL_ZL6op_addffEE6__halfffJPKfS2_S2_EEvPKT0_PKT1_PT2_15HIP_vector_typeIjLj3EESC_SC_jSC_SC_SC_SC_SC_SC_iiiiiiiiiiiDpT3_.private_seg_size, 0
	.set _ZL19k_bin_bcast_unravelIXadL_ZL6op_addffEE6__halfffJPKfS2_S2_EEvPKT0_PKT1_PT2_15HIP_vector_typeIjLj3EESC_SC_jSC_SC_SC_SC_SC_SC_iiiiiiiiiiiDpT3_.uses_vcc, 1
	.set _ZL19k_bin_bcast_unravelIXadL_ZL6op_addffEE6__halfffJPKfS2_S2_EEvPKT0_PKT1_PT2_15HIP_vector_typeIjLj3EESC_SC_jSC_SC_SC_SC_SC_SC_iiiiiiiiiiiDpT3_.uses_flat_scratch, 0
	.set _ZL19k_bin_bcast_unravelIXadL_ZL6op_addffEE6__halfffJPKfS2_S2_EEvPKT0_PKT1_PT2_15HIP_vector_typeIjLj3EESC_SC_jSC_SC_SC_SC_SC_SC_iiiiiiiiiiiDpT3_.has_dyn_sized_stack, 0
	.set _ZL19k_bin_bcast_unravelIXadL_ZL6op_addffEE6__halfffJPKfS2_S2_EEvPKT0_PKT1_PT2_15HIP_vector_typeIjLj3EESC_SC_jSC_SC_SC_SC_SC_SC_iiiiiiiiiiiDpT3_.has_recursion, 0
	.set _ZL19k_bin_bcast_unravelIXadL_ZL6op_addffEE6__halfffJPKfS2_S2_EEvPKT0_PKT1_PT2_15HIP_vector_typeIjLj3EESC_SC_jSC_SC_SC_SC_SC_SC_iiiiiiiiiiiDpT3_.has_indirect_call, 0
	.section	.AMDGPU.csdata,"",@progbits
; Kernel info:
; codeLenInByte = 796
; TotalNumSgprs: 29
; NumVgprs: 13
; ScratchSize: 0
; MemoryBound: 0
; FloatMode: 240
; IeeeMode: 1
; LDSByteSize: 0 bytes/workgroup (compile time only)
; SGPRBlocks: 0
; VGPRBlocks: 0
; NumSGPRsForWavesPerEU: 29
; NumVGPRsForWavesPerEU: 13
; NamedBarCnt: 0
; Occupancy: 16
; WaveLimiterHint : 1
; COMPUTE_PGM_RSRC2:SCRATCH_EN: 0
; COMPUTE_PGM_RSRC2:USER_SGPR: 2
; COMPUTE_PGM_RSRC2:TRAP_HANDLER: 0
; COMPUTE_PGM_RSRC2:TGID_X_EN: 1
; COMPUTE_PGM_RSRC2:TGID_Y_EN: 0
; COMPUTE_PGM_RSRC2:TGID_Z_EN: 0
; COMPUTE_PGM_RSRC2:TIDIG_COMP_CNT: 0
	.section	.text._ZL11k_bin_bcastIXadL_ZL6op_addffEE6__halfffJPKfS2_S2_EEvPKT0_PKT1_PT2_iii15HIP_vector_typeIjLj3EESC_SC_SC_SC_iiiiiiiiiiiDpT3_,"axG",@progbits,_ZL11k_bin_bcastIXadL_ZL6op_addffEE6__halfffJPKfS2_S2_EEvPKT0_PKT1_PT2_iii15HIP_vector_typeIjLj3EESC_SC_SC_SC_iiiiiiiiiiiDpT3_,comdat
	.globl	_ZL11k_bin_bcastIXadL_ZL6op_addffEE6__halfffJPKfS2_S2_EEvPKT0_PKT1_PT2_iii15HIP_vector_typeIjLj3EESC_SC_SC_SC_iiiiiiiiiiiDpT3_ ; -- Begin function _ZL11k_bin_bcastIXadL_ZL6op_addffEE6__halfffJPKfS2_S2_EEvPKT0_PKT1_PT2_iii15HIP_vector_typeIjLj3EESC_SC_SC_SC_iiiiiiiiiiiDpT3_
	.p2align	8
	.type	_ZL11k_bin_bcastIXadL_ZL6op_addffEE6__halfffJPKfS2_S2_EEvPKT0_PKT1_PT2_iii15HIP_vector_typeIjLj3EESC_SC_SC_SC_iiiiiiiiiiiDpT3_,@function
_ZL11k_bin_bcastIXadL_ZL6op_addffEE6__halfffJPKfS2_S2_EEvPKT0_PKT1_PT2_iii15HIP_vector_typeIjLj3EESC_SC_SC_SC_iiiiiiiiiiiDpT3_: ; @_ZL11k_bin_bcastIXadL_ZL6op_addffEE6__halfffJPKfS2_S2_EEvPKT0_PKT1_PT2_iii15HIP_vector_typeIjLj3EESC_SC_SC_SC_iiiiiiiiiiiDpT3_
; %bb.0:
	s_load_b64 s[2:3], s[0:1], 0xb4
	s_bfe_u32 s5, ttmp6, 0x40014
	s_bfe_u32 s16, ttmp6, 0x40010
	;; [unrolled: 1-line block ×3, first 2 shown]
	s_lshr_b32 s4, ttmp7, 16
	s_add_co_i32 s5, s5, 1
	s_and_b32 s7, ttmp7, 0xffff
	s_load_b256 s[8:15], s[0:1], 0x18
	s_add_co_i32 s16, s16, 1
	s_add_co_i32 s19, s19, 1
	s_bfe_u32 s6, ttmp6, 0x40008
	s_mul_i32 s5, s4, s5
	s_bfe_u32 s17, ttmp6, 0x40004
	s_and_b32 s18, ttmp6, 15
	s_mul_i32 s16, s7, s16
	s_mul_i32 s19, ttmp9, s19
	s_add_co_i32 s6, s6, s5
	s_add_co_i32 s17, s17, s16
	;; [unrolled: 1-line block ×3, first 2 shown]
	v_bfe_u32 v1, v0, 20, 10
	s_wait_kmcnt 0x0
	s_lshr_b32 s5, s2, 16
	s_and_b32 s33, s2, 0xffff
	s_getreg_b32 s2, hwreg(HW_REG_IB_STS2, 6, 4)
	s_and_b32 s3, s3, 0xffff
	s_cmp_eq_u32 s2, 0
	v_and_b32_e32 v2, 0x3ff, v0
	s_cselect_b32 s2, s4, s6
	v_bfe_u32 v4, v0, 10, 10
	v_mad_u32 v3, s2, s3, v1
	s_cselect_b32 s2, ttmp9, s18
	s_cselect_b32 s3, s7, s17
	v_mad_u32 v0, s2, s33, v2
	v_mad_u32 v2, s3, s5, v4
	s_delay_alu instid0(VALU_DEP_3) | instskip(NEXT) | instid1(VALU_DEP_3)
	v_mul_hi_u32 v1, v3, s11
	v_cmp_gt_u32_e32 vcc_lo, s8, v0
	s_delay_alu instid0(VALU_DEP_3) | instskip(SKIP_2) | instid1(VALU_DEP_1)
	v_cmp_gt_u32_e64 s2, s9, v2
	s_and_b32 s2, vcc_lo, s2
	v_add_nc_u32_e32 v1, v3, v1
	v_lshrrev_b32_e32 v1, s12, v1
	s_delay_alu instid0(VALU_DEP_1) | instskip(SKIP_3) | instid1(VALU_DEP_1)
	v_mul_lo_u32 v5, v1, s13
	v_cmp_gt_u32_e64 s3, s10, v1
	s_and_b32 s2, s2, s3
	v_sub_nc_u32_e32 v3, v3, v5
	v_cmp_gt_u32_e64 s4, s13, v3
	s_and_b32 s2, s2, s4
	s_delay_alu instid0(SALU_CYCLE_1)
	s_and_saveexec_b32 s3, s2
	s_cbranch_execz .LBB55_6
; %bb.1:
	v_cmp_gt_i32_e32 vcc_lo, s8, v0
	s_and_b32 exec_lo, exec_lo, vcc_lo
	s_cbranch_execz .LBB55_6
; %bb.2:
	s_clause 0x6
	s_load_b256 s[24:31], s[0:1], 0x3c
	s_load_b32 s2, s[0:1], 0x5c
	s_load_b256 s[16:23], s[0:1], 0x60
	s_load_b96 s[36:38], s[0:1], 0x80
	s_load_b128 s[4:7], s[0:1], 0x90
	s_load_b64 s[10:11], s[0:1], 0x0
	s_load_b64 s[12:13], s[0:1], 0x10
	s_wait_kmcnt 0x0
	v_mul_hi_u32 v4, s30, v3
	v_mul_hi_u32 v5, s27, v1
	;; [unrolled: 1-line block ×3, first 2 shown]
	v_mul_lo_u32 v7, v2, s20
	v_mul_lo_u32 v8, v2, s16
	s_cmp_lg_u64 s[10:11], 0
	s_delay_alu instid0(VALU_DEP_4) | instskip(NEXT) | instid1(VALU_DEP_3)
	v_dual_add_nc_u32 v4, v3, v4 :: v_dual_add_nc_u32 v5, v1, v5
	v_mad_u32 v7, v1, s21, v7
	s_delay_alu instid0(VALU_DEP_3) | instskip(NEXT) | instid1(VALU_DEP_3)
	v_mad_u32 v8, v1, s17, v8
	v_dual_lshrrev_b32 v4, s31, v4 :: v_dual_lshrrev_b32 v5, s28, v5
	s_delay_alu instid0(VALU_DEP_1) | instskip(SKIP_1) | instid1(VALU_DEP_3)
	v_mul_lo_u32 v4, v4, s2
	v_add_nc_u32_e32 v6, v2, v6
	v_mul_lo_u32 v5, v5, s29
	s_add_nc_u64 s[2:3], s[0:1], 0xa8
	s_load_b32 s9, s[2:3], 0x0
	s_load_b32 s16, s[0:1], 0x38
	s_wait_xcnt 0x0
	s_load_b64 s[0:1], s[0:1], 0xa0
	v_mad_u32 v8, v3, s18, v8
	s_mov_b32 s3, 0
	s_mov_b32 s2, s14
	v_dual_sub_nc_u32 v4, v3, v4 :: v_dual_lshrrev_b32 v6, s25, v6
	s_delay_alu instid0(VALU_DEP_3) | instskip(NEXT) | instid1(VALU_DEP_2)
	v_sub_nc_u32_e32 v5, v1, v5
	v_mul_lo_u32 v9, v4, s38
	s_delay_alu instid0(VALU_DEP_3) | instskip(SKIP_4) | instid1(VALU_DEP_4)
	v_mul_lo_u32 v6, v6, s26
	v_mad_u32 v4, v3, s22, v7
	v_mov_b32_e32 v1, 0
	s_wait_kmcnt 0x0
	s_mul_i32 s9, s9, s33
	v_mad_u32 v7, v5, s37, v9
	s_delay_alu instid0(VALU_DEP_4) | instskip(SKIP_3) | instid1(VALU_DEP_2)
	v_sub_nc_u32_e32 v2, v2, v6
	v_mul_lo_u32 v6, s19, v0
	v_dual_mov_b32 v5, v1 :: v_dual_mov_b32 v9, v1
	v_mov_b32_e32 v3, v1
	v_lshl_add_u64 v[4:5], v[4:5], 1, s[10:11]
	s_delay_alu instid0(VALU_DEP_3)
	v_lshl_add_u64 v[8:9], v[8:9], 2, s[12:13]
	s_cselect_b32 s10, -1, 0
	v_mad_u32 v2, v2, s36, v7
	s_mul_i32 s11, s9, s19
	s_sub_co_i32 s12, 0, s16
	s_mov_b32 s13, s3
	s_branch .LBB55_4
.LBB55_3:                               ;   in Loop: Header=BB55_4 Depth=1
	s_wait_xcnt 0x0
	v_mul_u64_e32 v[10:11], s[2:3], v[0:1]
	s_delay_alu instid0(VALU_DEP_1) | instskip(NEXT) | instid1(VALU_DEP_1)
	v_dual_add_nc_u32 v6, s11, v6 :: v_dual_add_nc_u32 v10, v0, v11
	v_dual_mov_b32 v11, v1 :: v_dual_lshrrev_b32 v10, s15, v10
	s_delay_alu instid0(VALU_DEP_1) | instskip(NEXT) | instid1(VALU_DEP_1)
	v_mad_u32 v10, s12, v10, v0
	v_mul_lo_u32 v10, v10, s23
	s_delay_alu instid0(VALU_DEP_1) | instskip(NEXT) | instid1(VALU_DEP_1)
	v_add_nc_u64_e32 v[10:11], v[10:11], v[2:3]
	v_lshlrev_b64_e32 v[10:11], 2, v[10:11]
	s_delay_alu instid0(VALU_DEP_1)
	v_add_nc_u64_e32 v[12:13], s[4:5], v[10:11]
	v_add_nc_u64_e32 v[14:15], s[6:7], v[10:11]
	;; [unrolled: 1-line block ×3, first 2 shown]
	global_load_b32 v12, v[12:13], off
	global_load_b32 v13, v[14:15], off
	;; [unrolled: 1-line block ×3, first 2 shown]
	s_wait_xcnt 0x0
	v_dual_mov_b32 v10, v0 :: v_dual_ashrrev_i32 v11, 31, v0
	s_delay_alu instid0(VALU_DEP_1) | instskip(SKIP_3) | instid1(VALU_DEP_1)
	v_lshl_add_u64 v[10:11], v[10:11], 2, v[8:9]
	s_wait_loadcnt 0x2
	v_add_f32_e32 v7, v7, v12
	s_wait_loadcnt 0x1
	v_dual_add_f32 v7, v7, v13 :: v_dual_add_nc_u32 v0, s9, v0
	s_delay_alu instid0(VALU_DEP_1) | instskip(SKIP_1) | instid1(VALU_DEP_2)
	v_cmp_le_i32_e32 vcc_lo, s8, v0
	s_wait_loadcnt 0x0
	v_add_f32_e32 v7, v7, v16
	s_or_b32 s13, vcc_lo, s13
	global_store_b32 v[10:11], v7, off
	s_wait_xcnt 0x0
	s_and_not1_b32 exec_lo, exec_lo, s13
	s_cbranch_execz .LBB55_6
.LBB55_4:                               ; =>This Inner Loop Header: Depth=1
	v_mov_b32_e32 v7, 0
	s_and_not1_b32 vcc_lo, exec_lo, s10
	s_cbranch_vccnz .LBB55_3
; %bb.5:                                ;   in Loop: Header=BB55_4 Depth=1
	v_ashrrev_i32_e32 v7, 31, v6
	s_delay_alu instid0(VALU_DEP_1)
	v_lshl_add_u64 v[10:11], v[6:7], 1, v[4:5]
	global_load_u16 v7, v[10:11], off
	s_wait_loadcnt 0x0
	v_cvt_f32_f16_e32 v7, v7
	s_branch .LBB55_3
.LBB55_6:
	s_endpgm
	.section	.rodata,"a",@progbits
	.p2align	6, 0x0
	.amdhsa_kernel _ZL11k_bin_bcastIXadL_ZL6op_addffEE6__halfffJPKfS2_S2_EEvPKT0_PKT1_PT2_iii15HIP_vector_typeIjLj3EESC_SC_SC_SC_iiiiiiiiiiiDpT3_
		.amdhsa_group_segment_fixed_size 0
		.amdhsa_private_segment_fixed_size 0
		.amdhsa_kernarg_size 424
		.amdhsa_user_sgpr_count 2
		.amdhsa_user_sgpr_dispatch_ptr 0
		.amdhsa_user_sgpr_queue_ptr 0
		.amdhsa_user_sgpr_kernarg_segment_ptr 1
		.amdhsa_user_sgpr_dispatch_id 0
		.amdhsa_user_sgpr_kernarg_preload_length 0
		.amdhsa_user_sgpr_kernarg_preload_offset 0
		.amdhsa_user_sgpr_private_segment_size 0
		.amdhsa_wavefront_size32 1
		.amdhsa_uses_dynamic_stack 0
		.amdhsa_enable_private_segment 0
		.amdhsa_system_sgpr_workgroup_id_x 1
		.amdhsa_system_sgpr_workgroup_id_y 1
		.amdhsa_system_sgpr_workgroup_id_z 1
		.amdhsa_system_sgpr_workgroup_info 0
		.amdhsa_system_vgpr_workitem_id 2
		.amdhsa_next_free_vgpr 17
		.amdhsa_next_free_sgpr 39
		.amdhsa_named_barrier_count 0
		.amdhsa_reserve_vcc 1
		.amdhsa_float_round_mode_32 0
		.amdhsa_float_round_mode_16_64 0
		.amdhsa_float_denorm_mode_32 3
		.amdhsa_float_denorm_mode_16_64 3
		.amdhsa_fp16_overflow 0
		.amdhsa_memory_ordered 1
		.amdhsa_forward_progress 1
		.amdhsa_inst_pref_size 8
		.amdhsa_round_robin_scheduling 0
		.amdhsa_exception_fp_ieee_invalid_op 0
		.amdhsa_exception_fp_denorm_src 0
		.amdhsa_exception_fp_ieee_div_zero 0
		.amdhsa_exception_fp_ieee_overflow 0
		.amdhsa_exception_fp_ieee_underflow 0
		.amdhsa_exception_fp_ieee_inexact 0
		.amdhsa_exception_int_div_zero 0
	.end_amdhsa_kernel
	.section	.text._ZL11k_bin_bcastIXadL_ZL6op_addffEE6__halfffJPKfS2_S2_EEvPKT0_PKT1_PT2_iii15HIP_vector_typeIjLj3EESC_SC_SC_SC_iiiiiiiiiiiDpT3_,"axG",@progbits,_ZL11k_bin_bcastIXadL_ZL6op_addffEE6__halfffJPKfS2_S2_EEvPKT0_PKT1_PT2_iii15HIP_vector_typeIjLj3EESC_SC_SC_SC_iiiiiiiiiiiDpT3_,comdat
.Lfunc_end55:
	.size	_ZL11k_bin_bcastIXadL_ZL6op_addffEE6__halfffJPKfS2_S2_EEvPKT0_PKT1_PT2_iii15HIP_vector_typeIjLj3EESC_SC_SC_SC_iiiiiiiiiiiDpT3_, .Lfunc_end55-_ZL11k_bin_bcastIXadL_ZL6op_addffEE6__halfffJPKfS2_S2_EEvPKT0_PKT1_PT2_iii15HIP_vector_typeIjLj3EESC_SC_SC_SC_iiiiiiiiiiiDpT3_
                                        ; -- End function
	.set _ZL11k_bin_bcastIXadL_ZL6op_addffEE6__halfffJPKfS2_S2_EEvPKT0_PKT1_PT2_iii15HIP_vector_typeIjLj3EESC_SC_SC_SC_iiiiiiiiiiiDpT3_.num_vgpr, 17
	.set _ZL11k_bin_bcastIXadL_ZL6op_addffEE6__halfffJPKfS2_S2_EEvPKT0_PKT1_PT2_iii15HIP_vector_typeIjLj3EESC_SC_SC_SC_iiiiiiiiiiiDpT3_.num_agpr, 0
	.set _ZL11k_bin_bcastIXadL_ZL6op_addffEE6__halfffJPKfS2_S2_EEvPKT0_PKT1_PT2_iii15HIP_vector_typeIjLj3EESC_SC_SC_SC_iiiiiiiiiiiDpT3_.numbered_sgpr, 39
	.set _ZL11k_bin_bcastIXadL_ZL6op_addffEE6__halfffJPKfS2_S2_EEvPKT0_PKT1_PT2_iii15HIP_vector_typeIjLj3EESC_SC_SC_SC_iiiiiiiiiiiDpT3_.num_named_barrier, 0
	.set _ZL11k_bin_bcastIXadL_ZL6op_addffEE6__halfffJPKfS2_S2_EEvPKT0_PKT1_PT2_iii15HIP_vector_typeIjLj3EESC_SC_SC_SC_iiiiiiiiiiiDpT3_.private_seg_size, 0
	.set _ZL11k_bin_bcastIXadL_ZL6op_addffEE6__halfffJPKfS2_S2_EEvPKT0_PKT1_PT2_iii15HIP_vector_typeIjLj3EESC_SC_SC_SC_iiiiiiiiiiiDpT3_.uses_vcc, 1
	.set _ZL11k_bin_bcastIXadL_ZL6op_addffEE6__halfffJPKfS2_S2_EEvPKT0_PKT1_PT2_iii15HIP_vector_typeIjLj3EESC_SC_SC_SC_iiiiiiiiiiiDpT3_.uses_flat_scratch, 0
	.set _ZL11k_bin_bcastIXadL_ZL6op_addffEE6__halfffJPKfS2_S2_EEvPKT0_PKT1_PT2_iii15HIP_vector_typeIjLj3EESC_SC_SC_SC_iiiiiiiiiiiDpT3_.has_dyn_sized_stack, 0
	.set _ZL11k_bin_bcastIXadL_ZL6op_addffEE6__halfffJPKfS2_S2_EEvPKT0_PKT1_PT2_iii15HIP_vector_typeIjLj3EESC_SC_SC_SC_iiiiiiiiiiiDpT3_.has_recursion, 0
	.set _ZL11k_bin_bcastIXadL_ZL6op_addffEE6__halfffJPKfS2_S2_EEvPKT0_PKT1_PT2_iii15HIP_vector_typeIjLj3EESC_SC_SC_SC_iiiiiiiiiiiDpT3_.has_indirect_call, 0
	.section	.AMDGPU.csdata,"",@progbits
; Kernel info:
; codeLenInByte = 944
; TotalNumSgprs: 41
; NumVgprs: 17
; ScratchSize: 0
; MemoryBound: 0
; FloatMode: 240
; IeeeMode: 1
; LDSByteSize: 0 bytes/workgroup (compile time only)
; SGPRBlocks: 0
; VGPRBlocks: 1
; NumSGPRsForWavesPerEU: 41
; NumVGPRsForWavesPerEU: 17
; NamedBarCnt: 0
; Occupancy: 16
; WaveLimiterHint : 1
; COMPUTE_PGM_RSRC2:SCRATCH_EN: 0
; COMPUTE_PGM_RSRC2:USER_SGPR: 2
; COMPUTE_PGM_RSRC2:TRAP_HANDLER: 0
; COMPUTE_PGM_RSRC2:TGID_X_EN: 1
; COMPUTE_PGM_RSRC2:TGID_Y_EN: 1
; COMPUTE_PGM_RSRC2:TGID_Z_EN: 1
; COMPUTE_PGM_RSRC2:TIDIG_COMP_CNT: 2
	.section	.text._ZL19k_bin_bcast_unravelIXadL_ZL6op_addffEEfffJPKfS1_S1_S1_EEvPKT0_PKT1_PT2_15HIP_vector_typeIjLj3EESB_SB_jSB_SB_SB_SB_SB_SB_iiiiiiiiiiiDpT3_,"axG",@progbits,_ZL19k_bin_bcast_unravelIXadL_ZL6op_addffEEfffJPKfS1_S1_S1_EEvPKT0_PKT1_PT2_15HIP_vector_typeIjLj3EESB_SB_jSB_SB_SB_SB_SB_SB_iiiiiiiiiiiDpT3_,comdat
	.globl	_ZL19k_bin_bcast_unravelIXadL_ZL6op_addffEEfffJPKfS1_S1_S1_EEvPKT0_PKT1_PT2_15HIP_vector_typeIjLj3EESB_SB_jSB_SB_SB_SB_SB_SB_iiiiiiiiiiiDpT3_ ; -- Begin function _ZL19k_bin_bcast_unravelIXadL_ZL6op_addffEEfffJPKfS1_S1_S1_EEvPKT0_PKT1_PT2_15HIP_vector_typeIjLj3EESB_SB_jSB_SB_SB_SB_SB_SB_iiiiiiiiiiiDpT3_
	.p2align	8
	.type	_ZL19k_bin_bcast_unravelIXadL_ZL6op_addffEEfffJPKfS1_S1_S1_EEvPKT0_PKT1_PT2_15HIP_vector_typeIjLj3EESB_SB_jSB_SB_SB_SB_SB_SB_iiiiiiiiiiiDpT3_,@function
_ZL19k_bin_bcast_unravelIXadL_ZL6op_addffEEfffJPKfS1_S1_S1_EEvPKT0_PKT1_PT2_15HIP_vector_typeIjLj3EESB_SB_jSB_SB_SB_SB_SB_SB_iiiiiiiiiiiDpT3_: ; @_ZL19k_bin_bcast_unravelIXadL_ZL6op_addffEEfffJPKfS1_S1_S1_EEvPKT0_PKT1_PT2_15HIP_vector_typeIjLj3EESB_SB_jSB_SB_SB_SB_SB_SB_iiiiiiiiiiiDpT3_
; %bb.0:
	s_load_b32 s2, s[0:1], 0xe4
	s_bfe_u32 s3, ttmp6, 0x4000c
	s_load_b256 s[4:11], s[0:1], 0x38
	s_add_co_i32 s3, s3, 1
	s_and_b32 s12, ttmp6, 15
	s_mul_i32 s3, ttmp9, s3
	s_getreg_b32 s13, hwreg(HW_REG_IB_STS2, 6, 4)
	s_add_co_i32 s12, s12, s3
	s_wait_kmcnt 0x0
	s_and_b32 s2, s2, 0xffff
	s_cmp_eq_u32 s13, 0
	s_cselect_b32 s3, ttmp9, s12
	s_delay_alu instid0(SALU_CYCLE_1) | instskip(SKIP_1) | instid1(VALU_DEP_1)
	v_mad_u32 v0, s3, s2, v0
	s_load_b32 s2, s[0:1], 0x2c
	v_mul_hi_u32 v1, v0, s6
	s_delay_alu instid0(VALU_DEP_1) | instskip(NEXT) | instid1(VALU_DEP_1)
	v_add_nc_u32_e32 v1, v0, v1
	v_lshrrev_b32_e32 v1, s7, v1
	s_delay_alu instid0(VALU_DEP_1) | instskip(NEXT) | instid1(VALU_DEP_1)
	v_mul_lo_u32 v2, v1, s8
	v_sub_nc_u32_e32 v0, v0, v2
	s_delay_alu instid0(VALU_DEP_1) | instskip(NEXT) | instid1(VALU_DEP_1)
	v_mul_hi_u32 v2, v0, s9
	v_add_nc_u32_e32 v2, v0, v2
	s_delay_alu instid0(VALU_DEP_1) | instskip(SKIP_1) | instid1(VALU_DEP_1)
	v_lshrrev_b32_e32 v2, s10, v2
	s_load_b96 s[8:10], s[0:1], 0x18
	v_mul_lo_u32 v3, v2, s11
	s_delay_alu instid0(VALU_DEP_1) | instskip(SKIP_3) | instid1(VALU_DEP_3)
	v_sub_nc_u32_e32 v0, v0, v3
	v_cmp_gt_u32_e64 s3, s4, v2
	v_cmp_gt_u32_e64 s4, s5, v1
	s_wait_kmcnt 0x0
	v_mul_hi_u32 v3, v0, s8
	s_delay_alu instid0(VALU_DEP_1) | instskip(NEXT) | instid1(VALU_DEP_1)
	v_add_nc_u32_e32 v3, v0, v3
	v_lshrrev_b32_e32 v4, s9, v3
	s_delay_alu instid0(VALU_DEP_1) | instskip(NEXT) | instid1(VALU_DEP_1)
	v_mul_lo_u32 v3, v4, s10
	v_sub_nc_u32_e32 v0, v0, v3
	v_cmp_gt_u32_e64 s2, s2, v4
	s_delay_alu instid0(VALU_DEP_2) | instskip(SKIP_1) | instid1(SALU_CYCLE_1)
	v_cmp_gt_u32_e32 vcc_lo, s10, v0
	s_and_b32 s2, vcc_lo, s2
	s_and_b32 s2, s2, s3
	s_delay_alu instid0(SALU_CYCLE_1) | instskip(NEXT) | instid1(SALU_CYCLE_1)
	s_and_b32 s2, s4, s2
	s_and_saveexec_b32 s3, s2
	s_cbranch_execz .LBB56_4
; %bb.1:
	s_clause 0x4
	s_load_b64 s[2:3], s[0:1], 0x0
	s_load_b96 s[24:26], s[0:1], 0xa8
	s_load_b256 s[4:11], s[0:1], 0x88
	s_load_b128 s[20:23], s[0:1], 0x78
	s_load_b256 s[12:19], s[0:1], 0x58
	v_dual_mov_b32 v3, 0 :: v_dual_mov_b32 v5, 0
	s_wait_kmcnt 0x0
	s_cmp_eq_u64 s[2:3], 0
	s_cbranch_scc1 .LBB56_3
; %bb.2:
	v_mul_lo_u32 v5, v1, s10
	v_mov_b32_e32 v7, 0
	s_delay_alu instid0(VALU_DEP_2) | instskip(NEXT) | instid1(VALU_DEP_1)
	v_mad_u32 v5, v2, s9, v5
	v_mad_u32 v6, v4, s8, v5
	s_delay_alu instid0(VALU_DEP_1) | instskip(SKIP_1) | instid1(VALU_DEP_1)
	v_lshl_add_u64 v[8:9], v[6:7], 2, s[2:3]
	v_mul_lo_u32 v6, v0, s7
	v_lshl_add_u64 v[6:7], v[6:7], 2, v[8:9]
	global_load_b32 v5, v[6:7], off
.LBB56_3:
	s_wait_xcnt 0x0
	v_mul_hi_u32 v6, s21, v1
	v_mul_hi_u32 v7, s18, v2
	;; [unrolled: 1-line block ×4, first 2 shown]
	s_delay_alu instid0(VALU_DEP_3) | instskip(NEXT) | instid1(VALU_DEP_1)
	v_dual_add_nc_u32 v6, v1, v6 :: v_dual_add_nc_u32 v7, v2, v7
	v_dual_lshrrev_b32 v6, s22, v6 :: v_dual_lshrrev_b32 v7, s19, v7
	s_delay_alu instid0(VALU_DEP_1) | instskip(SKIP_1) | instid1(VALU_DEP_3)
	v_mul_lo_u32 v6, v6, s23
	v_add_nc_u32_e32 v8, v4, v8
	v_mul_lo_u32 v7, v7, s20
	s_delay_alu instid0(VALU_DEP_3) | instskip(NEXT) | instid1(VALU_DEP_3)
	v_dual_sub_nc_u32 v6, v1, v6 :: v_dual_add_nc_u32 v9, v0, v9
	v_lshrrev_b32_e32 v8, s16, v8
	v_mul_lo_u32 v1, v1, s6
	s_delay_alu instid0(VALU_DEP_4) | instskip(NEXT) | instid1(VALU_DEP_4)
	v_sub_nc_u32_e32 v7, v2, v7
	v_mul_lo_u32 v6, v6, s26
	v_lshrrev_b32_e32 v9, s13, v9
	v_mul_lo_u32 v8, v8, s17
	s_delay_alu instid0(VALU_DEP_2) | instskip(SKIP_2) | instid1(VALU_DEP_4)
	v_mul_lo_u32 v9, v9, s14
	v_mad_u32 v1, v2, s5, v1
	v_mad_u32 v7, v7, s25, v6
	v_sub_nc_u32_e32 v8, v4, v8
	s_delay_alu instid0(VALU_DEP_3) | instskip(NEXT) | instid1(VALU_DEP_2)
	v_mad_u32 v2, v4, s4, v1
	v_mad_u32 v8, v8, s24, v7
	s_delay_alu instid0(VALU_DEP_1) | instskip(NEXT) | instid1(VALU_DEP_1)
	v_dual_sub_nc_u32 v6, v0, v9 :: v_dual_ashrrev_i32 v9, 31, v8
	v_mul_lo_u32 v6, v6, s11
	s_load_b256 s[8:15], s[0:1], 0xb8
	s_delay_alu instid0(VALU_DEP_1) | instskip(SKIP_2) | instid1(VALU_DEP_1)
	v_ashrrev_i32_e32 v7, 31, v6
	s_wait_xcnt 0x0
	s_load_b64 s[0:1], s[0:1], 0x10
	v_add_nc_u64_e32 v[6:7], v[6:7], v[8:9]
	s_delay_alu instid0(VALU_DEP_1) | instskip(SKIP_1) | instid1(VALU_DEP_1)
	v_lshlrev_b64_e32 v[6:7], 2, v[6:7]
	s_wait_kmcnt 0x0
	v_add_nc_u64_e32 v[8:9], s[8:9], v[6:7]
	v_add_nc_u64_e32 v[10:11], s[10:11], v[6:7]
	global_load_b32 v12, v[8:9], off
	s_wait_xcnt 0x0
	v_add_nc_u64_e32 v[8:9], s[12:13], v[6:7]
	global_load_b32 v10, v[10:11], off
	v_add_nc_u64_e32 v[6:7], s[14:15], v[6:7]
	global_load_b32 v11, v[8:9], off
	global_load_b32 v13, v[6:7], off
	s_wait_loadcnt 0x3
	v_add_f32_e32 v1, v5, v12
	s_wait_loadcnt 0x2
	s_delay_alu instid0(VALU_DEP_1) | instskip(SKIP_2) | instid1(VALU_DEP_2)
	v_dual_add_f32 v4, v1, v10 :: v_dual_mov_b32 v1, v3
	v_lshl_add_u64 v[2:3], v[2:3], 2, s[0:1]
	s_wait_loadcnt 0x1
	v_add_f32_e32 v4, v4, v11
	s_delay_alu instid0(VALU_DEP_2) | instskip(SKIP_1) | instid1(VALU_DEP_2)
	v_lshl_add_u64 v[0:1], v[0:1], 2, v[2:3]
	s_wait_loadcnt 0x0
	v_add_f32_e32 v4, v4, v13
	global_store_b32 v[0:1], v4, off
.LBB56_4:
	s_endpgm
	.section	.rodata,"a",@progbits
	.p2align	6, 0x0
	.amdhsa_kernel _ZL19k_bin_bcast_unravelIXadL_ZL6op_addffEEfffJPKfS1_S1_S1_EEvPKT0_PKT1_PT2_15HIP_vector_typeIjLj3EESB_SB_jSB_SB_SB_SB_SB_SB_iiiiiiiiiiiDpT3_
		.amdhsa_group_segment_fixed_size 0
		.amdhsa_private_segment_fixed_size 0
		.amdhsa_kernarg_size 472
		.amdhsa_user_sgpr_count 2
		.amdhsa_user_sgpr_dispatch_ptr 0
		.amdhsa_user_sgpr_queue_ptr 0
		.amdhsa_user_sgpr_kernarg_segment_ptr 1
		.amdhsa_user_sgpr_dispatch_id 0
		.amdhsa_user_sgpr_kernarg_preload_length 0
		.amdhsa_user_sgpr_kernarg_preload_offset 0
		.amdhsa_user_sgpr_private_segment_size 0
		.amdhsa_wavefront_size32 1
		.amdhsa_uses_dynamic_stack 0
		.amdhsa_enable_private_segment 0
		.amdhsa_system_sgpr_workgroup_id_x 1
		.amdhsa_system_sgpr_workgroup_id_y 0
		.amdhsa_system_sgpr_workgroup_id_z 0
		.amdhsa_system_sgpr_workgroup_info 0
		.amdhsa_system_vgpr_workitem_id 0
		.amdhsa_next_free_vgpr 14
		.amdhsa_next_free_sgpr 27
		.amdhsa_named_barrier_count 0
		.amdhsa_reserve_vcc 1
		.amdhsa_float_round_mode_32 0
		.amdhsa_float_round_mode_16_64 0
		.amdhsa_float_denorm_mode_32 3
		.amdhsa_float_denorm_mode_16_64 3
		.amdhsa_fp16_overflow 0
		.amdhsa_memory_ordered 1
		.amdhsa_forward_progress 1
		.amdhsa_inst_pref_size 7
		.amdhsa_round_robin_scheduling 0
		.amdhsa_exception_fp_ieee_invalid_op 0
		.amdhsa_exception_fp_denorm_src 0
		.amdhsa_exception_fp_ieee_div_zero 0
		.amdhsa_exception_fp_ieee_overflow 0
		.amdhsa_exception_fp_ieee_underflow 0
		.amdhsa_exception_fp_ieee_inexact 0
		.amdhsa_exception_int_div_zero 0
	.end_amdhsa_kernel
	.section	.text._ZL19k_bin_bcast_unravelIXadL_ZL6op_addffEEfffJPKfS1_S1_S1_EEvPKT0_PKT1_PT2_15HIP_vector_typeIjLj3EESB_SB_jSB_SB_SB_SB_SB_SB_iiiiiiiiiiiDpT3_,"axG",@progbits,_ZL19k_bin_bcast_unravelIXadL_ZL6op_addffEEfffJPKfS1_S1_S1_EEvPKT0_PKT1_PT2_15HIP_vector_typeIjLj3EESB_SB_jSB_SB_SB_SB_SB_SB_iiiiiiiiiiiDpT3_,comdat
.Lfunc_end56:
	.size	_ZL19k_bin_bcast_unravelIXadL_ZL6op_addffEEfffJPKfS1_S1_S1_EEvPKT0_PKT1_PT2_15HIP_vector_typeIjLj3EESB_SB_jSB_SB_SB_SB_SB_SB_iiiiiiiiiiiDpT3_, .Lfunc_end56-_ZL19k_bin_bcast_unravelIXadL_ZL6op_addffEEfffJPKfS1_S1_S1_EEvPKT0_PKT1_PT2_15HIP_vector_typeIjLj3EESB_SB_jSB_SB_SB_SB_SB_SB_iiiiiiiiiiiDpT3_
                                        ; -- End function
	.set _ZL19k_bin_bcast_unravelIXadL_ZL6op_addffEEfffJPKfS1_S1_S1_EEvPKT0_PKT1_PT2_15HIP_vector_typeIjLj3EESB_SB_jSB_SB_SB_SB_SB_SB_iiiiiiiiiiiDpT3_.num_vgpr, 14
	.set _ZL19k_bin_bcast_unravelIXadL_ZL6op_addffEEfffJPKfS1_S1_S1_EEvPKT0_PKT1_PT2_15HIP_vector_typeIjLj3EESB_SB_jSB_SB_SB_SB_SB_SB_iiiiiiiiiiiDpT3_.num_agpr, 0
	.set _ZL19k_bin_bcast_unravelIXadL_ZL6op_addffEEfffJPKfS1_S1_S1_EEvPKT0_PKT1_PT2_15HIP_vector_typeIjLj3EESB_SB_jSB_SB_SB_SB_SB_SB_iiiiiiiiiiiDpT3_.numbered_sgpr, 27
	.set _ZL19k_bin_bcast_unravelIXadL_ZL6op_addffEEfffJPKfS1_S1_S1_EEvPKT0_PKT1_PT2_15HIP_vector_typeIjLj3EESB_SB_jSB_SB_SB_SB_SB_SB_iiiiiiiiiiiDpT3_.num_named_barrier, 0
	.set _ZL19k_bin_bcast_unravelIXadL_ZL6op_addffEEfffJPKfS1_S1_S1_EEvPKT0_PKT1_PT2_15HIP_vector_typeIjLj3EESB_SB_jSB_SB_SB_SB_SB_SB_iiiiiiiiiiiDpT3_.private_seg_size, 0
	.set _ZL19k_bin_bcast_unravelIXadL_ZL6op_addffEEfffJPKfS1_S1_S1_EEvPKT0_PKT1_PT2_15HIP_vector_typeIjLj3EESB_SB_jSB_SB_SB_SB_SB_SB_iiiiiiiiiiiDpT3_.uses_vcc, 1
	.set _ZL19k_bin_bcast_unravelIXadL_ZL6op_addffEEfffJPKfS1_S1_S1_EEvPKT0_PKT1_PT2_15HIP_vector_typeIjLj3EESB_SB_jSB_SB_SB_SB_SB_SB_iiiiiiiiiiiDpT3_.uses_flat_scratch, 0
	.set _ZL19k_bin_bcast_unravelIXadL_ZL6op_addffEEfffJPKfS1_S1_S1_EEvPKT0_PKT1_PT2_15HIP_vector_typeIjLj3EESB_SB_jSB_SB_SB_SB_SB_SB_iiiiiiiiiiiDpT3_.has_dyn_sized_stack, 0
	.set _ZL19k_bin_bcast_unravelIXadL_ZL6op_addffEEfffJPKfS1_S1_S1_EEvPKT0_PKT1_PT2_15HIP_vector_typeIjLj3EESB_SB_jSB_SB_SB_SB_SB_SB_iiiiiiiiiiiDpT3_.has_recursion, 0
	.set _ZL19k_bin_bcast_unravelIXadL_ZL6op_addffEEfffJPKfS1_S1_S1_EEvPKT0_PKT1_PT2_15HIP_vector_typeIjLj3EESB_SB_jSB_SB_SB_SB_SB_SB_iiiiiiiiiiiDpT3_.has_indirect_call, 0
	.section	.AMDGPU.csdata,"",@progbits
; Kernel info:
; codeLenInByte = 812
; TotalNumSgprs: 29
; NumVgprs: 14
; ScratchSize: 0
; MemoryBound: 0
; FloatMode: 240
; IeeeMode: 1
; LDSByteSize: 0 bytes/workgroup (compile time only)
; SGPRBlocks: 0
; VGPRBlocks: 0
; NumSGPRsForWavesPerEU: 29
; NumVGPRsForWavesPerEU: 14
; NamedBarCnt: 0
; Occupancy: 16
; WaveLimiterHint : 1
; COMPUTE_PGM_RSRC2:SCRATCH_EN: 0
; COMPUTE_PGM_RSRC2:USER_SGPR: 2
; COMPUTE_PGM_RSRC2:TRAP_HANDLER: 0
; COMPUTE_PGM_RSRC2:TGID_X_EN: 1
; COMPUTE_PGM_RSRC2:TGID_Y_EN: 0
; COMPUTE_PGM_RSRC2:TGID_Z_EN: 0
; COMPUTE_PGM_RSRC2:TIDIG_COMP_CNT: 0
	.section	.text._ZL11k_bin_bcastIXadL_ZL6op_addffEEfffJPKfS1_S1_S1_EEvPKT0_PKT1_PT2_iii15HIP_vector_typeIjLj3EESB_SB_SB_SB_iiiiiiiiiiiDpT3_,"axG",@progbits,_ZL11k_bin_bcastIXadL_ZL6op_addffEEfffJPKfS1_S1_S1_EEvPKT0_PKT1_PT2_iii15HIP_vector_typeIjLj3EESB_SB_SB_SB_iiiiiiiiiiiDpT3_,comdat
	.globl	_ZL11k_bin_bcastIXadL_ZL6op_addffEEfffJPKfS1_S1_S1_EEvPKT0_PKT1_PT2_iii15HIP_vector_typeIjLj3EESB_SB_SB_SB_iiiiiiiiiiiDpT3_ ; -- Begin function _ZL11k_bin_bcastIXadL_ZL6op_addffEEfffJPKfS1_S1_S1_EEvPKT0_PKT1_PT2_iii15HIP_vector_typeIjLj3EESB_SB_SB_SB_iiiiiiiiiiiDpT3_
	.p2align	8
	.type	_ZL11k_bin_bcastIXadL_ZL6op_addffEEfffJPKfS1_S1_S1_EEvPKT0_PKT1_PT2_iii15HIP_vector_typeIjLj3EESB_SB_SB_SB_iiiiiiiiiiiDpT3_,@function
_ZL11k_bin_bcastIXadL_ZL6op_addffEEfffJPKfS1_S1_S1_EEvPKT0_PKT1_PT2_iii15HIP_vector_typeIjLj3EESB_SB_SB_SB_iiiiiiiiiiiDpT3_: ; @_ZL11k_bin_bcastIXadL_ZL6op_addffEEfffJPKfS1_S1_S1_EEvPKT0_PKT1_PT2_iii15HIP_vector_typeIjLj3EESB_SB_SB_SB_iiiiiiiiiiiDpT3_
; %bb.0:
	s_load_b64 s[2:3], s[0:1], 0xbc
	s_bfe_u32 s5, ttmp6, 0x40014
	s_bfe_u32 s16, ttmp6, 0x40010
	s_bfe_u32 s19, ttmp6, 0x4000c
	s_lshr_b32 s4, ttmp7, 16
	s_and_b32 s7, ttmp7, 0xffff
	s_add_co_i32 s5, s5, 1
	s_add_co_i32 s16, s16, 1
	s_load_b256 s[8:15], s[0:1], 0x18
	s_add_co_i32 s19, s19, 1
	s_bfe_u32 s6, ttmp6, 0x40008
	s_bfe_u32 s17, ttmp6, 0x40004
	s_mul_i32 s5, s4, s5
	s_mul_i32 s16, s7, s16
	s_and_b32 s18, ttmp6, 15
	s_mul_i32 s19, ttmp9, s19
	s_add_co_i32 s6, s6, s5
	s_add_co_i32 s17, s17, s16
	;; [unrolled: 1-line block ×3, first 2 shown]
	v_bfe_u32 v1, v0, 20, 10
	s_wait_kmcnt 0x0
	s_lshr_b32 s16, s2, 16
	s_and_b32 s5, s2, 0xffff
	s_getreg_b32 s2, hwreg(HW_REG_IB_STS2, 6, 4)
	s_and_b32 s3, s3, 0xffff
	s_cmp_eq_u32 s2, 0
	v_and_b32_e32 v2, 0x3ff, v0
	s_cselect_b32 s2, s4, s6
	v_bfe_u32 v4, v0, 10, 10
	v_mad_u32 v3, s2, s3, v1
	s_cselect_b32 s2, ttmp9, s18
	s_cselect_b32 s3, s7, s17
	v_mad_u32 v0, s2, s5, v2
	v_mad_u32 v2, s3, s16, v4
	s_delay_alu instid0(VALU_DEP_3) | instskip(NEXT) | instid1(VALU_DEP_3)
	v_mul_hi_u32 v1, v3, s11
	v_cmp_gt_u32_e32 vcc_lo, s8, v0
	s_delay_alu instid0(VALU_DEP_3) | instskip(SKIP_2) | instid1(VALU_DEP_1)
	v_cmp_gt_u32_e64 s2, s9, v2
	s_and_b32 s2, vcc_lo, s2
	v_add_nc_u32_e32 v1, v3, v1
	v_lshrrev_b32_e32 v1, s12, v1
	s_delay_alu instid0(VALU_DEP_1) | instskip(SKIP_3) | instid1(VALU_DEP_1)
	v_mul_lo_u32 v5, v1, s13
	v_cmp_gt_u32_e64 s3, s10, v1
	s_and_b32 s2, s2, s3
	v_sub_nc_u32_e32 v3, v3, v5
	v_cmp_gt_u32_e64 s4, s13, v3
	s_and_b32 s2, s2, s4
	s_delay_alu instid0(SALU_CYCLE_1)
	s_and_saveexec_b32 s3, s2
	s_cbranch_execz .LBB57_6
; %bb.1:
	v_cmp_gt_i32_e32 vcc_lo, s8, v0
	s_and_b32 exec_lo, exec_lo, vcc_lo
	s_cbranch_execz .LBB57_6
; %bb.2:
	s_clause 0x3
	s_load_b256 s[24:31], s[0:1], 0x3c
	s_load_b32 s2, s[0:1], 0x5c
	s_load_b256 s[16:23], s[0:1], 0x60
	s_load_b96 s[36:38], s[0:1], 0x80
	s_add_nc_u64 s[6:7], s[0:1], 0xb0
	s_load_b32 s4, s[6:7], 0x0
	s_clause 0x1
	s_load_b32 s9, s[0:1], 0x38
	s_load_b64 s[10:11], s[0:1], 0x10
	s_wait_kmcnt 0x0
	v_mul_hi_u32 v4, s30, v3
	v_mul_hi_u32 v5, s27, v1
	;; [unrolled: 1-line block ×3, first 2 shown]
	v_mul_lo_u32 v7, v2, s20
	v_mul_lo_u32 v8, v2, s16
	s_delay_alu instid0(VALU_DEP_4) | instskip(NEXT) | instid1(VALU_DEP_3)
	v_dual_add_nc_u32 v4, v3, v4 :: v_dual_add_nc_u32 v5, v1, v5
	v_mad_u32 v7, v1, s21, v7
	s_delay_alu instid0(VALU_DEP_3) | instskip(NEXT) | instid1(VALU_DEP_3)
	v_mad_u32 v8, v1, s17, v8
	v_dual_lshrrev_b32 v4, s31, v4 :: v_dual_lshrrev_b32 v5, s28, v5
	s_delay_alu instid0(VALU_DEP_1) | instskip(SKIP_1) | instid1(VALU_DEP_3)
	v_mul_lo_u32 v4, v4, s2
	v_add_nc_u32_e32 v6, v2, v6
	v_mul_lo_u32 v5, v5, s29
	s_load_b64 s[2:3], s[0:1], 0x0
	v_mad_u32 v8, v3, s18, v8
	s_delay_alu instid0(VALU_DEP_3) | instskip(NEXT) | instid1(VALU_DEP_3)
	v_dual_sub_nc_u32 v4, v3, v4 :: v_dual_lshrrev_b32 v6, s25, v6
	v_sub_nc_u32_e32 v5, v1, v5
	s_delay_alu instid0(VALU_DEP_2) | instskip(NEXT) | instid1(VALU_DEP_3)
	v_mul_lo_u32 v9, v4, s38
	v_mul_lo_u32 v6, v6, s26
	v_mad_u32 v4, v3, s22, v7
	s_load_b256 s[24:31], s[0:1], 0x90
	v_mov_b32_e32 v1, 0
	s_wait_xcnt 0x0
	s_mov_b32 s1, 0
	s_mov_b32 s0, s14
	s_wait_kmcnt 0x0
	s_cmp_lg_u64 s[2:3], 0
	s_mov_b32 s6, s1
	v_mad_u32 v7, v5, s37, v9
	v_sub_nc_u32_e32 v2, v2, v6
	v_mul_lo_u32 v6, s19, v0
	v_dual_mov_b32 v5, v1 :: v_dual_mov_b32 v9, v1
	v_mov_b32_e32 v3, v1
	s_delay_alu instid0(VALU_DEP_2) | instskip(NEXT) | instid1(VALU_DEP_3)
	v_lshl_add_u64 v[4:5], v[4:5], 2, s[2:3]
	v_lshl_add_u64 v[8:9], v[8:9], 2, s[10:11]
	s_mul_i32 s2, s4, s5
	v_mad_u32 v2, v2, s36, v7
	s_cselect_b32 s3, -1, 0
	s_mul_i32 s4, s2, s19
	s_sub_co_i32 s5, 0, s9
	s_branch .LBB57_4
.LBB57_3:                               ;   in Loop: Header=BB57_4 Depth=1
	s_wait_xcnt 0x0
	v_mul_u64_e32 v[10:11], s[0:1], v[0:1]
	s_delay_alu instid0(VALU_DEP_1) | instskip(NEXT) | instid1(VALU_DEP_1)
	v_dual_add_nc_u32 v6, s4, v6 :: v_dual_add_nc_u32 v10, v0, v11
	v_dual_mov_b32 v11, v1 :: v_dual_lshrrev_b32 v10, s15, v10
	s_delay_alu instid0(VALU_DEP_1) | instskip(NEXT) | instid1(VALU_DEP_1)
	v_mad_u32 v10, s5, v10, v0
	v_mul_lo_u32 v10, v10, s23
	s_delay_alu instid0(VALU_DEP_1) | instskip(NEXT) | instid1(VALU_DEP_1)
	v_add_nc_u64_e32 v[10:11], v[10:11], v[2:3]
	v_lshlrev_b64_e32 v[10:11], 2, v[10:11]
	s_delay_alu instid0(VALU_DEP_1)
	v_add_nc_u64_e32 v[12:13], s[24:25], v[10:11]
	v_add_nc_u64_e32 v[14:15], s[26:27], v[10:11]
	global_load_b32 v16, v[12:13], off
	s_wait_xcnt 0x0
	v_add_nc_u64_e32 v[12:13], s[28:29], v[10:11]
	global_load_b32 v14, v[14:15], off
	v_add_nc_u64_e32 v[10:11], s[30:31], v[10:11]
	global_load_b32 v15, v[12:13], off
	global_load_b32 v17, v[10:11], off
	s_wait_xcnt 0x0
	v_dual_mov_b32 v10, v0 :: v_dual_ashrrev_i32 v11, 31, v0
	v_add_nc_u32_e32 v0, s2, v0
	s_delay_alu instid0(VALU_DEP_2) | instskip(NEXT) | instid1(VALU_DEP_2)
	v_lshl_add_u64 v[10:11], v[10:11], 2, v[8:9]
	v_cmp_le_i32_e32 vcc_lo, s8, v0
	s_or_b32 s6, vcc_lo, s6
	s_wait_loadcnt 0x3
	v_add_f32_e32 v7, v7, v16
	s_wait_loadcnt 0x2
	s_delay_alu instid0(VALU_DEP_1) | instskip(SKIP_1) | instid1(VALU_DEP_1)
	v_add_f32_e32 v7, v7, v14
	s_wait_loadcnt 0x1
	v_add_f32_e32 v7, v7, v15
	s_wait_loadcnt 0x0
	s_delay_alu instid0(VALU_DEP_1)
	v_add_f32_e32 v7, v7, v17
	global_store_b32 v[10:11], v7, off
	s_wait_xcnt 0x0
	s_and_not1_b32 exec_lo, exec_lo, s6
	s_cbranch_execz .LBB57_6
.LBB57_4:                               ; =>This Inner Loop Header: Depth=1
	v_mov_b32_e32 v7, 0
	s_and_not1_b32 vcc_lo, exec_lo, s3
	s_cbranch_vccnz .LBB57_3
; %bb.5:                                ;   in Loop: Header=BB57_4 Depth=1
	v_ashrrev_i32_e32 v7, 31, v6
	s_delay_alu instid0(VALU_DEP_1)
	v_lshl_add_u64 v[10:11], v[6:7], 2, v[4:5]
	global_load_b32 v7, v[10:11], off
	s_branch .LBB57_3
.LBB57_6:
	s_endpgm
	.section	.rodata,"a",@progbits
	.p2align	6, 0x0
	.amdhsa_kernel _ZL11k_bin_bcastIXadL_ZL6op_addffEEfffJPKfS1_S1_S1_EEvPKT0_PKT1_PT2_iii15HIP_vector_typeIjLj3EESB_SB_SB_SB_iiiiiiiiiiiDpT3_
		.amdhsa_group_segment_fixed_size 0
		.amdhsa_private_segment_fixed_size 0
		.amdhsa_kernarg_size 432
		.amdhsa_user_sgpr_count 2
		.amdhsa_user_sgpr_dispatch_ptr 0
		.amdhsa_user_sgpr_queue_ptr 0
		.amdhsa_user_sgpr_kernarg_segment_ptr 1
		.amdhsa_user_sgpr_dispatch_id 0
		.amdhsa_user_sgpr_kernarg_preload_length 0
		.amdhsa_user_sgpr_kernarg_preload_offset 0
		.amdhsa_user_sgpr_private_segment_size 0
		.amdhsa_wavefront_size32 1
		.amdhsa_uses_dynamic_stack 0
		.amdhsa_enable_private_segment 0
		.amdhsa_system_sgpr_workgroup_id_x 1
		.amdhsa_system_sgpr_workgroup_id_y 1
		.amdhsa_system_sgpr_workgroup_id_z 1
		.amdhsa_system_sgpr_workgroup_info 0
		.amdhsa_system_vgpr_workitem_id 2
		.amdhsa_next_free_vgpr 18
		.amdhsa_next_free_sgpr 39
		.amdhsa_named_barrier_count 0
		.amdhsa_reserve_vcc 1
		.amdhsa_float_round_mode_32 0
		.amdhsa_float_round_mode_16_64 0
		.amdhsa_float_denorm_mode_32 3
		.amdhsa_float_denorm_mode_16_64 3
		.amdhsa_fp16_overflow 0
		.amdhsa_memory_ordered 1
		.amdhsa_forward_progress 1
		.amdhsa_inst_pref_size 8
		.amdhsa_round_robin_scheduling 0
		.amdhsa_exception_fp_ieee_invalid_op 0
		.amdhsa_exception_fp_denorm_src 0
		.amdhsa_exception_fp_ieee_div_zero 0
		.amdhsa_exception_fp_ieee_overflow 0
		.amdhsa_exception_fp_ieee_underflow 0
		.amdhsa_exception_fp_ieee_inexact 0
		.amdhsa_exception_int_div_zero 0
	.end_amdhsa_kernel
	.section	.text._ZL11k_bin_bcastIXadL_ZL6op_addffEEfffJPKfS1_S1_S1_EEvPKT0_PKT1_PT2_iii15HIP_vector_typeIjLj3EESB_SB_SB_SB_iiiiiiiiiiiDpT3_,"axG",@progbits,_ZL11k_bin_bcastIXadL_ZL6op_addffEEfffJPKfS1_S1_S1_EEvPKT0_PKT1_PT2_iii15HIP_vector_typeIjLj3EESB_SB_SB_SB_iiiiiiiiiiiDpT3_,comdat
.Lfunc_end57:
	.size	_ZL11k_bin_bcastIXadL_ZL6op_addffEEfffJPKfS1_S1_S1_EEvPKT0_PKT1_PT2_iii15HIP_vector_typeIjLj3EESB_SB_SB_SB_iiiiiiiiiiiDpT3_, .Lfunc_end57-_ZL11k_bin_bcastIXadL_ZL6op_addffEEfffJPKfS1_S1_S1_EEvPKT0_PKT1_PT2_iii15HIP_vector_typeIjLj3EESB_SB_SB_SB_iiiiiiiiiiiDpT3_
                                        ; -- End function
	.set _ZL11k_bin_bcastIXadL_ZL6op_addffEEfffJPKfS1_S1_S1_EEvPKT0_PKT1_PT2_iii15HIP_vector_typeIjLj3EESB_SB_SB_SB_iiiiiiiiiiiDpT3_.num_vgpr, 18
	.set _ZL11k_bin_bcastIXadL_ZL6op_addffEEfffJPKfS1_S1_S1_EEvPKT0_PKT1_PT2_iii15HIP_vector_typeIjLj3EESB_SB_SB_SB_iiiiiiiiiiiDpT3_.num_agpr, 0
	.set _ZL11k_bin_bcastIXadL_ZL6op_addffEEfffJPKfS1_S1_S1_EEvPKT0_PKT1_PT2_iii15HIP_vector_typeIjLj3EESB_SB_SB_SB_iiiiiiiiiiiDpT3_.numbered_sgpr, 39
	.set _ZL11k_bin_bcastIXadL_ZL6op_addffEEfffJPKfS1_S1_S1_EEvPKT0_PKT1_PT2_iii15HIP_vector_typeIjLj3EESB_SB_SB_SB_iiiiiiiiiiiDpT3_.num_named_barrier, 0
	.set _ZL11k_bin_bcastIXadL_ZL6op_addffEEfffJPKfS1_S1_S1_EEvPKT0_PKT1_PT2_iii15HIP_vector_typeIjLj3EESB_SB_SB_SB_iiiiiiiiiiiDpT3_.private_seg_size, 0
	.set _ZL11k_bin_bcastIXadL_ZL6op_addffEEfffJPKfS1_S1_S1_EEvPKT0_PKT1_PT2_iii15HIP_vector_typeIjLj3EESB_SB_SB_SB_iiiiiiiiiiiDpT3_.uses_vcc, 1
	.set _ZL11k_bin_bcastIXadL_ZL6op_addffEEfffJPKfS1_S1_S1_EEvPKT0_PKT1_PT2_iii15HIP_vector_typeIjLj3EESB_SB_SB_SB_iiiiiiiiiiiDpT3_.uses_flat_scratch, 0
	.set _ZL11k_bin_bcastIXadL_ZL6op_addffEEfffJPKfS1_S1_S1_EEvPKT0_PKT1_PT2_iii15HIP_vector_typeIjLj3EESB_SB_SB_SB_iiiiiiiiiiiDpT3_.has_dyn_sized_stack, 0
	.set _ZL11k_bin_bcastIXadL_ZL6op_addffEEfffJPKfS1_S1_S1_EEvPKT0_PKT1_PT2_iii15HIP_vector_typeIjLj3EESB_SB_SB_SB_iiiiiiiiiiiDpT3_.has_recursion, 0
	.set _ZL11k_bin_bcastIXadL_ZL6op_addffEEfffJPKfS1_S1_S1_EEvPKT0_PKT1_PT2_iii15HIP_vector_typeIjLj3EESB_SB_SB_SB_iiiiiiiiiiiDpT3_.has_indirect_call, 0
	.section	.AMDGPU.csdata,"",@progbits
; Kernel info:
; codeLenInByte = 960
; TotalNumSgprs: 41
; NumVgprs: 18
; ScratchSize: 0
; MemoryBound: 0
; FloatMode: 240
; IeeeMode: 1
; LDSByteSize: 0 bytes/workgroup (compile time only)
; SGPRBlocks: 0
; VGPRBlocks: 1
; NumSGPRsForWavesPerEU: 41
; NumVGPRsForWavesPerEU: 18
; NamedBarCnt: 0
; Occupancy: 16
; WaveLimiterHint : 1
; COMPUTE_PGM_RSRC2:SCRATCH_EN: 0
; COMPUTE_PGM_RSRC2:USER_SGPR: 2
; COMPUTE_PGM_RSRC2:TRAP_HANDLER: 0
; COMPUTE_PGM_RSRC2:TGID_X_EN: 1
; COMPUTE_PGM_RSRC2:TGID_Y_EN: 1
; COMPUTE_PGM_RSRC2:TGID_Z_EN: 1
; COMPUTE_PGM_RSRC2:TIDIG_COMP_CNT: 2
	.section	.text._ZL19k_bin_bcast_unravelIXadL_ZL6op_addffEE6__halfS0_S0_JPKS0_S2_S2_S2_EEvPKT0_PKT1_PT2_15HIP_vector_typeIjLj3EESC_SC_jSC_SC_SC_SC_SC_SC_iiiiiiiiiiiDpT3_,"axG",@progbits,_ZL19k_bin_bcast_unravelIXadL_ZL6op_addffEE6__halfS0_S0_JPKS0_S2_S2_S2_EEvPKT0_PKT1_PT2_15HIP_vector_typeIjLj3EESC_SC_jSC_SC_SC_SC_SC_SC_iiiiiiiiiiiDpT3_,comdat
	.globl	_ZL19k_bin_bcast_unravelIXadL_ZL6op_addffEE6__halfS0_S0_JPKS0_S2_S2_S2_EEvPKT0_PKT1_PT2_15HIP_vector_typeIjLj3EESC_SC_jSC_SC_SC_SC_SC_SC_iiiiiiiiiiiDpT3_ ; -- Begin function _ZL19k_bin_bcast_unravelIXadL_ZL6op_addffEE6__halfS0_S0_JPKS0_S2_S2_S2_EEvPKT0_PKT1_PT2_15HIP_vector_typeIjLj3EESC_SC_jSC_SC_SC_SC_SC_SC_iiiiiiiiiiiDpT3_
	.p2align	8
	.type	_ZL19k_bin_bcast_unravelIXadL_ZL6op_addffEE6__halfS0_S0_JPKS0_S2_S2_S2_EEvPKT0_PKT1_PT2_15HIP_vector_typeIjLj3EESC_SC_jSC_SC_SC_SC_SC_SC_iiiiiiiiiiiDpT3_,@function
_ZL19k_bin_bcast_unravelIXadL_ZL6op_addffEE6__halfS0_S0_JPKS0_S2_S2_S2_EEvPKT0_PKT1_PT2_15HIP_vector_typeIjLj3EESC_SC_jSC_SC_SC_SC_SC_SC_iiiiiiiiiiiDpT3_: ; @_ZL19k_bin_bcast_unravelIXadL_ZL6op_addffEE6__halfS0_S0_JPKS0_S2_S2_S2_EEvPKT0_PKT1_PT2_15HIP_vector_typeIjLj3EESC_SC_jSC_SC_SC_SC_SC_SC_iiiiiiiiiiiDpT3_
; %bb.0:
	s_load_b32 s2, s[0:1], 0xe4
	s_bfe_u32 s3, ttmp6, 0x4000c
	s_load_b256 s[4:11], s[0:1], 0x38
	s_add_co_i32 s3, s3, 1
	s_and_b32 s12, ttmp6, 15
	s_mul_i32 s3, ttmp9, s3
	s_getreg_b32 s13, hwreg(HW_REG_IB_STS2, 6, 4)
	s_add_co_i32 s12, s12, s3
	s_wait_kmcnt 0x0
	s_and_b32 s2, s2, 0xffff
	s_cmp_eq_u32 s13, 0
	s_cselect_b32 s3, ttmp9, s12
	s_delay_alu instid0(SALU_CYCLE_1) | instskip(SKIP_1) | instid1(VALU_DEP_1)
	v_mad_u32 v0, s3, s2, v0
	s_load_b32 s2, s[0:1], 0x2c
	v_mul_hi_u32 v1, v0, s6
	s_delay_alu instid0(VALU_DEP_1) | instskip(NEXT) | instid1(VALU_DEP_1)
	v_add_nc_u32_e32 v1, v0, v1
	v_lshrrev_b32_e32 v1, s7, v1
	s_delay_alu instid0(VALU_DEP_1) | instskip(NEXT) | instid1(VALU_DEP_1)
	v_mul_lo_u32 v2, v1, s8
	v_sub_nc_u32_e32 v0, v0, v2
	s_delay_alu instid0(VALU_DEP_1) | instskip(NEXT) | instid1(VALU_DEP_1)
	v_mul_hi_u32 v2, v0, s9
	v_add_nc_u32_e32 v2, v0, v2
	s_delay_alu instid0(VALU_DEP_1) | instskip(SKIP_1) | instid1(VALU_DEP_1)
	v_lshrrev_b32_e32 v2, s10, v2
	s_load_b96 s[8:10], s[0:1], 0x18
	v_mul_lo_u32 v3, v2, s11
	s_delay_alu instid0(VALU_DEP_1) | instskip(SKIP_3) | instid1(VALU_DEP_3)
	v_sub_nc_u32_e32 v0, v0, v3
	v_cmp_gt_u32_e64 s3, s4, v2
	v_cmp_gt_u32_e64 s4, s5, v1
	s_wait_kmcnt 0x0
	v_mul_hi_u32 v3, v0, s8
	s_delay_alu instid0(VALU_DEP_1) | instskip(NEXT) | instid1(VALU_DEP_1)
	v_add_nc_u32_e32 v3, v0, v3
	v_lshrrev_b32_e32 v4, s9, v3
	s_delay_alu instid0(VALU_DEP_1) | instskip(NEXT) | instid1(VALU_DEP_1)
	v_mul_lo_u32 v3, v4, s10
	v_sub_nc_u32_e32 v0, v0, v3
	v_cmp_gt_u32_e64 s2, s2, v4
	s_delay_alu instid0(VALU_DEP_2) | instskip(SKIP_1) | instid1(SALU_CYCLE_1)
	v_cmp_gt_u32_e32 vcc_lo, s10, v0
	s_and_b32 s2, vcc_lo, s2
	s_and_b32 s2, s2, s3
	s_delay_alu instid0(SALU_CYCLE_1) | instskip(NEXT) | instid1(SALU_CYCLE_1)
	s_and_b32 s2, s4, s2
	s_and_saveexec_b32 s3, s2
	s_cbranch_execz .LBB58_4
; %bb.1:
	s_clause 0x4
	s_load_b64 s[2:3], s[0:1], 0x0
	s_load_b96 s[24:26], s[0:1], 0xa8
	s_load_b256 s[4:11], s[0:1], 0x88
	s_load_b128 s[20:23], s[0:1], 0x78
	s_load_b256 s[12:19], s[0:1], 0x58
	v_dual_mov_b32 v3, 0 :: v_dual_mov_b32 v5, 0
	s_wait_kmcnt 0x0
	s_cmp_eq_u64 s[2:3], 0
	s_cbranch_scc1 .LBB58_3
; %bb.2:
	v_mul_lo_u32 v5, v1, s10
	v_mov_b32_e32 v7, 0
	s_delay_alu instid0(VALU_DEP_2) | instskip(NEXT) | instid1(VALU_DEP_1)
	v_mad_u32 v5, v2, s9, v5
	v_mad_u32 v6, v4, s8, v5
	s_delay_alu instid0(VALU_DEP_1) | instskip(SKIP_1) | instid1(VALU_DEP_1)
	v_lshl_add_u64 v[8:9], v[6:7], 1, s[2:3]
	v_mul_lo_u32 v6, v0, s7
	v_lshl_add_u64 v[6:7], v[6:7], 1, v[8:9]
	global_load_u16 v5, v[6:7], off
	s_wait_loadcnt 0x0
	v_cvt_f32_f16_e32 v5, v5
.LBB58_3:
	v_mul_hi_u32 v6, s21, v1
	v_mul_hi_u32 v7, s18, v2
	;; [unrolled: 1-line block ×4, first 2 shown]
	s_delay_alu instid0(VALU_DEP_3) | instskip(NEXT) | instid1(VALU_DEP_1)
	v_dual_add_nc_u32 v6, v1, v6 :: v_dual_add_nc_u32 v7, v2, v7
	v_dual_lshrrev_b32 v6, s22, v6 :: v_dual_lshrrev_b32 v7, s19, v7
	s_delay_alu instid0(VALU_DEP_1) | instskip(SKIP_1) | instid1(VALU_DEP_3)
	v_mul_lo_u32 v6, v6, s23
	v_add_nc_u32_e32 v8, v4, v8
	v_mul_lo_u32 v7, v7, s20
	s_delay_alu instid0(VALU_DEP_3) | instskip(NEXT) | instid1(VALU_DEP_3)
	v_dual_sub_nc_u32 v6, v1, v6 :: v_dual_add_nc_u32 v9, v0, v9
	v_lshrrev_b32_e32 v8, s16, v8
	v_mul_lo_u32 v1, v1, s6
	s_delay_alu instid0(VALU_DEP_4) | instskip(NEXT) | instid1(VALU_DEP_4)
	v_sub_nc_u32_e32 v7, v2, v7
	v_mul_lo_u32 v6, v6, s26
	v_lshrrev_b32_e32 v9, s13, v9
	v_mul_lo_u32 v8, v8, s17
	s_delay_alu instid0(VALU_DEP_2) | instskip(SKIP_2) | instid1(VALU_DEP_4)
	v_mul_lo_u32 v9, v9, s14
	v_mad_u32 v1, v2, s5, v1
	v_mad_u32 v7, v7, s25, v6
	v_sub_nc_u32_e32 v8, v4, v8
	s_delay_alu instid0(VALU_DEP_1) | instskip(NEXT) | instid1(VALU_DEP_1)
	v_mad_u32 v8, v8, s24, v7
	v_dual_sub_nc_u32 v6, v0, v9 :: v_dual_ashrrev_i32 v9, 31, v8
	s_delay_alu instid0(VALU_DEP_1) | instskip(SKIP_1) | instid1(VALU_DEP_1)
	v_mul_lo_u32 v6, v6, s11
	s_load_b256 s[8:15], s[0:1], 0xb8
	v_ashrrev_i32_e32 v7, 31, v6
	s_wait_xcnt 0x0
	s_load_b64 s[0:1], s[0:1], 0x10
	s_delay_alu instid0(VALU_DEP_1) | instskip(NEXT) | instid1(VALU_DEP_1)
	v_add_nc_u64_e32 v[6:7], v[6:7], v[8:9]
	v_lshlrev_b64_e32 v[6:7], 1, v[6:7]
	s_wait_kmcnt 0x0
	s_delay_alu instid0(VALU_DEP_1)
	v_add_nc_u64_e32 v[8:9], s[8:9], v[6:7]
	v_add_nc_u64_e32 v[10:11], s[10:11], v[6:7]
	global_load_u16 v12, v[8:9], off
	s_wait_xcnt 0x0
	v_add_nc_u64_e32 v[8:9], s[12:13], v[6:7]
	global_load_u16 v10, v[10:11], off
	v_add_nc_u64_e32 v[6:7], s[14:15], v[6:7]
	global_load_u16 v11, v[8:9], off
	global_load_u16 v13, v[6:7], off
	s_wait_loadcnt 0x3
	v_cvt_f32_f16_e32 v2, v12
	s_wait_loadcnt 0x2
	s_wait_xcnt 0x0
	v_cvt_f32_f16_e32 v6, v10
	s_delay_alu instid0(VALU_DEP_2) | instskip(SKIP_3) | instid1(VALU_DEP_3)
	v_add_f32_e32 v5, v5, v2
	v_mad_u32 v2, v4, s4, v1
	s_wait_loadcnt 0x1
	v_cvt_f32_f16_e32 v1, v11
	v_add_f32_e32 v4, v5, v6
	s_wait_loadcnt 0x0
	v_cvt_f32_f16_e32 v5, v13
	s_delay_alu instid0(VALU_DEP_2) | instskip(SKIP_1) | instid1(VALU_DEP_2)
	v_dual_add_f32 v4, v4, v1 :: v_dual_mov_b32 v1, v3
	v_lshl_add_u64 v[2:3], v[2:3], 1, s[0:1]
	v_add_f32_e32 v4, v4, v5
	s_delay_alu instid0(VALU_DEP_2) | instskip(NEXT) | instid1(VALU_DEP_2)
	v_lshl_add_u64 v[0:1], v[0:1], 1, v[2:3]
	v_cvt_f16_f32_e32 v4, v4
	global_store_b16 v[0:1], v4, off
.LBB58_4:
	s_endpgm
	.section	.rodata,"a",@progbits
	.p2align	6, 0x0
	.amdhsa_kernel _ZL19k_bin_bcast_unravelIXadL_ZL6op_addffEE6__halfS0_S0_JPKS0_S2_S2_S2_EEvPKT0_PKT1_PT2_15HIP_vector_typeIjLj3EESC_SC_jSC_SC_SC_SC_SC_SC_iiiiiiiiiiiDpT3_
		.amdhsa_group_segment_fixed_size 0
		.amdhsa_private_segment_fixed_size 0
		.amdhsa_kernarg_size 472
		.amdhsa_user_sgpr_count 2
		.amdhsa_user_sgpr_dispatch_ptr 0
		.amdhsa_user_sgpr_queue_ptr 0
		.amdhsa_user_sgpr_kernarg_segment_ptr 1
		.amdhsa_user_sgpr_dispatch_id 0
		.amdhsa_user_sgpr_kernarg_preload_length 0
		.amdhsa_user_sgpr_kernarg_preload_offset 0
		.amdhsa_user_sgpr_private_segment_size 0
		.amdhsa_wavefront_size32 1
		.amdhsa_uses_dynamic_stack 0
		.amdhsa_enable_private_segment 0
		.amdhsa_system_sgpr_workgroup_id_x 1
		.amdhsa_system_sgpr_workgroup_id_y 0
		.amdhsa_system_sgpr_workgroup_id_z 0
		.amdhsa_system_sgpr_workgroup_info 0
		.amdhsa_system_vgpr_workitem_id 0
		.amdhsa_next_free_vgpr 14
		.amdhsa_next_free_sgpr 27
		.amdhsa_named_barrier_count 0
		.amdhsa_reserve_vcc 1
		.amdhsa_float_round_mode_32 0
		.amdhsa_float_round_mode_16_64 0
		.amdhsa_float_denorm_mode_32 3
		.amdhsa_float_denorm_mode_16_64 3
		.amdhsa_fp16_overflow 0
		.amdhsa_memory_ordered 1
		.amdhsa_forward_progress 1
		.amdhsa_inst_pref_size 7
		.amdhsa_round_robin_scheduling 0
		.amdhsa_exception_fp_ieee_invalid_op 0
		.amdhsa_exception_fp_denorm_src 0
		.amdhsa_exception_fp_ieee_div_zero 0
		.amdhsa_exception_fp_ieee_overflow 0
		.amdhsa_exception_fp_ieee_underflow 0
		.amdhsa_exception_fp_ieee_inexact 0
		.amdhsa_exception_int_div_zero 0
	.end_amdhsa_kernel
	.section	.text._ZL19k_bin_bcast_unravelIXadL_ZL6op_addffEE6__halfS0_S0_JPKS0_S2_S2_S2_EEvPKT0_PKT1_PT2_15HIP_vector_typeIjLj3EESC_SC_jSC_SC_SC_SC_SC_SC_iiiiiiiiiiiDpT3_,"axG",@progbits,_ZL19k_bin_bcast_unravelIXadL_ZL6op_addffEE6__halfS0_S0_JPKS0_S2_S2_S2_EEvPKT0_PKT1_PT2_15HIP_vector_typeIjLj3EESC_SC_jSC_SC_SC_SC_SC_SC_iiiiiiiiiiiDpT3_,comdat
.Lfunc_end58:
	.size	_ZL19k_bin_bcast_unravelIXadL_ZL6op_addffEE6__halfS0_S0_JPKS0_S2_S2_S2_EEvPKT0_PKT1_PT2_15HIP_vector_typeIjLj3EESC_SC_jSC_SC_SC_SC_SC_SC_iiiiiiiiiiiDpT3_, .Lfunc_end58-_ZL19k_bin_bcast_unravelIXadL_ZL6op_addffEE6__halfS0_S0_JPKS0_S2_S2_S2_EEvPKT0_PKT1_PT2_15HIP_vector_typeIjLj3EESC_SC_jSC_SC_SC_SC_SC_SC_iiiiiiiiiiiDpT3_
                                        ; -- End function
	.set _ZL19k_bin_bcast_unravelIXadL_ZL6op_addffEE6__halfS0_S0_JPKS0_S2_S2_S2_EEvPKT0_PKT1_PT2_15HIP_vector_typeIjLj3EESC_SC_jSC_SC_SC_SC_SC_SC_iiiiiiiiiiiDpT3_.num_vgpr, 14
	.set _ZL19k_bin_bcast_unravelIXadL_ZL6op_addffEE6__halfS0_S0_JPKS0_S2_S2_S2_EEvPKT0_PKT1_PT2_15HIP_vector_typeIjLj3EESC_SC_jSC_SC_SC_SC_SC_SC_iiiiiiiiiiiDpT3_.num_agpr, 0
	.set _ZL19k_bin_bcast_unravelIXadL_ZL6op_addffEE6__halfS0_S0_JPKS0_S2_S2_S2_EEvPKT0_PKT1_PT2_15HIP_vector_typeIjLj3EESC_SC_jSC_SC_SC_SC_SC_SC_iiiiiiiiiiiDpT3_.numbered_sgpr, 27
	.set _ZL19k_bin_bcast_unravelIXadL_ZL6op_addffEE6__halfS0_S0_JPKS0_S2_S2_S2_EEvPKT0_PKT1_PT2_15HIP_vector_typeIjLj3EESC_SC_jSC_SC_SC_SC_SC_SC_iiiiiiiiiiiDpT3_.num_named_barrier, 0
	.set _ZL19k_bin_bcast_unravelIXadL_ZL6op_addffEE6__halfS0_S0_JPKS0_S2_S2_S2_EEvPKT0_PKT1_PT2_15HIP_vector_typeIjLj3EESC_SC_jSC_SC_SC_SC_SC_SC_iiiiiiiiiiiDpT3_.private_seg_size, 0
	.set _ZL19k_bin_bcast_unravelIXadL_ZL6op_addffEE6__halfS0_S0_JPKS0_S2_S2_S2_EEvPKT0_PKT1_PT2_15HIP_vector_typeIjLj3EESC_SC_jSC_SC_SC_SC_SC_SC_iiiiiiiiiiiDpT3_.uses_vcc, 1
	.set _ZL19k_bin_bcast_unravelIXadL_ZL6op_addffEE6__halfS0_S0_JPKS0_S2_S2_S2_EEvPKT0_PKT1_PT2_15HIP_vector_typeIjLj3EESC_SC_jSC_SC_SC_SC_SC_SC_iiiiiiiiiiiDpT3_.uses_flat_scratch, 0
	.set _ZL19k_bin_bcast_unravelIXadL_ZL6op_addffEE6__halfS0_S0_JPKS0_S2_S2_S2_EEvPKT0_PKT1_PT2_15HIP_vector_typeIjLj3EESC_SC_jSC_SC_SC_SC_SC_SC_iiiiiiiiiiiDpT3_.has_dyn_sized_stack, 0
	.set _ZL19k_bin_bcast_unravelIXadL_ZL6op_addffEE6__halfS0_S0_JPKS0_S2_S2_S2_EEvPKT0_PKT1_PT2_15HIP_vector_typeIjLj3EESC_SC_jSC_SC_SC_SC_SC_SC_iiiiiiiiiiiDpT3_.has_recursion, 0
	.set _ZL19k_bin_bcast_unravelIXadL_ZL6op_addffEE6__halfS0_S0_JPKS0_S2_S2_S2_EEvPKT0_PKT1_PT2_15HIP_vector_typeIjLj3EESC_SC_jSC_SC_SC_SC_SC_SC_iiiiiiiiiiiDpT3_.has_indirect_call, 0
	.section	.AMDGPU.csdata,"",@progbits
; Kernel info:
; codeLenInByte = 844
; TotalNumSgprs: 29
; NumVgprs: 14
; ScratchSize: 0
; MemoryBound: 0
; FloatMode: 240
; IeeeMode: 1
; LDSByteSize: 0 bytes/workgroup (compile time only)
; SGPRBlocks: 0
; VGPRBlocks: 0
; NumSGPRsForWavesPerEU: 29
; NumVGPRsForWavesPerEU: 14
; NamedBarCnt: 0
; Occupancy: 16
; WaveLimiterHint : 1
; COMPUTE_PGM_RSRC2:SCRATCH_EN: 0
; COMPUTE_PGM_RSRC2:USER_SGPR: 2
; COMPUTE_PGM_RSRC2:TRAP_HANDLER: 0
; COMPUTE_PGM_RSRC2:TGID_X_EN: 1
; COMPUTE_PGM_RSRC2:TGID_Y_EN: 0
; COMPUTE_PGM_RSRC2:TGID_Z_EN: 0
; COMPUTE_PGM_RSRC2:TIDIG_COMP_CNT: 0
	.section	.text._ZL11k_bin_bcastIXadL_ZL6op_addffEE6__halfS0_S0_JPKS0_S2_S2_S2_EEvPKT0_PKT1_PT2_iii15HIP_vector_typeIjLj3EESC_SC_SC_SC_iiiiiiiiiiiDpT3_,"axG",@progbits,_ZL11k_bin_bcastIXadL_ZL6op_addffEE6__halfS0_S0_JPKS0_S2_S2_S2_EEvPKT0_PKT1_PT2_iii15HIP_vector_typeIjLj3EESC_SC_SC_SC_iiiiiiiiiiiDpT3_,comdat
	.globl	_ZL11k_bin_bcastIXadL_ZL6op_addffEE6__halfS0_S0_JPKS0_S2_S2_S2_EEvPKT0_PKT1_PT2_iii15HIP_vector_typeIjLj3EESC_SC_SC_SC_iiiiiiiiiiiDpT3_ ; -- Begin function _ZL11k_bin_bcastIXadL_ZL6op_addffEE6__halfS0_S0_JPKS0_S2_S2_S2_EEvPKT0_PKT1_PT2_iii15HIP_vector_typeIjLj3EESC_SC_SC_SC_iiiiiiiiiiiDpT3_
	.p2align	8
	.type	_ZL11k_bin_bcastIXadL_ZL6op_addffEE6__halfS0_S0_JPKS0_S2_S2_S2_EEvPKT0_PKT1_PT2_iii15HIP_vector_typeIjLj3EESC_SC_SC_SC_iiiiiiiiiiiDpT3_,@function
_ZL11k_bin_bcastIXadL_ZL6op_addffEE6__halfS0_S0_JPKS0_S2_S2_S2_EEvPKT0_PKT1_PT2_iii15HIP_vector_typeIjLj3EESC_SC_SC_SC_iiiiiiiiiiiDpT3_: ; @_ZL11k_bin_bcastIXadL_ZL6op_addffEE6__halfS0_S0_JPKS0_S2_S2_S2_EEvPKT0_PKT1_PT2_iii15HIP_vector_typeIjLj3EESC_SC_SC_SC_iiiiiiiiiiiDpT3_
; %bb.0:
	s_load_b64 s[2:3], s[0:1], 0xbc
	s_bfe_u32 s5, ttmp6, 0x40014
	s_bfe_u32 s16, ttmp6, 0x40010
	;; [unrolled: 1-line block ×3, first 2 shown]
	s_lshr_b32 s4, ttmp7, 16
	s_and_b32 s7, ttmp7, 0xffff
	s_add_co_i32 s5, s5, 1
	s_add_co_i32 s16, s16, 1
	s_load_b256 s[8:15], s[0:1], 0x18
	s_add_co_i32 s19, s19, 1
	s_bfe_u32 s6, ttmp6, 0x40008
	s_bfe_u32 s17, ttmp6, 0x40004
	s_mul_i32 s5, s4, s5
	s_mul_i32 s16, s7, s16
	s_and_b32 s18, ttmp6, 15
	s_mul_i32 s19, ttmp9, s19
	s_add_co_i32 s6, s6, s5
	s_add_co_i32 s17, s17, s16
	;; [unrolled: 1-line block ×3, first 2 shown]
	v_bfe_u32 v1, v0, 20, 10
	s_wait_kmcnt 0x0
	s_lshr_b32 s16, s2, 16
	s_and_b32 s5, s2, 0xffff
	s_getreg_b32 s2, hwreg(HW_REG_IB_STS2, 6, 4)
	s_and_b32 s3, s3, 0xffff
	s_cmp_eq_u32 s2, 0
	v_and_b32_e32 v2, 0x3ff, v0
	s_cselect_b32 s2, s4, s6
	v_bfe_u32 v4, v0, 10, 10
	v_mad_u32 v3, s2, s3, v1
	s_cselect_b32 s2, ttmp9, s18
	s_cselect_b32 s3, s7, s17
	v_mad_u32 v0, s2, s5, v2
	v_mad_u32 v2, s3, s16, v4
	s_delay_alu instid0(VALU_DEP_3) | instskip(NEXT) | instid1(VALU_DEP_3)
	v_mul_hi_u32 v1, v3, s11
	v_cmp_gt_u32_e32 vcc_lo, s8, v0
	s_delay_alu instid0(VALU_DEP_3) | instskip(SKIP_2) | instid1(VALU_DEP_1)
	v_cmp_gt_u32_e64 s2, s9, v2
	s_and_b32 s2, vcc_lo, s2
	v_add_nc_u32_e32 v1, v3, v1
	v_lshrrev_b32_e32 v1, s12, v1
	s_delay_alu instid0(VALU_DEP_1) | instskip(SKIP_3) | instid1(VALU_DEP_1)
	v_mul_lo_u32 v5, v1, s13
	v_cmp_gt_u32_e64 s3, s10, v1
	s_and_b32 s2, s2, s3
	v_sub_nc_u32_e32 v3, v3, v5
	v_cmp_gt_u32_e64 s4, s13, v3
	s_and_b32 s2, s2, s4
	s_delay_alu instid0(SALU_CYCLE_1)
	s_and_saveexec_b32 s3, s2
	s_cbranch_execz .LBB59_6
; %bb.1:
	v_cmp_gt_i32_e32 vcc_lo, s8, v0
	s_and_b32 exec_lo, exec_lo, vcc_lo
	s_cbranch_execz .LBB59_6
; %bb.2:
	s_clause 0x3
	s_load_b256 s[24:31], s[0:1], 0x3c
	s_load_b32 s2, s[0:1], 0x5c
	s_load_b256 s[16:23], s[0:1], 0x60
	s_load_b96 s[36:38], s[0:1], 0x80
	s_add_nc_u64 s[6:7], s[0:1], 0xb0
	s_load_b32 s4, s[6:7], 0x0
	s_clause 0x1
	s_load_b32 s9, s[0:1], 0x38
	s_load_b64 s[10:11], s[0:1], 0x10
	s_wait_kmcnt 0x0
	v_mul_hi_u32 v4, s30, v3
	v_mul_hi_u32 v5, s27, v1
	;; [unrolled: 1-line block ×3, first 2 shown]
	v_mul_lo_u32 v7, v2, s20
	v_mul_lo_u32 v8, v2, s16
	s_delay_alu instid0(VALU_DEP_4) | instskip(NEXT) | instid1(VALU_DEP_3)
	v_dual_add_nc_u32 v4, v3, v4 :: v_dual_add_nc_u32 v5, v1, v5
	v_mad_u32 v7, v1, s21, v7
	s_delay_alu instid0(VALU_DEP_3) | instskip(NEXT) | instid1(VALU_DEP_3)
	v_mad_u32 v8, v1, s17, v8
	v_dual_lshrrev_b32 v4, s31, v4 :: v_dual_lshrrev_b32 v5, s28, v5
	s_delay_alu instid0(VALU_DEP_1) | instskip(SKIP_1) | instid1(VALU_DEP_3)
	v_mul_lo_u32 v4, v4, s2
	v_add_nc_u32_e32 v6, v2, v6
	v_mul_lo_u32 v5, v5, s29
	s_load_b64 s[2:3], s[0:1], 0x0
	v_mad_u32 v8, v3, s18, v8
	s_delay_alu instid0(VALU_DEP_3) | instskip(NEXT) | instid1(VALU_DEP_3)
	v_dual_sub_nc_u32 v4, v3, v4 :: v_dual_lshrrev_b32 v6, s25, v6
	v_sub_nc_u32_e32 v5, v1, v5
	s_delay_alu instid0(VALU_DEP_2) | instskip(NEXT) | instid1(VALU_DEP_3)
	v_mul_lo_u32 v9, v4, s38
	v_mul_lo_u32 v6, v6, s26
	v_mad_u32 v4, v3, s22, v7
	s_load_b256 s[24:31], s[0:1], 0x90
	v_mov_b32_e32 v1, 0
	s_wait_xcnt 0x0
	s_mov_b32 s1, 0
	s_mov_b32 s0, s14
	s_wait_kmcnt 0x0
	s_cmp_lg_u64 s[2:3], 0
	s_mov_b32 s6, s1
	v_mad_u32 v7, v5, s37, v9
	v_sub_nc_u32_e32 v2, v2, v6
	v_mul_lo_u32 v6, s19, v0
	v_dual_mov_b32 v5, v1 :: v_dual_mov_b32 v9, v1
	v_mov_b32_e32 v3, v1
	s_delay_alu instid0(VALU_DEP_2) | instskip(NEXT) | instid1(VALU_DEP_3)
	v_lshl_add_u64 v[4:5], v[4:5], 1, s[2:3]
	v_lshl_add_u64 v[8:9], v[8:9], 1, s[10:11]
	s_mul_i32 s2, s4, s5
	v_mad_u32 v2, v2, s36, v7
	s_cselect_b32 s3, -1, 0
	s_mul_i32 s4, s2, s19
	s_sub_co_i32 s5, 0, s9
	s_branch .LBB59_4
.LBB59_3:                               ;   in Loop: Header=BB59_4 Depth=1
	s_wait_xcnt 0x0
	v_mul_u64_e32 v[10:11], s[0:1], v[0:1]
	s_delay_alu instid0(VALU_DEP_1) | instskip(NEXT) | instid1(VALU_DEP_1)
	v_dual_add_nc_u32 v6, s4, v6 :: v_dual_add_nc_u32 v10, v0, v11
	v_dual_mov_b32 v11, v1 :: v_dual_lshrrev_b32 v10, s15, v10
	s_delay_alu instid0(VALU_DEP_1) | instskip(NEXT) | instid1(VALU_DEP_1)
	v_mad_u32 v10, s5, v10, v0
	v_mul_lo_u32 v10, v10, s23
	s_delay_alu instid0(VALU_DEP_1) | instskip(NEXT) | instid1(VALU_DEP_1)
	v_add_nc_u64_e32 v[10:11], v[10:11], v[2:3]
	v_lshlrev_b64_e32 v[10:11], 1, v[10:11]
	s_delay_alu instid0(VALU_DEP_1)
	v_add_nc_u64_e32 v[12:13], s[24:25], v[10:11]
	v_add_nc_u64_e32 v[14:15], s[26:27], v[10:11]
	global_load_u16 v16, v[12:13], off
	s_wait_xcnt 0x0
	v_add_nc_u64_e32 v[12:13], s[28:29], v[10:11]
	global_load_u16 v14, v[14:15], off
	v_add_nc_u64_e32 v[10:11], s[30:31], v[10:11]
	global_load_u16 v15, v[12:13], off
	global_load_u16 v17, v[10:11], off
	s_wait_loadcnt 0x3
	s_wait_xcnt 0x0
	v_cvt_f32_f16_e32 v10, v16
	s_wait_loadcnt 0x2
	v_cvt_f32_f16_e32 v11, v14
	s_delay_alu instid0(VALU_DEP_2)
	v_add_f32_e32 v7, v7, v10
	s_wait_loadcnt 0x1
	v_cvt_f32_f16_e32 v10, v15
	s_wait_loadcnt 0x0
	v_cvt_f32_f16_e32 v12, v17
	v_dual_add_f32 v7, v7, v11 :: v_dual_ashrrev_i32 v11, 31, v0
	s_delay_alu instid0(VALU_DEP_1) | instskip(SKIP_1) | instid1(VALU_DEP_2)
	v_dual_add_f32 v7, v7, v10 :: v_dual_mov_b32 v10, v0
	v_add_nc_u32_e32 v0, s2, v0
	v_add_f32_e32 v7, v7, v12
	s_delay_alu instid0(VALU_DEP_3) | instskip(NEXT) | instid1(VALU_DEP_3)
	v_lshl_add_u64 v[10:11], v[10:11], 1, v[8:9]
	v_cmp_le_i32_e32 vcc_lo, s8, v0
	s_delay_alu instid0(VALU_DEP_3)
	v_cvt_f16_f32_e32 v7, v7
	s_or_b32 s6, vcc_lo, s6
	global_store_b16 v[10:11], v7, off
	s_wait_xcnt 0x0
	s_and_not1_b32 exec_lo, exec_lo, s6
	s_cbranch_execz .LBB59_6
.LBB59_4:                               ; =>This Inner Loop Header: Depth=1
	v_mov_b32_e32 v7, 0
	s_and_not1_b32 vcc_lo, exec_lo, s3
	s_cbranch_vccnz .LBB59_3
; %bb.5:                                ;   in Loop: Header=BB59_4 Depth=1
	v_ashrrev_i32_e32 v7, 31, v6
	s_delay_alu instid0(VALU_DEP_1)
	v_lshl_add_u64 v[10:11], v[6:7], 1, v[4:5]
	global_load_u16 v7, v[10:11], off
	s_wait_loadcnt 0x0
	v_cvt_f32_f16_e32 v7, v7
	s_branch .LBB59_3
.LBB59_6:
	s_endpgm
	.section	.rodata,"a",@progbits
	.p2align	6, 0x0
	.amdhsa_kernel _ZL11k_bin_bcastIXadL_ZL6op_addffEE6__halfS0_S0_JPKS0_S2_S2_S2_EEvPKT0_PKT1_PT2_iii15HIP_vector_typeIjLj3EESC_SC_SC_SC_iiiiiiiiiiiDpT3_
		.amdhsa_group_segment_fixed_size 0
		.amdhsa_private_segment_fixed_size 0
		.amdhsa_kernarg_size 432
		.amdhsa_user_sgpr_count 2
		.amdhsa_user_sgpr_dispatch_ptr 0
		.amdhsa_user_sgpr_queue_ptr 0
		.amdhsa_user_sgpr_kernarg_segment_ptr 1
		.amdhsa_user_sgpr_dispatch_id 0
		.amdhsa_user_sgpr_kernarg_preload_length 0
		.amdhsa_user_sgpr_kernarg_preload_offset 0
		.amdhsa_user_sgpr_private_segment_size 0
		.amdhsa_wavefront_size32 1
		.amdhsa_uses_dynamic_stack 0
		.amdhsa_enable_private_segment 0
		.amdhsa_system_sgpr_workgroup_id_x 1
		.amdhsa_system_sgpr_workgroup_id_y 1
		.amdhsa_system_sgpr_workgroup_id_z 1
		.amdhsa_system_sgpr_workgroup_info 0
		.amdhsa_system_vgpr_workitem_id 2
		.amdhsa_next_free_vgpr 18
		.amdhsa_next_free_sgpr 39
		.amdhsa_named_barrier_count 0
		.amdhsa_reserve_vcc 1
		.amdhsa_float_round_mode_32 0
		.amdhsa_float_round_mode_16_64 0
		.amdhsa_float_denorm_mode_32 3
		.amdhsa_float_denorm_mode_16_64 3
		.amdhsa_fp16_overflow 0
		.amdhsa_memory_ordered 1
		.amdhsa_forward_progress 1
		.amdhsa_inst_pref_size 8
		.amdhsa_round_robin_scheduling 0
		.amdhsa_exception_fp_ieee_invalid_op 0
		.amdhsa_exception_fp_denorm_src 0
		.amdhsa_exception_fp_ieee_div_zero 0
		.amdhsa_exception_fp_ieee_overflow 0
		.amdhsa_exception_fp_ieee_underflow 0
		.amdhsa_exception_fp_ieee_inexact 0
		.amdhsa_exception_int_div_zero 0
	.end_amdhsa_kernel
	.section	.text._ZL11k_bin_bcastIXadL_ZL6op_addffEE6__halfS0_S0_JPKS0_S2_S2_S2_EEvPKT0_PKT1_PT2_iii15HIP_vector_typeIjLj3EESC_SC_SC_SC_iiiiiiiiiiiDpT3_,"axG",@progbits,_ZL11k_bin_bcastIXadL_ZL6op_addffEE6__halfS0_S0_JPKS0_S2_S2_S2_EEvPKT0_PKT1_PT2_iii15HIP_vector_typeIjLj3EESC_SC_SC_SC_iiiiiiiiiiiDpT3_,comdat
.Lfunc_end59:
	.size	_ZL11k_bin_bcastIXadL_ZL6op_addffEE6__halfS0_S0_JPKS0_S2_S2_S2_EEvPKT0_PKT1_PT2_iii15HIP_vector_typeIjLj3EESC_SC_SC_SC_iiiiiiiiiiiDpT3_, .Lfunc_end59-_ZL11k_bin_bcastIXadL_ZL6op_addffEE6__halfS0_S0_JPKS0_S2_S2_S2_EEvPKT0_PKT1_PT2_iii15HIP_vector_typeIjLj3EESC_SC_SC_SC_iiiiiiiiiiiDpT3_
                                        ; -- End function
	.set _ZL11k_bin_bcastIXadL_ZL6op_addffEE6__halfS0_S0_JPKS0_S2_S2_S2_EEvPKT0_PKT1_PT2_iii15HIP_vector_typeIjLj3EESC_SC_SC_SC_iiiiiiiiiiiDpT3_.num_vgpr, 18
	.set _ZL11k_bin_bcastIXadL_ZL6op_addffEE6__halfS0_S0_JPKS0_S2_S2_S2_EEvPKT0_PKT1_PT2_iii15HIP_vector_typeIjLj3EESC_SC_SC_SC_iiiiiiiiiiiDpT3_.num_agpr, 0
	.set _ZL11k_bin_bcastIXadL_ZL6op_addffEE6__halfS0_S0_JPKS0_S2_S2_S2_EEvPKT0_PKT1_PT2_iii15HIP_vector_typeIjLj3EESC_SC_SC_SC_iiiiiiiiiiiDpT3_.numbered_sgpr, 39
	.set _ZL11k_bin_bcastIXadL_ZL6op_addffEE6__halfS0_S0_JPKS0_S2_S2_S2_EEvPKT0_PKT1_PT2_iii15HIP_vector_typeIjLj3EESC_SC_SC_SC_iiiiiiiiiiiDpT3_.num_named_barrier, 0
	.set _ZL11k_bin_bcastIXadL_ZL6op_addffEE6__halfS0_S0_JPKS0_S2_S2_S2_EEvPKT0_PKT1_PT2_iii15HIP_vector_typeIjLj3EESC_SC_SC_SC_iiiiiiiiiiiDpT3_.private_seg_size, 0
	.set _ZL11k_bin_bcastIXadL_ZL6op_addffEE6__halfS0_S0_JPKS0_S2_S2_S2_EEvPKT0_PKT1_PT2_iii15HIP_vector_typeIjLj3EESC_SC_SC_SC_iiiiiiiiiiiDpT3_.uses_vcc, 1
	.set _ZL11k_bin_bcastIXadL_ZL6op_addffEE6__halfS0_S0_JPKS0_S2_S2_S2_EEvPKT0_PKT1_PT2_iii15HIP_vector_typeIjLj3EESC_SC_SC_SC_iiiiiiiiiiiDpT3_.uses_flat_scratch, 0
	.set _ZL11k_bin_bcastIXadL_ZL6op_addffEE6__halfS0_S0_JPKS0_S2_S2_S2_EEvPKT0_PKT1_PT2_iii15HIP_vector_typeIjLj3EESC_SC_SC_SC_iiiiiiiiiiiDpT3_.has_dyn_sized_stack, 0
	.set _ZL11k_bin_bcastIXadL_ZL6op_addffEE6__halfS0_S0_JPKS0_S2_S2_S2_EEvPKT0_PKT1_PT2_iii15HIP_vector_typeIjLj3EESC_SC_SC_SC_iiiiiiiiiiiDpT3_.has_recursion, 0
	.set _ZL11k_bin_bcastIXadL_ZL6op_addffEE6__halfS0_S0_JPKS0_S2_S2_S2_EEvPKT0_PKT1_PT2_iii15HIP_vector_typeIjLj3EESC_SC_SC_SC_iiiiiiiiiiiDpT3_.has_indirect_call, 0
	.section	.AMDGPU.csdata,"",@progbits
; Kernel info:
; codeLenInByte = 996
; TotalNumSgprs: 41
; NumVgprs: 18
; ScratchSize: 0
; MemoryBound: 0
; FloatMode: 240
; IeeeMode: 1
; LDSByteSize: 0 bytes/workgroup (compile time only)
; SGPRBlocks: 0
; VGPRBlocks: 1
; NumSGPRsForWavesPerEU: 41
; NumVGPRsForWavesPerEU: 18
; NamedBarCnt: 0
; Occupancy: 16
; WaveLimiterHint : 1
; COMPUTE_PGM_RSRC2:SCRATCH_EN: 0
; COMPUTE_PGM_RSRC2:USER_SGPR: 2
; COMPUTE_PGM_RSRC2:TRAP_HANDLER: 0
; COMPUTE_PGM_RSRC2:TGID_X_EN: 1
; COMPUTE_PGM_RSRC2:TGID_Y_EN: 1
; COMPUTE_PGM_RSRC2:TGID_Z_EN: 1
; COMPUTE_PGM_RSRC2:TIDIG_COMP_CNT: 2
	.section	.text._ZL19k_bin_bcast_unravelIXadL_ZL6op_addffEE6__halffS0_JPKfS2_S2_S2_EEvPKT0_PKT1_PT2_15HIP_vector_typeIjLj3EESC_SC_jSC_SC_SC_SC_SC_SC_iiiiiiiiiiiDpT3_,"axG",@progbits,_ZL19k_bin_bcast_unravelIXadL_ZL6op_addffEE6__halffS0_JPKfS2_S2_S2_EEvPKT0_PKT1_PT2_15HIP_vector_typeIjLj3EESC_SC_jSC_SC_SC_SC_SC_SC_iiiiiiiiiiiDpT3_,comdat
	.globl	_ZL19k_bin_bcast_unravelIXadL_ZL6op_addffEE6__halffS0_JPKfS2_S2_S2_EEvPKT0_PKT1_PT2_15HIP_vector_typeIjLj3EESC_SC_jSC_SC_SC_SC_SC_SC_iiiiiiiiiiiDpT3_ ; -- Begin function _ZL19k_bin_bcast_unravelIXadL_ZL6op_addffEE6__halffS0_JPKfS2_S2_S2_EEvPKT0_PKT1_PT2_15HIP_vector_typeIjLj3EESC_SC_jSC_SC_SC_SC_SC_SC_iiiiiiiiiiiDpT3_
	.p2align	8
	.type	_ZL19k_bin_bcast_unravelIXadL_ZL6op_addffEE6__halffS0_JPKfS2_S2_S2_EEvPKT0_PKT1_PT2_15HIP_vector_typeIjLj3EESC_SC_jSC_SC_SC_SC_SC_SC_iiiiiiiiiiiDpT3_,@function
_ZL19k_bin_bcast_unravelIXadL_ZL6op_addffEE6__halffS0_JPKfS2_S2_S2_EEvPKT0_PKT1_PT2_15HIP_vector_typeIjLj3EESC_SC_jSC_SC_SC_SC_SC_SC_iiiiiiiiiiiDpT3_: ; @_ZL19k_bin_bcast_unravelIXadL_ZL6op_addffEE6__halffS0_JPKfS2_S2_S2_EEvPKT0_PKT1_PT2_15HIP_vector_typeIjLj3EESC_SC_jSC_SC_SC_SC_SC_SC_iiiiiiiiiiiDpT3_
; %bb.0:
	s_load_b32 s2, s[0:1], 0xe4
	s_bfe_u32 s3, ttmp6, 0x4000c
	s_load_b256 s[4:11], s[0:1], 0x38
	s_add_co_i32 s3, s3, 1
	s_and_b32 s12, ttmp6, 15
	s_mul_i32 s3, ttmp9, s3
	s_getreg_b32 s13, hwreg(HW_REG_IB_STS2, 6, 4)
	s_add_co_i32 s12, s12, s3
	s_wait_kmcnt 0x0
	s_and_b32 s2, s2, 0xffff
	s_cmp_eq_u32 s13, 0
	s_cselect_b32 s3, ttmp9, s12
	s_delay_alu instid0(SALU_CYCLE_1) | instskip(SKIP_1) | instid1(VALU_DEP_1)
	v_mad_u32 v0, s3, s2, v0
	s_load_b32 s2, s[0:1], 0x2c
	v_mul_hi_u32 v1, v0, s6
	s_delay_alu instid0(VALU_DEP_1) | instskip(NEXT) | instid1(VALU_DEP_1)
	v_add_nc_u32_e32 v1, v0, v1
	v_lshrrev_b32_e32 v1, s7, v1
	s_delay_alu instid0(VALU_DEP_1) | instskip(NEXT) | instid1(VALU_DEP_1)
	v_mul_lo_u32 v2, v1, s8
	v_sub_nc_u32_e32 v0, v0, v2
	s_delay_alu instid0(VALU_DEP_1) | instskip(NEXT) | instid1(VALU_DEP_1)
	v_mul_hi_u32 v2, v0, s9
	v_add_nc_u32_e32 v2, v0, v2
	s_delay_alu instid0(VALU_DEP_1) | instskip(SKIP_1) | instid1(VALU_DEP_1)
	v_lshrrev_b32_e32 v2, s10, v2
	s_load_b96 s[8:10], s[0:1], 0x18
	v_mul_lo_u32 v3, v2, s11
	s_delay_alu instid0(VALU_DEP_1) | instskip(SKIP_3) | instid1(VALU_DEP_3)
	v_sub_nc_u32_e32 v0, v0, v3
	v_cmp_gt_u32_e64 s3, s4, v2
	v_cmp_gt_u32_e64 s4, s5, v1
	s_wait_kmcnt 0x0
	v_mul_hi_u32 v3, v0, s8
	s_delay_alu instid0(VALU_DEP_1) | instskip(NEXT) | instid1(VALU_DEP_1)
	v_add_nc_u32_e32 v3, v0, v3
	v_lshrrev_b32_e32 v4, s9, v3
	s_delay_alu instid0(VALU_DEP_1) | instskip(NEXT) | instid1(VALU_DEP_1)
	v_mul_lo_u32 v3, v4, s10
	v_sub_nc_u32_e32 v0, v0, v3
	v_cmp_gt_u32_e64 s2, s2, v4
	s_delay_alu instid0(VALU_DEP_2) | instskip(SKIP_1) | instid1(SALU_CYCLE_1)
	v_cmp_gt_u32_e32 vcc_lo, s10, v0
	s_and_b32 s2, vcc_lo, s2
	s_and_b32 s2, s2, s3
	s_delay_alu instid0(SALU_CYCLE_1) | instskip(NEXT) | instid1(SALU_CYCLE_1)
	s_and_b32 s2, s4, s2
	s_and_saveexec_b32 s3, s2
	s_cbranch_execz .LBB60_4
; %bb.1:
	s_clause 0x4
	s_load_b64 s[2:3], s[0:1], 0x0
	s_load_b96 s[24:26], s[0:1], 0xa8
	s_load_b256 s[4:11], s[0:1], 0x88
	s_load_b128 s[20:23], s[0:1], 0x78
	s_load_b256 s[12:19], s[0:1], 0x58
	v_dual_mov_b32 v3, 0 :: v_dual_mov_b32 v5, 0
	s_wait_kmcnt 0x0
	s_cmp_eq_u64 s[2:3], 0
	s_cbranch_scc1 .LBB60_3
; %bb.2:
	v_mul_lo_u32 v5, v1, s10
	v_mov_b32_e32 v7, 0
	s_delay_alu instid0(VALU_DEP_2) | instskip(NEXT) | instid1(VALU_DEP_1)
	v_mad_u32 v5, v2, s9, v5
	v_mad_u32 v6, v4, s8, v5
	s_delay_alu instid0(VALU_DEP_1) | instskip(SKIP_1) | instid1(VALU_DEP_1)
	v_lshl_add_u64 v[8:9], v[6:7], 1, s[2:3]
	v_mul_lo_u32 v6, v0, s7
	v_lshl_add_u64 v[6:7], v[6:7], 1, v[8:9]
	global_load_u16 v5, v[6:7], off
	s_wait_loadcnt 0x0
	v_cvt_f32_f16_e32 v5, v5
.LBB60_3:
	v_mul_hi_u32 v6, s21, v1
	v_mul_hi_u32 v7, s18, v2
	;; [unrolled: 1-line block ×4, first 2 shown]
	s_delay_alu instid0(VALU_DEP_3) | instskip(NEXT) | instid1(VALU_DEP_1)
	v_dual_add_nc_u32 v6, v1, v6 :: v_dual_add_nc_u32 v7, v2, v7
	v_dual_lshrrev_b32 v6, s22, v6 :: v_dual_lshrrev_b32 v7, s19, v7
	s_delay_alu instid0(VALU_DEP_1) | instskip(SKIP_1) | instid1(VALU_DEP_3)
	v_mul_lo_u32 v6, v6, s23
	v_add_nc_u32_e32 v8, v4, v8
	v_mul_lo_u32 v7, v7, s20
	s_delay_alu instid0(VALU_DEP_3) | instskip(NEXT) | instid1(VALU_DEP_3)
	v_dual_sub_nc_u32 v6, v1, v6 :: v_dual_add_nc_u32 v9, v0, v9
	v_lshrrev_b32_e32 v8, s16, v8
	v_mul_lo_u32 v1, v1, s6
	s_delay_alu instid0(VALU_DEP_4) | instskip(NEXT) | instid1(VALU_DEP_4)
	v_sub_nc_u32_e32 v7, v2, v7
	v_mul_lo_u32 v6, v6, s26
	v_lshrrev_b32_e32 v9, s13, v9
	v_mul_lo_u32 v8, v8, s17
	s_delay_alu instid0(VALU_DEP_2) | instskip(SKIP_2) | instid1(VALU_DEP_4)
	v_mul_lo_u32 v9, v9, s14
	v_mad_u32 v1, v2, s5, v1
	v_mad_u32 v7, v7, s25, v6
	v_sub_nc_u32_e32 v8, v4, v8
	s_delay_alu instid0(VALU_DEP_3) | instskip(NEXT) | instid1(VALU_DEP_2)
	v_mad_u32 v2, v4, s4, v1
	v_mad_u32 v8, v8, s24, v7
	s_delay_alu instid0(VALU_DEP_1) | instskip(NEXT) | instid1(VALU_DEP_1)
	v_dual_sub_nc_u32 v6, v0, v9 :: v_dual_ashrrev_i32 v9, 31, v8
	v_mul_lo_u32 v6, v6, s11
	s_load_b256 s[8:15], s[0:1], 0xb8
	s_delay_alu instid0(VALU_DEP_1) | instskip(SKIP_2) | instid1(VALU_DEP_1)
	v_ashrrev_i32_e32 v7, 31, v6
	s_wait_xcnt 0x0
	s_load_b64 s[0:1], s[0:1], 0x10
	v_add_nc_u64_e32 v[6:7], v[6:7], v[8:9]
	s_delay_alu instid0(VALU_DEP_1) | instskip(SKIP_1) | instid1(VALU_DEP_1)
	v_lshlrev_b64_e32 v[6:7], 2, v[6:7]
	s_wait_kmcnt 0x0
	v_add_nc_u64_e32 v[8:9], s[8:9], v[6:7]
	v_add_nc_u64_e32 v[10:11], s[10:11], v[6:7]
	global_load_b32 v12, v[8:9], off
	s_wait_xcnt 0x0
	v_add_nc_u64_e32 v[8:9], s[12:13], v[6:7]
	global_load_b32 v10, v[10:11], off
	v_add_nc_u64_e32 v[6:7], s[14:15], v[6:7]
	global_load_b32 v11, v[8:9], off
	global_load_b32 v13, v[6:7], off
	s_wait_loadcnt 0x3
	v_add_f32_e32 v5, v5, v12
	s_wait_loadcnt 0x2
	s_delay_alu instid0(VALU_DEP_1) | instskip(SKIP_1) | instid1(VALU_DEP_1)
	v_add_f32_e32 v1, v5, v10
	s_wait_loadcnt 0x1
	v_dual_add_f32 v4, v1, v11 :: v_dual_mov_b32 v1, v3
	v_lshl_add_u64 v[2:3], v[2:3], 1, s[0:1]
	s_wait_loadcnt 0x0
	s_delay_alu instid0(VALU_DEP_2) | instskip(NEXT) | instid1(VALU_DEP_2)
	v_add_f32_e32 v4, v4, v13
	v_lshl_add_u64 v[0:1], v[0:1], 1, v[2:3]
	s_delay_alu instid0(VALU_DEP_2)
	v_cvt_f16_f32_e32 v4, v4
	global_store_b16 v[0:1], v4, off
.LBB60_4:
	s_endpgm
	.section	.rodata,"a",@progbits
	.p2align	6, 0x0
	.amdhsa_kernel _ZL19k_bin_bcast_unravelIXadL_ZL6op_addffEE6__halffS0_JPKfS2_S2_S2_EEvPKT0_PKT1_PT2_15HIP_vector_typeIjLj3EESC_SC_jSC_SC_SC_SC_SC_SC_iiiiiiiiiiiDpT3_
		.amdhsa_group_segment_fixed_size 0
		.amdhsa_private_segment_fixed_size 0
		.amdhsa_kernarg_size 472
		.amdhsa_user_sgpr_count 2
		.amdhsa_user_sgpr_dispatch_ptr 0
		.amdhsa_user_sgpr_queue_ptr 0
		.amdhsa_user_sgpr_kernarg_segment_ptr 1
		.amdhsa_user_sgpr_dispatch_id 0
		.amdhsa_user_sgpr_kernarg_preload_length 0
		.amdhsa_user_sgpr_kernarg_preload_offset 0
		.amdhsa_user_sgpr_private_segment_size 0
		.amdhsa_wavefront_size32 1
		.amdhsa_uses_dynamic_stack 0
		.amdhsa_enable_private_segment 0
		.amdhsa_system_sgpr_workgroup_id_x 1
		.amdhsa_system_sgpr_workgroup_id_y 0
		.amdhsa_system_sgpr_workgroup_id_z 0
		.amdhsa_system_sgpr_workgroup_info 0
		.amdhsa_system_vgpr_workitem_id 0
		.amdhsa_next_free_vgpr 14
		.amdhsa_next_free_sgpr 27
		.amdhsa_named_barrier_count 0
		.amdhsa_reserve_vcc 1
		.amdhsa_float_round_mode_32 0
		.amdhsa_float_round_mode_16_64 0
		.amdhsa_float_denorm_mode_32 3
		.amdhsa_float_denorm_mode_16_64 3
		.amdhsa_fp16_overflow 0
		.amdhsa_memory_ordered 1
		.amdhsa_forward_progress 1
		.amdhsa_inst_pref_size 7
		.amdhsa_round_robin_scheduling 0
		.amdhsa_exception_fp_ieee_invalid_op 0
		.amdhsa_exception_fp_denorm_src 0
		.amdhsa_exception_fp_ieee_div_zero 0
		.amdhsa_exception_fp_ieee_overflow 0
		.amdhsa_exception_fp_ieee_underflow 0
		.amdhsa_exception_fp_ieee_inexact 0
		.amdhsa_exception_int_div_zero 0
	.end_amdhsa_kernel
	.section	.text._ZL19k_bin_bcast_unravelIXadL_ZL6op_addffEE6__halffS0_JPKfS2_S2_S2_EEvPKT0_PKT1_PT2_15HIP_vector_typeIjLj3EESC_SC_jSC_SC_SC_SC_SC_SC_iiiiiiiiiiiDpT3_,"axG",@progbits,_ZL19k_bin_bcast_unravelIXadL_ZL6op_addffEE6__halffS0_JPKfS2_S2_S2_EEvPKT0_PKT1_PT2_15HIP_vector_typeIjLj3EESC_SC_jSC_SC_SC_SC_SC_SC_iiiiiiiiiiiDpT3_,comdat
.Lfunc_end60:
	.size	_ZL19k_bin_bcast_unravelIXadL_ZL6op_addffEE6__halffS0_JPKfS2_S2_S2_EEvPKT0_PKT1_PT2_15HIP_vector_typeIjLj3EESC_SC_jSC_SC_SC_SC_SC_SC_iiiiiiiiiiiDpT3_, .Lfunc_end60-_ZL19k_bin_bcast_unravelIXadL_ZL6op_addffEE6__halffS0_JPKfS2_S2_S2_EEvPKT0_PKT1_PT2_15HIP_vector_typeIjLj3EESC_SC_jSC_SC_SC_SC_SC_SC_iiiiiiiiiiiDpT3_
                                        ; -- End function
	.set _ZL19k_bin_bcast_unravelIXadL_ZL6op_addffEE6__halffS0_JPKfS2_S2_S2_EEvPKT0_PKT1_PT2_15HIP_vector_typeIjLj3EESC_SC_jSC_SC_SC_SC_SC_SC_iiiiiiiiiiiDpT3_.num_vgpr, 14
	.set _ZL19k_bin_bcast_unravelIXadL_ZL6op_addffEE6__halffS0_JPKfS2_S2_S2_EEvPKT0_PKT1_PT2_15HIP_vector_typeIjLj3EESC_SC_jSC_SC_SC_SC_SC_SC_iiiiiiiiiiiDpT3_.num_agpr, 0
	.set _ZL19k_bin_bcast_unravelIXadL_ZL6op_addffEE6__halffS0_JPKfS2_S2_S2_EEvPKT0_PKT1_PT2_15HIP_vector_typeIjLj3EESC_SC_jSC_SC_SC_SC_SC_SC_iiiiiiiiiiiDpT3_.numbered_sgpr, 27
	.set _ZL19k_bin_bcast_unravelIXadL_ZL6op_addffEE6__halffS0_JPKfS2_S2_S2_EEvPKT0_PKT1_PT2_15HIP_vector_typeIjLj3EESC_SC_jSC_SC_SC_SC_SC_SC_iiiiiiiiiiiDpT3_.num_named_barrier, 0
	.set _ZL19k_bin_bcast_unravelIXadL_ZL6op_addffEE6__halffS0_JPKfS2_S2_S2_EEvPKT0_PKT1_PT2_15HIP_vector_typeIjLj3EESC_SC_jSC_SC_SC_SC_SC_SC_iiiiiiiiiiiDpT3_.private_seg_size, 0
	.set _ZL19k_bin_bcast_unravelIXadL_ZL6op_addffEE6__halffS0_JPKfS2_S2_S2_EEvPKT0_PKT1_PT2_15HIP_vector_typeIjLj3EESC_SC_jSC_SC_SC_SC_SC_SC_iiiiiiiiiiiDpT3_.uses_vcc, 1
	.set _ZL19k_bin_bcast_unravelIXadL_ZL6op_addffEE6__halffS0_JPKfS2_S2_S2_EEvPKT0_PKT1_PT2_15HIP_vector_typeIjLj3EESC_SC_jSC_SC_SC_SC_SC_SC_iiiiiiiiiiiDpT3_.uses_flat_scratch, 0
	.set _ZL19k_bin_bcast_unravelIXadL_ZL6op_addffEE6__halffS0_JPKfS2_S2_S2_EEvPKT0_PKT1_PT2_15HIP_vector_typeIjLj3EESC_SC_jSC_SC_SC_SC_SC_SC_iiiiiiiiiiiDpT3_.has_dyn_sized_stack, 0
	.set _ZL19k_bin_bcast_unravelIXadL_ZL6op_addffEE6__halffS0_JPKfS2_S2_S2_EEvPKT0_PKT1_PT2_15HIP_vector_typeIjLj3EESC_SC_jSC_SC_SC_SC_SC_SC_iiiiiiiiiiiDpT3_.has_recursion, 0
	.set _ZL19k_bin_bcast_unravelIXadL_ZL6op_addffEE6__halffS0_JPKfS2_S2_S2_EEvPKT0_PKT1_PT2_15HIP_vector_typeIjLj3EESC_SC_jSC_SC_SC_SC_SC_SC_iiiiiiiiiiiDpT3_.has_indirect_call, 0
	.section	.AMDGPU.csdata,"",@progbits
; Kernel info:
; codeLenInByte = 824
; TotalNumSgprs: 29
; NumVgprs: 14
; ScratchSize: 0
; MemoryBound: 0
; FloatMode: 240
; IeeeMode: 1
; LDSByteSize: 0 bytes/workgroup (compile time only)
; SGPRBlocks: 0
; VGPRBlocks: 0
; NumSGPRsForWavesPerEU: 29
; NumVGPRsForWavesPerEU: 14
; NamedBarCnt: 0
; Occupancy: 16
; WaveLimiterHint : 1
; COMPUTE_PGM_RSRC2:SCRATCH_EN: 0
; COMPUTE_PGM_RSRC2:USER_SGPR: 2
; COMPUTE_PGM_RSRC2:TRAP_HANDLER: 0
; COMPUTE_PGM_RSRC2:TGID_X_EN: 1
; COMPUTE_PGM_RSRC2:TGID_Y_EN: 0
; COMPUTE_PGM_RSRC2:TGID_Z_EN: 0
; COMPUTE_PGM_RSRC2:TIDIG_COMP_CNT: 0
	.section	.text._ZL11k_bin_bcastIXadL_ZL6op_addffEE6__halffS0_JPKfS2_S2_S2_EEvPKT0_PKT1_PT2_iii15HIP_vector_typeIjLj3EESC_SC_SC_SC_iiiiiiiiiiiDpT3_,"axG",@progbits,_ZL11k_bin_bcastIXadL_ZL6op_addffEE6__halffS0_JPKfS2_S2_S2_EEvPKT0_PKT1_PT2_iii15HIP_vector_typeIjLj3EESC_SC_SC_SC_iiiiiiiiiiiDpT3_,comdat
	.globl	_ZL11k_bin_bcastIXadL_ZL6op_addffEE6__halffS0_JPKfS2_S2_S2_EEvPKT0_PKT1_PT2_iii15HIP_vector_typeIjLj3EESC_SC_SC_SC_iiiiiiiiiiiDpT3_ ; -- Begin function _ZL11k_bin_bcastIXadL_ZL6op_addffEE6__halffS0_JPKfS2_S2_S2_EEvPKT0_PKT1_PT2_iii15HIP_vector_typeIjLj3EESC_SC_SC_SC_iiiiiiiiiiiDpT3_
	.p2align	8
	.type	_ZL11k_bin_bcastIXadL_ZL6op_addffEE6__halffS0_JPKfS2_S2_S2_EEvPKT0_PKT1_PT2_iii15HIP_vector_typeIjLj3EESC_SC_SC_SC_iiiiiiiiiiiDpT3_,@function
_ZL11k_bin_bcastIXadL_ZL6op_addffEE6__halffS0_JPKfS2_S2_S2_EEvPKT0_PKT1_PT2_iii15HIP_vector_typeIjLj3EESC_SC_SC_SC_iiiiiiiiiiiDpT3_: ; @_ZL11k_bin_bcastIXadL_ZL6op_addffEE6__halffS0_JPKfS2_S2_S2_EEvPKT0_PKT1_PT2_iii15HIP_vector_typeIjLj3EESC_SC_SC_SC_iiiiiiiiiiiDpT3_
; %bb.0:
	s_load_b64 s[2:3], s[0:1], 0xbc
	s_bfe_u32 s5, ttmp6, 0x40014
	s_bfe_u32 s16, ttmp6, 0x40010
	;; [unrolled: 1-line block ×3, first 2 shown]
	s_lshr_b32 s4, ttmp7, 16
	s_and_b32 s7, ttmp7, 0xffff
	s_add_co_i32 s5, s5, 1
	s_add_co_i32 s16, s16, 1
	s_load_b256 s[8:15], s[0:1], 0x18
	s_add_co_i32 s19, s19, 1
	s_bfe_u32 s6, ttmp6, 0x40008
	s_bfe_u32 s17, ttmp6, 0x40004
	s_mul_i32 s5, s4, s5
	s_mul_i32 s16, s7, s16
	s_and_b32 s18, ttmp6, 15
	s_mul_i32 s19, ttmp9, s19
	s_add_co_i32 s6, s6, s5
	s_add_co_i32 s17, s17, s16
	;; [unrolled: 1-line block ×3, first 2 shown]
	v_bfe_u32 v1, v0, 20, 10
	s_wait_kmcnt 0x0
	s_lshr_b32 s16, s2, 16
	s_and_b32 s5, s2, 0xffff
	s_getreg_b32 s2, hwreg(HW_REG_IB_STS2, 6, 4)
	s_and_b32 s3, s3, 0xffff
	s_cmp_eq_u32 s2, 0
	v_and_b32_e32 v2, 0x3ff, v0
	s_cselect_b32 s2, s4, s6
	v_bfe_u32 v4, v0, 10, 10
	v_mad_u32 v3, s2, s3, v1
	s_cselect_b32 s2, ttmp9, s18
	s_cselect_b32 s3, s7, s17
	v_mad_u32 v0, s2, s5, v2
	v_mad_u32 v2, s3, s16, v4
	s_delay_alu instid0(VALU_DEP_3) | instskip(NEXT) | instid1(VALU_DEP_3)
	v_mul_hi_u32 v1, v3, s11
	v_cmp_gt_u32_e32 vcc_lo, s8, v0
	s_delay_alu instid0(VALU_DEP_3) | instskip(SKIP_2) | instid1(VALU_DEP_1)
	v_cmp_gt_u32_e64 s2, s9, v2
	s_and_b32 s2, vcc_lo, s2
	v_add_nc_u32_e32 v1, v3, v1
	v_lshrrev_b32_e32 v1, s12, v1
	s_delay_alu instid0(VALU_DEP_1) | instskip(SKIP_3) | instid1(VALU_DEP_1)
	v_mul_lo_u32 v5, v1, s13
	v_cmp_gt_u32_e64 s3, s10, v1
	s_and_b32 s2, s2, s3
	v_sub_nc_u32_e32 v3, v3, v5
	v_cmp_gt_u32_e64 s4, s13, v3
	s_and_b32 s2, s2, s4
	s_delay_alu instid0(SALU_CYCLE_1)
	s_and_saveexec_b32 s3, s2
	s_cbranch_execz .LBB61_6
; %bb.1:
	v_cmp_gt_i32_e32 vcc_lo, s8, v0
	s_and_b32 exec_lo, exec_lo, vcc_lo
	s_cbranch_execz .LBB61_6
; %bb.2:
	s_clause 0x3
	s_load_b256 s[24:31], s[0:1], 0x3c
	s_load_b32 s2, s[0:1], 0x5c
	s_load_b256 s[16:23], s[0:1], 0x60
	s_load_b96 s[36:38], s[0:1], 0x80
	s_add_nc_u64 s[6:7], s[0:1], 0xb0
	s_load_b32 s4, s[6:7], 0x0
	s_clause 0x1
	s_load_b32 s9, s[0:1], 0x38
	s_load_b64 s[10:11], s[0:1], 0x10
	s_wait_kmcnt 0x0
	v_mul_hi_u32 v4, s30, v3
	v_mul_hi_u32 v5, s27, v1
	;; [unrolled: 1-line block ×3, first 2 shown]
	v_mul_lo_u32 v7, v2, s20
	v_mul_lo_u32 v8, v2, s16
	s_delay_alu instid0(VALU_DEP_4) | instskip(NEXT) | instid1(VALU_DEP_3)
	v_dual_add_nc_u32 v4, v3, v4 :: v_dual_add_nc_u32 v5, v1, v5
	v_mad_u32 v7, v1, s21, v7
	s_delay_alu instid0(VALU_DEP_3) | instskip(NEXT) | instid1(VALU_DEP_3)
	v_mad_u32 v8, v1, s17, v8
	v_dual_lshrrev_b32 v4, s31, v4 :: v_dual_lshrrev_b32 v5, s28, v5
	s_delay_alu instid0(VALU_DEP_1) | instskip(SKIP_1) | instid1(VALU_DEP_3)
	v_mul_lo_u32 v4, v4, s2
	v_add_nc_u32_e32 v6, v2, v6
	v_mul_lo_u32 v5, v5, s29
	s_load_b64 s[2:3], s[0:1], 0x0
	v_mad_u32 v8, v3, s18, v8
	s_delay_alu instid0(VALU_DEP_3) | instskip(NEXT) | instid1(VALU_DEP_3)
	v_dual_sub_nc_u32 v4, v3, v4 :: v_dual_lshrrev_b32 v6, s25, v6
	v_sub_nc_u32_e32 v5, v1, v5
	s_delay_alu instid0(VALU_DEP_2) | instskip(NEXT) | instid1(VALU_DEP_3)
	v_mul_lo_u32 v9, v4, s38
	v_mul_lo_u32 v6, v6, s26
	v_mad_u32 v4, v3, s22, v7
	s_load_b256 s[24:31], s[0:1], 0x90
	v_mov_b32_e32 v1, 0
	s_wait_xcnt 0x0
	s_mov_b32 s1, 0
	s_mov_b32 s0, s14
	s_wait_kmcnt 0x0
	s_cmp_lg_u64 s[2:3], 0
	s_mov_b32 s6, s1
	v_mad_u32 v7, v5, s37, v9
	v_sub_nc_u32_e32 v2, v2, v6
	v_mul_lo_u32 v6, s19, v0
	v_dual_mov_b32 v5, v1 :: v_dual_mov_b32 v9, v1
	v_mov_b32_e32 v3, v1
	s_delay_alu instid0(VALU_DEP_2) | instskip(NEXT) | instid1(VALU_DEP_3)
	v_lshl_add_u64 v[4:5], v[4:5], 1, s[2:3]
	v_lshl_add_u64 v[8:9], v[8:9], 1, s[10:11]
	s_mul_i32 s2, s4, s5
	v_mad_u32 v2, v2, s36, v7
	s_cselect_b32 s3, -1, 0
	s_mul_i32 s4, s2, s19
	s_sub_co_i32 s5, 0, s9
	s_branch .LBB61_4
.LBB61_3:                               ;   in Loop: Header=BB61_4 Depth=1
	s_wait_xcnt 0x0
	v_mul_u64_e32 v[10:11], s[0:1], v[0:1]
	s_delay_alu instid0(VALU_DEP_1) | instskip(NEXT) | instid1(VALU_DEP_1)
	v_dual_add_nc_u32 v6, s4, v6 :: v_dual_add_nc_u32 v10, v0, v11
	v_dual_mov_b32 v11, v1 :: v_dual_lshrrev_b32 v10, s15, v10
	s_delay_alu instid0(VALU_DEP_1) | instskip(NEXT) | instid1(VALU_DEP_1)
	v_mad_u32 v10, s5, v10, v0
	v_mul_lo_u32 v10, v10, s23
	s_delay_alu instid0(VALU_DEP_1) | instskip(NEXT) | instid1(VALU_DEP_1)
	v_add_nc_u64_e32 v[10:11], v[10:11], v[2:3]
	v_lshlrev_b64_e32 v[10:11], 2, v[10:11]
	s_delay_alu instid0(VALU_DEP_1)
	v_add_nc_u64_e32 v[12:13], s[24:25], v[10:11]
	v_add_nc_u64_e32 v[14:15], s[26:27], v[10:11]
	global_load_b32 v16, v[12:13], off
	s_wait_xcnt 0x0
	v_add_nc_u64_e32 v[12:13], s[28:29], v[10:11]
	global_load_b32 v14, v[14:15], off
	v_add_nc_u64_e32 v[10:11], s[30:31], v[10:11]
	global_load_b32 v15, v[12:13], off
	global_load_b32 v17, v[10:11], off
	s_wait_xcnt 0x0
	v_dual_mov_b32 v10, v0 :: v_dual_ashrrev_i32 v11, 31, v0
	s_delay_alu instid0(VALU_DEP_1) | instskip(SKIP_3) | instid1(VALU_DEP_1)
	v_lshl_add_u64 v[10:11], v[10:11], 1, v[8:9]
	s_wait_loadcnt 0x3
	v_add_f32_e32 v7, v7, v16
	s_wait_loadcnt 0x2
	v_add_f32_e32 v7, v7, v14
	s_wait_loadcnt 0x1
	s_delay_alu instid0(VALU_DEP_1) | instskip(SKIP_1) | instid1(VALU_DEP_1)
	v_dual_add_f32 v7, v7, v15 :: v_dual_add_nc_u32 v0, s2, v0
	s_wait_loadcnt 0x0
	v_add_f32_e32 v7, v7, v17
	s_delay_alu instid0(VALU_DEP_2) | instskip(NEXT) | instid1(VALU_DEP_2)
	v_cmp_le_i32_e32 vcc_lo, s8, v0
	v_cvt_f16_f32_e32 v7, v7
	s_or_b32 s6, vcc_lo, s6
	global_store_b16 v[10:11], v7, off
	s_wait_xcnt 0x0
	s_and_not1_b32 exec_lo, exec_lo, s6
	s_cbranch_execz .LBB61_6
.LBB61_4:                               ; =>This Inner Loop Header: Depth=1
	v_mov_b32_e32 v7, 0
	s_and_not1_b32 vcc_lo, exec_lo, s3
	s_cbranch_vccnz .LBB61_3
; %bb.5:                                ;   in Loop: Header=BB61_4 Depth=1
	v_ashrrev_i32_e32 v7, 31, v6
	s_delay_alu instid0(VALU_DEP_1)
	v_lshl_add_u64 v[10:11], v[6:7], 1, v[4:5]
	global_load_u16 v7, v[10:11], off
	s_wait_loadcnt 0x0
	v_cvt_f32_f16_e32 v7, v7
	s_branch .LBB61_3
.LBB61_6:
	s_endpgm
	.section	.rodata,"a",@progbits
	.p2align	6, 0x0
	.amdhsa_kernel _ZL11k_bin_bcastIXadL_ZL6op_addffEE6__halffS0_JPKfS2_S2_S2_EEvPKT0_PKT1_PT2_iii15HIP_vector_typeIjLj3EESC_SC_SC_SC_iiiiiiiiiiiDpT3_
		.amdhsa_group_segment_fixed_size 0
		.amdhsa_private_segment_fixed_size 0
		.amdhsa_kernarg_size 432
		.amdhsa_user_sgpr_count 2
		.amdhsa_user_sgpr_dispatch_ptr 0
		.amdhsa_user_sgpr_queue_ptr 0
		.amdhsa_user_sgpr_kernarg_segment_ptr 1
		.amdhsa_user_sgpr_dispatch_id 0
		.amdhsa_user_sgpr_kernarg_preload_length 0
		.amdhsa_user_sgpr_kernarg_preload_offset 0
		.amdhsa_user_sgpr_private_segment_size 0
		.amdhsa_wavefront_size32 1
		.amdhsa_uses_dynamic_stack 0
		.amdhsa_enable_private_segment 0
		.amdhsa_system_sgpr_workgroup_id_x 1
		.amdhsa_system_sgpr_workgroup_id_y 1
		.amdhsa_system_sgpr_workgroup_id_z 1
		.amdhsa_system_sgpr_workgroup_info 0
		.amdhsa_system_vgpr_workitem_id 2
		.amdhsa_next_free_vgpr 18
		.amdhsa_next_free_sgpr 39
		.amdhsa_named_barrier_count 0
		.amdhsa_reserve_vcc 1
		.amdhsa_float_round_mode_32 0
		.amdhsa_float_round_mode_16_64 0
		.amdhsa_float_denorm_mode_32 3
		.amdhsa_float_denorm_mode_16_64 3
		.amdhsa_fp16_overflow 0
		.amdhsa_memory_ordered 1
		.amdhsa_forward_progress 1
		.amdhsa_inst_pref_size 8
		.amdhsa_round_robin_scheduling 0
		.amdhsa_exception_fp_ieee_invalid_op 0
		.amdhsa_exception_fp_denorm_src 0
		.amdhsa_exception_fp_ieee_div_zero 0
		.amdhsa_exception_fp_ieee_overflow 0
		.amdhsa_exception_fp_ieee_underflow 0
		.amdhsa_exception_fp_ieee_inexact 0
		.amdhsa_exception_int_div_zero 0
	.end_amdhsa_kernel
	.section	.text._ZL11k_bin_bcastIXadL_ZL6op_addffEE6__halffS0_JPKfS2_S2_S2_EEvPKT0_PKT1_PT2_iii15HIP_vector_typeIjLj3EESC_SC_SC_SC_iiiiiiiiiiiDpT3_,"axG",@progbits,_ZL11k_bin_bcastIXadL_ZL6op_addffEE6__halffS0_JPKfS2_S2_S2_EEvPKT0_PKT1_PT2_iii15HIP_vector_typeIjLj3EESC_SC_SC_SC_iiiiiiiiiiiDpT3_,comdat
.Lfunc_end61:
	.size	_ZL11k_bin_bcastIXadL_ZL6op_addffEE6__halffS0_JPKfS2_S2_S2_EEvPKT0_PKT1_PT2_iii15HIP_vector_typeIjLj3EESC_SC_SC_SC_iiiiiiiiiiiDpT3_, .Lfunc_end61-_ZL11k_bin_bcastIXadL_ZL6op_addffEE6__halffS0_JPKfS2_S2_S2_EEvPKT0_PKT1_PT2_iii15HIP_vector_typeIjLj3EESC_SC_SC_SC_iiiiiiiiiiiDpT3_
                                        ; -- End function
	.set _ZL11k_bin_bcastIXadL_ZL6op_addffEE6__halffS0_JPKfS2_S2_S2_EEvPKT0_PKT1_PT2_iii15HIP_vector_typeIjLj3EESC_SC_SC_SC_iiiiiiiiiiiDpT3_.num_vgpr, 18
	.set _ZL11k_bin_bcastIXadL_ZL6op_addffEE6__halffS0_JPKfS2_S2_S2_EEvPKT0_PKT1_PT2_iii15HIP_vector_typeIjLj3EESC_SC_SC_SC_iiiiiiiiiiiDpT3_.num_agpr, 0
	.set _ZL11k_bin_bcastIXadL_ZL6op_addffEE6__halffS0_JPKfS2_S2_S2_EEvPKT0_PKT1_PT2_iii15HIP_vector_typeIjLj3EESC_SC_SC_SC_iiiiiiiiiiiDpT3_.numbered_sgpr, 39
	.set _ZL11k_bin_bcastIXadL_ZL6op_addffEE6__halffS0_JPKfS2_S2_S2_EEvPKT0_PKT1_PT2_iii15HIP_vector_typeIjLj3EESC_SC_SC_SC_iiiiiiiiiiiDpT3_.num_named_barrier, 0
	.set _ZL11k_bin_bcastIXadL_ZL6op_addffEE6__halffS0_JPKfS2_S2_S2_EEvPKT0_PKT1_PT2_iii15HIP_vector_typeIjLj3EESC_SC_SC_SC_iiiiiiiiiiiDpT3_.private_seg_size, 0
	.set _ZL11k_bin_bcastIXadL_ZL6op_addffEE6__halffS0_JPKfS2_S2_S2_EEvPKT0_PKT1_PT2_iii15HIP_vector_typeIjLj3EESC_SC_SC_SC_iiiiiiiiiiiDpT3_.uses_vcc, 1
	.set _ZL11k_bin_bcastIXadL_ZL6op_addffEE6__halffS0_JPKfS2_S2_S2_EEvPKT0_PKT1_PT2_iii15HIP_vector_typeIjLj3EESC_SC_SC_SC_iiiiiiiiiiiDpT3_.uses_flat_scratch, 0
	.set _ZL11k_bin_bcastIXadL_ZL6op_addffEE6__halffS0_JPKfS2_S2_S2_EEvPKT0_PKT1_PT2_iii15HIP_vector_typeIjLj3EESC_SC_SC_SC_iiiiiiiiiiiDpT3_.has_dyn_sized_stack, 0
	.set _ZL11k_bin_bcastIXadL_ZL6op_addffEE6__halffS0_JPKfS2_S2_S2_EEvPKT0_PKT1_PT2_iii15HIP_vector_typeIjLj3EESC_SC_SC_SC_iiiiiiiiiiiDpT3_.has_recursion, 0
	.set _ZL11k_bin_bcastIXadL_ZL6op_addffEE6__halffS0_JPKfS2_S2_S2_EEvPKT0_PKT1_PT2_iii15HIP_vector_typeIjLj3EESC_SC_SC_SC_iiiiiiiiiiiDpT3_.has_indirect_call, 0
	.section	.AMDGPU.csdata,"",@progbits
; Kernel info:
; codeLenInByte = 972
; TotalNumSgprs: 41
; NumVgprs: 18
; ScratchSize: 0
; MemoryBound: 0
; FloatMode: 240
; IeeeMode: 1
; LDSByteSize: 0 bytes/workgroup (compile time only)
; SGPRBlocks: 0
; VGPRBlocks: 1
; NumSGPRsForWavesPerEU: 41
; NumVGPRsForWavesPerEU: 18
; NamedBarCnt: 0
; Occupancy: 16
; WaveLimiterHint : 1
; COMPUTE_PGM_RSRC2:SCRATCH_EN: 0
; COMPUTE_PGM_RSRC2:USER_SGPR: 2
; COMPUTE_PGM_RSRC2:TRAP_HANDLER: 0
; COMPUTE_PGM_RSRC2:TGID_X_EN: 1
; COMPUTE_PGM_RSRC2:TGID_Y_EN: 1
; COMPUTE_PGM_RSRC2:TGID_Z_EN: 1
; COMPUTE_PGM_RSRC2:TIDIG_COMP_CNT: 2
	.section	.text._ZL19k_bin_bcast_unravelIXadL_ZL6op_addffEE6__halfffJPKfS2_S2_S2_EEvPKT0_PKT1_PT2_15HIP_vector_typeIjLj3EESC_SC_jSC_SC_SC_SC_SC_SC_iiiiiiiiiiiDpT3_,"axG",@progbits,_ZL19k_bin_bcast_unravelIXadL_ZL6op_addffEE6__halfffJPKfS2_S2_S2_EEvPKT0_PKT1_PT2_15HIP_vector_typeIjLj3EESC_SC_jSC_SC_SC_SC_SC_SC_iiiiiiiiiiiDpT3_,comdat
	.globl	_ZL19k_bin_bcast_unravelIXadL_ZL6op_addffEE6__halfffJPKfS2_S2_S2_EEvPKT0_PKT1_PT2_15HIP_vector_typeIjLj3EESC_SC_jSC_SC_SC_SC_SC_SC_iiiiiiiiiiiDpT3_ ; -- Begin function _ZL19k_bin_bcast_unravelIXadL_ZL6op_addffEE6__halfffJPKfS2_S2_S2_EEvPKT0_PKT1_PT2_15HIP_vector_typeIjLj3EESC_SC_jSC_SC_SC_SC_SC_SC_iiiiiiiiiiiDpT3_
	.p2align	8
	.type	_ZL19k_bin_bcast_unravelIXadL_ZL6op_addffEE6__halfffJPKfS2_S2_S2_EEvPKT0_PKT1_PT2_15HIP_vector_typeIjLj3EESC_SC_jSC_SC_SC_SC_SC_SC_iiiiiiiiiiiDpT3_,@function
_ZL19k_bin_bcast_unravelIXadL_ZL6op_addffEE6__halfffJPKfS2_S2_S2_EEvPKT0_PKT1_PT2_15HIP_vector_typeIjLj3EESC_SC_jSC_SC_SC_SC_SC_SC_iiiiiiiiiiiDpT3_: ; @_ZL19k_bin_bcast_unravelIXadL_ZL6op_addffEE6__halfffJPKfS2_S2_S2_EEvPKT0_PKT1_PT2_15HIP_vector_typeIjLj3EESC_SC_jSC_SC_SC_SC_SC_SC_iiiiiiiiiiiDpT3_
; %bb.0:
	s_load_b32 s2, s[0:1], 0xe4
	s_bfe_u32 s3, ttmp6, 0x4000c
	s_load_b256 s[4:11], s[0:1], 0x38
	s_add_co_i32 s3, s3, 1
	s_and_b32 s12, ttmp6, 15
	s_mul_i32 s3, ttmp9, s3
	s_getreg_b32 s13, hwreg(HW_REG_IB_STS2, 6, 4)
	s_add_co_i32 s12, s12, s3
	s_wait_kmcnt 0x0
	s_and_b32 s2, s2, 0xffff
	s_cmp_eq_u32 s13, 0
	s_cselect_b32 s3, ttmp9, s12
	s_delay_alu instid0(SALU_CYCLE_1) | instskip(SKIP_1) | instid1(VALU_DEP_1)
	v_mad_u32 v0, s3, s2, v0
	s_load_b32 s2, s[0:1], 0x2c
	v_mul_hi_u32 v1, v0, s6
	s_delay_alu instid0(VALU_DEP_1) | instskip(NEXT) | instid1(VALU_DEP_1)
	v_add_nc_u32_e32 v1, v0, v1
	v_lshrrev_b32_e32 v1, s7, v1
	s_delay_alu instid0(VALU_DEP_1) | instskip(NEXT) | instid1(VALU_DEP_1)
	v_mul_lo_u32 v2, v1, s8
	v_sub_nc_u32_e32 v0, v0, v2
	s_delay_alu instid0(VALU_DEP_1) | instskip(NEXT) | instid1(VALU_DEP_1)
	v_mul_hi_u32 v2, v0, s9
	v_add_nc_u32_e32 v2, v0, v2
	s_delay_alu instid0(VALU_DEP_1) | instskip(SKIP_1) | instid1(VALU_DEP_1)
	v_lshrrev_b32_e32 v2, s10, v2
	s_load_b96 s[8:10], s[0:1], 0x18
	v_mul_lo_u32 v3, v2, s11
	s_delay_alu instid0(VALU_DEP_1) | instskip(SKIP_3) | instid1(VALU_DEP_3)
	v_sub_nc_u32_e32 v0, v0, v3
	v_cmp_gt_u32_e64 s3, s4, v2
	v_cmp_gt_u32_e64 s4, s5, v1
	s_wait_kmcnt 0x0
	v_mul_hi_u32 v3, v0, s8
	s_delay_alu instid0(VALU_DEP_1) | instskip(NEXT) | instid1(VALU_DEP_1)
	v_add_nc_u32_e32 v3, v0, v3
	v_lshrrev_b32_e32 v4, s9, v3
	s_delay_alu instid0(VALU_DEP_1) | instskip(NEXT) | instid1(VALU_DEP_1)
	v_mul_lo_u32 v3, v4, s10
	v_sub_nc_u32_e32 v0, v0, v3
	v_cmp_gt_u32_e64 s2, s2, v4
	s_delay_alu instid0(VALU_DEP_2) | instskip(SKIP_1) | instid1(SALU_CYCLE_1)
	v_cmp_gt_u32_e32 vcc_lo, s10, v0
	s_and_b32 s2, vcc_lo, s2
	s_and_b32 s2, s2, s3
	s_delay_alu instid0(SALU_CYCLE_1) | instskip(NEXT) | instid1(SALU_CYCLE_1)
	s_and_b32 s2, s4, s2
	s_and_saveexec_b32 s3, s2
	s_cbranch_execz .LBB62_4
; %bb.1:
	s_clause 0x4
	s_load_b64 s[2:3], s[0:1], 0x0
	s_load_b96 s[24:26], s[0:1], 0xa8
	s_load_b256 s[4:11], s[0:1], 0x88
	s_load_b128 s[20:23], s[0:1], 0x78
	s_load_b256 s[12:19], s[0:1], 0x58
	v_dual_mov_b32 v3, 0 :: v_dual_mov_b32 v5, 0
	s_wait_kmcnt 0x0
	s_cmp_eq_u64 s[2:3], 0
	s_cbranch_scc1 .LBB62_3
; %bb.2:
	v_mul_lo_u32 v5, v1, s10
	v_mov_b32_e32 v7, 0
	s_delay_alu instid0(VALU_DEP_2) | instskip(NEXT) | instid1(VALU_DEP_1)
	v_mad_u32 v5, v2, s9, v5
	v_mad_u32 v6, v4, s8, v5
	s_delay_alu instid0(VALU_DEP_1) | instskip(SKIP_1) | instid1(VALU_DEP_1)
	v_lshl_add_u64 v[8:9], v[6:7], 1, s[2:3]
	v_mul_lo_u32 v6, v0, s7
	v_lshl_add_u64 v[6:7], v[6:7], 1, v[8:9]
	global_load_u16 v5, v[6:7], off
	s_wait_loadcnt 0x0
	v_cvt_f32_f16_e32 v5, v5
.LBB62_3:
	v_mul_hi_u32 v6, s21, v1
	v_mul_hi_u32 v7, s18, v2
	;; [unrolled: 1-line block ×4, first 2 shown]
	s_delay_alu instid0(VALU_DEP_3) | instskip(NEXT) | instid1(VALU_DEP_1)
	v_dual_add_nc_u32 v6, v1, v6 :: v_dual_add_nc_u32 v7, v2, v7
	v_dual_lshrrev_b32 v6, s22, v6 :: v_dual_lshrrev_b32 v7, s19, v7
	s_delay_alu instid0(VALU_DEP_1) | instskip(SKIP_1) | instid1(VALU_DEP_3)
	v_mul_lo_u32 v6, v6, s23
	v_add_nc_u32_e32 v8, v4, v8
	v_mul_lo_u32 v7, v7, s20
	s_delay_alu instid0(VALU_DEP_3) | instskip(NEXT) | instid1(VALU_DEP_3)
	v_dual_sub_nc_u32 v6, v1, v6 :: v_dual_add_nc_u32 v9, v0, v9
	v_lshrrev_b32_e32 v8, s16, v8
	v_mul_lo_u32 v1, v1, s6
	s_delay_alu instid0(VALU_DEP_4) | instskip(NEXT) | instid1(VALU_DEP_4)
	v_sub_nc_u32_e32 v7, v2, v7
	v_mul_lo_u32 v6, v6, s26
	v_lshrrev_b32_e32 v9, s13, v9
	v_mul_lo_u32 v8, v8, s17
	s_delay_alu instid0(VALU_DEP_2) | instskip(SKIP_2) | instid1(VALU_DEP_4)
	v_mul_lo_u32 v9, v9, s14
	v_mad_u32 v1, v2, s5, v1
	v_mad_u32 v7, v7, s25, v6
	v_sub_nc_u32_e32 v8, v4, v8
	s_delay_alu instid0(VALU_DEP_3) | instskip(NEXT) | instid1(VALU_DEP_2)
	v_mad_u32 v2, v4, s4, v1
	v_mad_u32 v8, v8, s24, v7
	s_delay_alu instid0(VALU_DEP_1) | instskip(NEXT) | instid1(VALU_DEP_1)
	v_dual_sub_nc_u32 v6, v0, v9 :: v_dual_ashrrev_i32 v9, 31, v8
	v_mul_lo_u32 v6, v6, s11
	s_load_b256 s[8:15], s[0:1], 0xb8
	s_delay_alu instid0(VALU_DEP_1) | instskip(SKIP_2) | instid1(VALU_DEP_1)
	v_ashrrev_i32_e32 v7, 31, v6
	s_wait_xcnt 0x0
	s_load_b64 s[0:1], s[0:1], 0x10
	v_add_nc_u64_e32 v[6:7], v[6:7], v[8:9]
	s_delay_alu instid0(VALU_DEP_1) | instskip(SKIP_1) | instid1(VALU_DEP_1)
	v_lshlrev_b64_e32 v[6:7], 2, v[6:7]
	s_wait_kmcnt 0x0
	v_add_nc_u64_e32 v[8:9], s[8:9], v[6:7]
	v_add_nc_u64_e32 v[10:11], s[10:11], v[6:7]
	global_load_b32 v12, v[8:9], off
	s_wait_xcnt 0x0
	v_add_nc_u64_e32 v[8:9], s[12:13], v[6:7]
	global_load_b32 v10, v[10:11], off
	v_add_nc_u64_e32 v[6:7], s[14:15], v[6:7]
	global_load_b32 v11, v[8:9], off
	global_load_b32 v13, v[6:7], off
	s_wait_loadcnt 0x3
	v_add_f32_e32 v1, v5, v12
	s_wait_loadcnt 0x2
	s_delay_alu instid0(VALU_DEP_1) | instskip(SKIP_2) | instid1(VALU_DEP_2)
	v_dual_add_f32 v4, v1, v10 :: v_dual_mov_b32 v1, v3
	v_lshl_add_u64 v[2:3], v[2:3], 2, s[0:1]
	s_wait_loadcnt 0x1
	v_add_f32_e32 v4, v4, v11
	s_delay_alu instid0(VALU_DEP_2) | instskip(SKIP_1) | instid1(VALU_DEP_2)
	v_lshl_add_u64 v[0:1], v[0:1], 2, v[2:3]
	s_wait_loadcnt 0x0
	v_add_f32_e32 v4, v4, v13
	global_store_b32 v[0:1], v4, off
.LBB62_4:
	s_endpgm
	.section	.rodata,"a",@progbits
	.p2align	6, 0x0
	.amdhsa_kernel _ZL19k_bin_bcast_unravelIXadL_ZL6op_addffEE6__halfffJPKfS2_S2_S2_EEvPKT0_PKT1_PT2_15HIP_vector_typeIjLj3EESC_SC_jSC_SC_SC_SC_SC_SC_iiiiiiiiiiiDpT3_
		.amdhsa_group_segment_fixed_size 0
		.amdhsa_private_segment_fixed_size 0
		.amdhsa_kernarg_size 472
		.amdhsa_user_sgpr_count 2
		.amdhsa_user_sgpr_dispatch_ptr 0
		.amdhsa_user_sgpr_queue_ptr 0
		.amdhsa_user_sgpr_kernarg_segment_ptr 1
		.amdhsa_user_sgpr_dispatch_id 0
		.amdhsa_user_sgpr_kernarg_preload_length 0
		.amdhsa_user_sgpr_kernarg_preload_offset 0
		.amdhsa_user_sgpr_private_segment_size 0
		.amdhsa_wavefront_size32 1
		.amdhsa_uses_dynamic_stack 0
		.amdhsa_enable_private_segment 0
		.amdhsa_system_sgpr_workgroup_id_x 1
		.amdhsa_system_sgpr_workgroup_id_y 0
		.amdhsa_system_sgpr_workgroup_id_z 0
		.amdhsa_system_sgpr_workgroup_info 0
		.amdhsa_system_vgpr_workitem_id 0
		.amdhsa_next_free_vgpr 14
		.amdhsa_next_free_sgpr 27
		.amdhsa_named_barrier_count 0
		.amdhsa_reserve_vcc 1
		.amdhsa_float_round_mode_32 0
		.amdhsa_float_round_mode_16_64 0
		.amdhsa_float_denorm_mode_32 3
		.amdhsa_float_denorm_mode_16_64 3
		.amdhsa_fp16_overflow 0
		.amdhsa_memory_ordered 1
		.amdhsa_forward_progress 1
		.amdhsa_inst_pref_size 7
		.amdhsa_round_robin_scheduling 0
		.amdhsa_exception_fp_ieee_invalid_op 0
		.amdhsa_exception_fp_denorm_src 0
		.amdhsa_exception_fp_ieee_div_zero 0
		.amdhsa_exception_fp_ieee_overflow 0
		.amdhsa_exception_fp_ieee_underflow 0
		.amdhsa_exception_fp_ieee_inexact 0
		.amdhsa_exception_int_div_zero 0
	.end_amdhsa_kernel
	.section	.text._ZL19k_bin_bcast_unravelIXadL_ZL6op_addffEE6__halfffJPKfS2_S2_S2_EEvPKT0_PKT1_PT2_15HIP_vector_typeIjLj3EESC_SC_jSC_SC_SC_SC_SC_SC_iiiiiiiiiiiDpT3_,"axG",@progbits,_ZL19k_bin_bcast_unravelIXadL_ZL6op_addffEE6__halfffJPKfS2_S2_S2_EEvPKT0_PKT1_PT2_15HIP_vector_typeIjLj3EESC_SC_jSC_SC_SC_SC_SC_SC_iiiiiiiiiiiDpT3_,comdat
.Lfunc_end62:
	.size	_ZL19k_bin_bcast_unravelIXadL_ZL6op_addffEE6__halfffJPKfS2_S2_S2_EEvPKT0_PKT1_PT2_15HIP_vector_typeIjLj3EESC_SC_jSC_SC_SC_SC_SC_SC_iiiiiiiiiiiDpT3_, .Lfunc_end62-_ZL19k_bin_bcast_unravelIXadL_ZL6op_addffEE6__halfffJPKfS2_S2_S2_EEvPKT0_PKT1_PT2_15HIP_vector_typeIjLj3EESC_SC_jSC_SC_SC_SC_SC_SC_iiiiiiiiiiiDpT3_
                                        ; -- End function
	.set _ZL19k_bin_bcast_unravelIXadL_ZL6op_addffEE6__halfffJPKfS2_S2_S2_EEvPKT0_PKT1_PT2_15HIP_vector_typeIjLj3EESC_SC_jSC_SC_SC_SC_SC_SC_iiiiiiiiiiiDpT3_.num_vgpr, 14
	.set _ZL19k_bin_bcast_unravelIXadL_ZL6op_addffEE6__halfffJPKfS2_S2_S2_EEvPKT0_PKT1_PT2_15HIP_vector_typeIjLj3EESC_SC_jSC_SC_SC_SC_SC_SC_iiiiiiiiiiiDpT3_.num_agpr, 0
	.set _ZL19k_bin_bcast_unravelIXadL_ZL6op_addffEE6__halfffJPKfS2_S2_S2_EEvPKT0_PKT1_PT2_15HIP_vector_typeIjLj3EESC_SC_jSC_SC_SC_SC_SC_SC_iiiiiiiiiiiDpT3_.numbered_sgpr, 27
	.set _ZL19k_bin_bcast_unravelIXadL_ZL6op_addffEE6__halfffJPKfS2_S2_S2_EEvPKT0_PKT1_PT2_15HIP_vector_typeIjLj3EESC_SC_jSC_SC_SC_SC_SC_SC_iiiiiiiiiiiDpT3_.num_named_barrier, 0
	.set _ZL19k_bin_bcast_unravelIXadL_ZL6op_addffEE6__halfffJPKfS2_S2_S2_EEvPKT0_PKT1_PT2_15HIP_vector_typeIjLj3EESC_SC_jSC_SC_SC_SC_SC_SC_iiiiiiiiiiiDpT3_.private_seg_size, 0
	.set _ZL19k_bin_bcast_unravelIXadL_ZL6op_addffEE6__halfffJPKfS2_S2_S2_EEvPKT0_PKT1_PT2_15HIP_vector_typeIjLj3EESC_SC_jSC_SC_SC_SC_SC_SC_iiiiiiiiiiiDpT3_.uses_vcc, 1
	.set _ZL19k_bin_bcast_unravelIXadL_ZL6op_addffEE6__halfffJPKfS2_S2_S2_EEvPKT0_PKT1_PT2_15HIP_vector_typeIjLj3EESC_SC_jSC_SC_SC_SC_SC_SC_iiiiiiiiiiiDpT3_.uses_flat_scratch, 0
	.set _ZL19k_bin_bcast_unravelIXadL_ZL6op_addffEE6__halfffJPKfS2_S2_S2_EEvPKT0_PKT1_PT2_15HIP_vector_typeIjLj3EESC_SC_jSC_SC_SC_SC_SC_SC_iiiiiiiiiiiDpT3_.has_dyn_sized_stack, 0
	.set _ZL19k_bin_bcast_unravelIXadL_ZL6op_addffEE6__halfffJPKfS2_S2_S2_EEvPKT0_PKT1_PT2_15HIP_vector_typeIjLj3EESC_SC_jSC_SC_SC_SC_SC_SC_iiiiiiiiiiiDpT3_.has_recursion, 0
	.set _ZL19k_bin_bcast_unravelIXadL_ZL6op_addffEE6__halfffJPKfS2_S2_S2_EEvPKT0_PKT1_PT2_15HIP_vector_typeIjLj3EESC_SC_jSC_SC_SC_SC_SC_SC_iiiiiiiiiiiDpT3_.has_indirect_call, 0
	.section	.AMDGPU.csdata,"",@progbits
; Kernel info:
; codeLenInByte = 816
; TotalNumSgprs: 29
; NumVgprs: 14
; ScratchSize: 0
; MemoryBound: 0
; FloatMode: 240
; IeeeMode: 1
; LDSByteSize: 0 bytes/workgroup (compile time only)
; SGPRBlocks: 0
; VGPRBlocks: 0
; NumSGPRsForWavesPerEU: 29
; NumVGPRsForWavesPerEU: 14
; NamedBarCnt: 0
; Occupancy: 16
; WaveLimiterHint : 1
; COMPUTE_PGM_RSRC2:SCRATCH_EN: 0
; COMPUTE_PGM_RSRC2:USER_SGPR: 2
; COMPUTE_PGM_RSRC2:TRAP_HANDLER: 0
; COMPUTE_PGM_RSRC2:TGID_X_EN: 1
; COMPUTE_PGM_RSRC2:TGID_Y_EN: 0
; COMPUTE_PGM_RSRC2:TGID_Z_EN: 0
; COMPUTE_PGM_RSRC2:TIDIG_COMP_CNT: 0
	.section	.text._ZL11k_bin_bcastIXadL_ZL6op_addffEE6__halfffJPKfS2_S2_S2_EEvPKT0_PKT1_PT2_iii15HIP_vector_typeIjLj3EESC_SC_SC_SC_iiiiiiiiiiiDpT3_,"axG",@progbits,_ZL11k_bin_bcastIXadL_ZL6op_addffEE6__halfffJPKfS2_S2_S2_EEvPKT0_PKT1_PT2_iii15HIP_vector_typeIjLj3EESC_SC_SC_SC_iiiiiiiiiiiDpT3_,comdat
	.globl	_ZL11k_bin_bcastIXadL_ZL6op_addffEE6__halfffJPKfS2_S2_S2_EEvPKT0_PKT1_PT2_iii15HIP_vector_typeIjLj3EESC_SC_SC_SC_iiiiiiiiiiiDpT3_ ; -- Begin function _ZL11k_bin_bcastIXadL_ZL6op_addffEE6__halfffJPKfS2_S2_S2_EEvPKT0_PKT1_PT2_iii15HIP_vector_typeIjLj3EESC_SC_SC_SC_iiiiiiiiiiiDpT3_
	.p2align	8
	.type	_ZL11k_bin_bcastIXadL_ZL6op_addffEE6__halfffJPKfS2_S2_S2_EEvPKT0_PKT1_PT2_iii15HIP_vector_typeIjLj3EESC_SC_SC_SC_iiiiiiiiiiiDpT3_,@function
_ZL11k_bin_bcastIXadL_ZL6op_addffEE6__halfffJPKfS2_S2_S2_EEvPKT0_PKT1_PT2_iii15HIP_vector_typeIjLj3EESC_SC_SC_SC_iiiiiiiiiiiDpT3_: ; @_ZL11k_bin_bcastIXadL_ZL6op_addffEE6__halfffJPKfS2_S2_S2_EEvPKT0_PKT1_PT2_iii15HIP_vector_typeIjLj3EESC_SC_SC_SC_iiiiiiiiiiiDpT3_
; %bb.0:
	s_load_b64 s[2:3], s[0:1], 0xbc
	s_bfe_u32 s5, ttmp6, 0x40014
	s_bfe_u32 s16, ttmp6, 0x40010
	;; [unrolled: 1-line block ×3, first 2 shown]
	s_lshr_b32 s4, ttmp7, 16
	s_and_b32 s7, ttmp7, 0xffff
	s_add_co_i32 s5, s5, 1
	s_add_co_i32 s16, s16, 1
	s_load_b256 s[8:15], s[0:1], 0x18
	s_add_co_i32 s19, s19, 1
	s_bfe_u32 s6, ttmp6, 0x40008
	s_bfe_u32 s17, ttmp6, 0x40004
	s_mul_i32 s5, s4, s5
	s_mul_i32 s16, s7, s16
	s_and_b32 s18, ttmp6, 15
	s_mul_i32 s19, ttmp9, s19
	s_add_co_i32 s6, s6, s5
	s_add_co_i32 s17, s17, s16
	;; [unrolled: 1-line block ×3, first 2 shown]
	v_bfe_u32 v1, v0, 20, 10
	s_wait_kmcnt 0x0
	s_lshr_b32 s16, s2, 16
	s_and_b32 s5, s2, 0xffff
	s_getreg_b32 s2, hwreg(HW_REG_IB_STS2, 6, 4)
	s_and_b32 s3, s3, 0xffff
	s_cmp_eq_u32 s2, 0
	v_and_b32_e32 v2, 0x3ff, v0
	s_cselect_b32 s2, s4, s6
	v_bfe_u32 v4, v0, 10, 10
	v_mad_u32 v3, s2, s3, v1
	s_cselect_b32 s2, ttmp9, s18
	s_cselect_b32 s3, s7, s17
	v_mad_u32 v0, s2, s5, v2
	v_mad_u32 v2, s3, s16, v4
	s_delay_alu instid0(VALU_DEP_3) | instskip(NEXT) | instid1(VALU_DEP_3)
	v_mul_hi_u32 v1, v3, s11
	v_cmp_gt_u32_e32 vcc_lo, s8, v0
	s_delay_alu instid0(VALU_DEP_3) | instskip(SKIP_2) | instid1(VALU_DEP_1)
	v_cmp_gt_u32_e64 s2, s9, v2
	s_and_b32 s2, vcc_lo, s2
	v_add_nc_u32_e32 v1, v3, v1
	v_lshrrev_b32_e32 v1, s12, v1
	s_delay_alu instid0(VALU_DEP_1) | instskip(SKIP_3) | instid1(VALU_DEP_1)
	v_mul_lo_u32 v5, v1, s13
	v_cmp_gt_u32_e64 s3, s10, v1
	s_and_b32 s2, s2, s3
	v_sub_nc_u32_e32 v3, v3, v5
	v_cmp_gt_u32_e64 s4, s13, v3
	s_and_b32 s2, s2, s4
	s_delay_alu instid0(SALU_CYCLE_1)
	s_and_saveexec_b32 s3, s2
	s_cbranch_execz .LBB63_6
; %bb.1:
	v_cmp_gt_i32_e32 vcc_lo, s8, v0
	s_and_b32 exec_lo, exec_lo, vcc_lo
	s_cbranch_execz .LBB63_6
; %bb.2:
	s_clause 0x3
	s_load_b256 s[24:31], s[0:1], 0x3c
	s_load_b32 s2, s[0:1], 0x5c
	s_load_b256 s[16:23], s[0:1], 0x60
	s_load_b96 s[36:38], s[0:1], 0x80
	s_add_nc_u64 s[6:7], s[0:1], 0xb0
	s_load_b32 s4, s[6:7], 0x0
	s_clause 0x1
	s_load_b32 s9, s[0:1], 0x38
	s_load_b64 s[10:11], s[0:1], 0x10
	s_wait_kmcnt 0x0
	v_mul_hi_u32 v4, s30, v3
	v_mul_hi_u32 v5, s27, v1
	v_mul_hi_u32 v6, s24, v2
	v_mul_lo_u32 v7, v2, s20
	v_mul_lo_u32 v8, v2, s16
	s_delay_alu instid0(VALU_DEP_4) | instskip(NEXT) | instid1(VALU_DEP_3)
	v_dual_add_nc_u32 v4, v3, v4 :: v_dual_add_nc_u32 v5, v1, v5
	v_mad_u32 v7, v1, s21, v7
	s_delay_alu instid0(VALU_DEP_3) | instskip(NEXT) | instid1(VALU_DEP_3)
	v_mad_u32 v8, v1, s17, v8
	v_dual_lshrrev_b32 v4, s31, v4 :: v_dual_lshrrev_b32 v5, s28, v5
	s_delay_alu instid0(VALU_DEP_1) | instskip(SKIP_1) | instid1(VALU_DEP_3)
	v_mul_lo_u32 v4, v4, s2
	v_add_nc_u32_e32 v6, v2, v6
	v_mul_lo_u32 v5, v5, s29
	s_load_b64 s[2:3], s[0:1], 0x0
	v_mad_u32 v8, v3, s18, v8
	s_delay_alu instid0(VALU_DEP_3) | instskip(NEXT) | instid1(VALU_DEP_3)
	v_dual_sub_nc_u32 v4, v3, v4 :: v_dual_lshrrev_b32 v6, s25, v6
	v_sub_nc_u32_e32 v5, v1, v5
	s_delay_alu instid0(VALU_DEP_2) | instskip(NEXT) | instid1(VALU_DEP_3)
	v_mul_lo_u32 v9, v4, s38
	v_mul_lo_u32 v6, v6, s26
	v_mad_u32 v4, v3, s22, v7
	s_load_b256 s[24:31], s[0:1], 0x90
	v_mov_b32_e32 v1, 0
	s_wait_xcnt 0x0
	s_mov_b32 s1, 0
	s_mov_b32 s0, s14
	s_wait_kmcnt 0x0
	s_cmp_lg_u64 s[2:3], 0
	s_mov_b32 s6, s1
	v_mad_u32 v7, v5, s37, v9
	v_sub_nc_u32_e32 v2, v2, v6
	v_mul_lo_u32 v6, s19, v0
	v_dual_mov_b32 v5, v1 :: v_dual_mov_b32 v9, v1
	v_mov_b32_e32 v3, v1
	s_delay_alu instid0(VALU_DEP_2) | instskip(NEXT) | instid1(VALU_DEP_3)
	v_lshl_add_u64 v[4:5], v[4:5], 1, s[2:3]
	v_lshl_add_u64 v[8:9], v[8:9], 2, s[10:11]
	s_mul_i32 s2, s4, s5
	v_mad_u32 v2, v2, s36, v7
	s_cselect_b32 s3, -1, 0
	s_mul_i32 s4, s2, s19
	s_sub_co_i32 s5, 0, s9
	s_branch .LBB63_4
.LBB63_3:                               ;   in Loop: Header=BB63_4 Depth=1
	s_wait_xcnt 0x0
	v_mul_u64_e32 v[10:11], s[0:1], v[0:1]
	s_delay_alu instid0(VALU_DEP_1) | instskip(NEXT) | instid1(VALU_DEP_1)
	v_dual_add_nc_u32 v6, s4, v6 :: v_dual_add_nc_u32 v10, v0, v11
	v_dual_mov_b32 v11, v1 :: v_dual_lshrrev_b32 v10, s15, v10
	s_delay_alu instid0(VALU_DEP_1) | instskip(NEXT) | instid1(VALU_DEP_1)
	v_mad_u32 v10, s5, v10, v0
	v_mul_lo_u32 v10, v10, s23
	s_delay_alu instid0(VALU_DEP_1) | instskip(NEXT) | instid1(VALU_DEP_1)
	v_add_nc_u64_e32 v[10:11], v[10:11], v[2:3]
	v_lshlrev_b64_e32 v[10:11], 2, v[10:11]
	s_delay_alu instid0(VALU_DEP_1)
	v_add_nc_u64_e32 v[12:13], s[24:25], v[10:11]
	v_add_nc_u64_e32 v[14:15], s[26:27], v[10:11]
	global_load_b32 v16, v[12:13], off
	s_wait_xcnt 0x0
	v_add_nc_u64_e32 v[12:13], s[28:29], v[10:11]
	global_load_b32 v14, v[14:15], off
	v_add_nc_u64_e32 v[10:11], s[30:31], v[10:11]
	global_load_b32 v15, v[12:13], off
	global_load_b32 v17, v[10:11], off
	s_wait_xcnt 0x0
	v_dual_mov_b32 v10, v0 :: v_dual_ashrrev_i32 v11, 31, v0
	v_add_nc_u32_e32 v0, s2, v0
	s_delay_alu instid0(VALU_DEP_2) | instskip(NEXT) | instid1(VALU_DEP_2)
	v_lshl_add_u64 v[10:11], v[10:11], 2, v[8:9]
	v_cmp_le_i32_e32 vcc_lo, s8, v0
	s_or_b32 s6, vcc_lo, s6
	s_wait_loadcnt 0x3
	v_add_f32_e32 v7, v7, v16
	s_wait_loadcnt 0x2
	s_delay_alu instid0(VALU_DEP_1) | instskip(SKIP_1) | instid1(VALU_DEP_1)
	v_add_f32_e32 v7, v7, v14
	s_wait_loadcnt 0x1
	v_add_f32_e32 v7, v7, v15
	s_wait_loadcnt 0x0
	s_delay_alu instid0(VALU_DEP_1)
	v_add_f32_e32 v7, v7, v17
	global_store_b32 v[10:11], v7, off
	s_wait_xcnt 0x0
	s_and_not1_b32 exec_lo, exec_lo, s6
	s_cbranch_execz .LBB63_6
.LBB63_4:                               ; =>This Inner Loop Header: Depth=1
	v_mov_b32_e32 v7, 0
	s_and_not1_b32 vcc_lo, exec_lo, s3
	s_cbranch_vccnz .LBB63_3
; %bb.5:                                ;   in Loop: Header=BB63_4 Depth=1
	v_ashrrev_i32_e32 v7, 31, v6
	s_delay_alu instid0(VALU_DEP_1)
	v_lshl_add_u64 v[10:11], v[6:7], 1, v[4:5]
	global_load_u16 v7, v[10:11], off
	s_wait_loadcnt 0x0
	v_cvt_f32_f16_e32 v7, v7
	s_branch .LBB63_3
.LBB63_6:
	s_endpgm
	.section	.rodata,"a",@progbits
	.p2align	6, 0x0
	.amdhsa_kernel _ZL11k_bin_bcastIXadL_ZL6op_addffEE6__halfffJPKfS2_S2_S2_EEvPKT0_PKT1_PT2_iii15HIP_vector_typeIjLj3EESC_SC_SC_SC_iiiiiiiiiiiDpT3_
		.amdhsa_group_segment_fixed_size 0
		.amdhsa_private_segment_fixed_size 0
		.amdhsa_kernarg_size 432
		.amdhsa_user_sgpr_count 2
		.amdhsa_user_sgpr_dispatch_ptr 0
		.amdhsa_user_sgpr_queue_ptr 0
		.amdhsa_user_sgpr_kernarg_segment_ptr 1
		.amdhsa_user_sgpr_dispatch_id 0
		.amdhsa_user_sgpr_kernarg_preload_length 0
		.amdhsa_user_sgpr_kernarg_preload_offset 0
		.amdhsa_user_sgpr_private_segment_size 0
		.amdhsa_wavefront_size32 1
		.amdhsa_uses_dynamic_stack 0
		.amdhsa_enable_private_segment 0
		.amdhsa_system_sgpr_workgroup_id_x 1
		.amdhsa_system_sgpr_workgroup_id_y 1
		.amdhsa_system_sgpr_workgroup_id_z 1
		.amdhsa_system_sgpr_workgroup_info 0
		.amdhsa_system_vgpr_workitem_id 2
		.amdhsa_next_free_vgpr 18
		.amdhsa_next_free_sgpr 39
		.amdhsa_named_barrier_count 0
		.amdhsa_reserve_vcc 1
		.amdhsa_float_round_mode_32 0
		.amdhsa_float_round_mode_16_64 0
		.amdhsa_float_denorm_mode_32 3
		.amdhsa_float_denorm_mode_16_64 3
		.amdhsa_fp16_overflow 0
		.amdhsa_memory_ordered 1
		.amdhsa_forward_progress 1
		.amdhsa_inst_pref_size 8
		.amdhsa_round_robin_scheduling 0
		.amdhsa_exception_fp_ieee_invalid_op 0
		.amdhsa_exception_fp_denorm_src 0
		.amdhsa_exception_fp_ieee_div_zero 0
		.amdhsa_exception_fp_ieee_overflow 0
		.amdhsa_exception_fp_ieee_underflow 0
		.amdhsa_exception_fp_ieee_inexact 0
		.amdhsa_exception_int_div_zero 0
	.end_amdhsa_kernel
	.section	.text._ZL11k_bin_bcastIXadL_ZL6op_addffEE6__halfffJPKfS2_S2_S2_EEvPKT0_PKT1_PT2_iii15HIP_vector_typeIjLj3EESC_SC_SC_SC_iiiiiiiiiiiDpT3_,"axG",@progbits,_ZL11k_bin_bcastIXadL_ZL6op_addffEE6__halfffJPKfS2_S2_S2_EEvPKT0_PKT1_PT2_iii15HIP_vector_typeIjLj3EESC_SC_SC_SC_iiiiiiiiiiiDpT3_,comdat
.Lfunc_end63:
	.size	_ZL11k_bin_bcastIXadL_ZL6op_addffEE6__halfffJPKfS2_S2_S2_EEvPKT0_PKT1_PT2_iii15HIP_vector_typeIjLj3EESC_SC_SC_SC_iiiiiiiiiiiDpT3_, .Lfunc_end63-_ZL11k_bin_bcastIXadL_ZL6op_addffEE6__halfffJPKfS2_S2_S2_EEvPKT0_PKT1_PT2_iii15HIP_vector_typeIjLj3EESC_SC_SC_SC_iiiiiiiiiiiDpT3_
                                        ; -- End function
	.set _ZL11k_bin_bcastIXadL_ZL6op_addffEE6__halfffJPKfS2_S2_S2_EEvPKT0_PKT1_PT2_iii15HIP_vector_typeIjLj3EESC_SC_SC_SC_iiiiiiiiiiiDpT3_.num_vgpr, 18
	.set _ZL11k_bin_bcastIXadL_ZL6op_addffEE6__halfffJPKfS2_S2_S2_EEvPKT0_PKT1_PT2_iii15HIP_vector_typeIjLj3EESC_SC_SC_SC_iiiiiiiiiiiDpT3_.num_agpr, 0
	.set _ZL11k_bin_bcastIXadL_ZL6op_addffEE6__halfffJPKfS2_S2_S2_EEvPKT0_PKT1_PT2_iii15HIP_vector_typeIjLj3EESC_SC_SC_SC_iiiiiiiiiiiDpT3_.numbered_sgpr, 39
	.set _ZL11k_bin_bcastIXadL_ZL6op_addffEE6__halfffJPKfS2_S2_S2_EEvPKT0_PKT1_PT2_iii15HIP_vector_typeIjLj3EESC_SC_SC_SC_iiiiiiiiiiiDpT3_.num_named_barrier, 0
	.set _ZL11k_bin_bcastIXadL_ZL6op_addffEE6__halfffJPKfS2_S2_S2_EEvPKT0_PKT1_PT2_iii15HIP_vector_typeIjLj3EESC_SC_SC_SC_iiiiiiiiiiiDpT3_.private_seg_size, 0
	.set _ZL11k_bin_bcastIXadL_ZL6op_addffEE6__halfffJPKfS2_S2_S2_EEvPKT0_PKT1_PT2_iii15HIP_vector_typeIjLj3EESC_SC_SC_SC_iiiiiiiiiiiDpT3_.uses_vcc, 1
	.set _ZL11k_bin_bcastIXadL_ZL6op_addffEE6__halfffJPKfS2_S2_S2_EEvPKT0_PKT1_PT2_iii15HIP_vector_typeIjLj3EESC_SC_SC_SC_iiiiiiiiiiiDpT3_.uses_flat_scratch, 0
	.set _ZL11k_bin_bcastIXadL_ZL6op_addffEE6__halfffJPKfS2_S2_S2_EEvPKT0_PKT1_PT2_iii15HIP_vector_typeIjLj3EESC_SC_SC_SC_iiiiiiiiiiiDpT3_.has_dyn_sized_stack, 0
	.set _ZL11k_bin_bcastIXadL_ZL6op_addffEE6__halfffJPKfS2_S2_S2_EEvPKT0_PKT1_PT2_iii15HIP_vector_typeIjLj3EESC_SC_SC_SC_iiiiiiiiiiiDpT3_.has_recursion, 0
	.set _ZL11k_bin_bcastIXadL_ZL6op_addffEE6__halfffJPKfS2_S2_S2_EEvPKT0_PKT1_PT2_iii15HIP_vector_typeIjLj3EESC_SC_SC_SC_iiiiiiiiiiiDpT3_.has_indirect_call, 0
	.section	.AMDGPU.csdata,"",@progbits
; Kernel info:
; codeLenInByte = 968
; TotalNumSgprs: 41
; NumVgprs: 18
; ScratchSize: 0
; MemoryBound: 0
; FloatMode: 240
; IeeeMode: 1
; LDSByteSize: 0 bytes/workgroup (compile time only)
; SGPRBlocks: 0
; VGPRBlocks: 1
; NumSGPRsForWavesPerEU: 41
; NumVGPRsForWavesPerEU: 18
; NamedBarCnt: 0
; Occupancy: 16
; WaveLimiterHint : 1
; COMPUTE_PGM_RSRC2:SCRATCH_EN: 0
; COMPUTE_PGM_RSRC2:USER_SGPR: 2
; COMPUTE_PGM_RSRC2:TRAP_HANDLER: 0
; COMPUTE_PGM_RSRC2:TGID_X_EN: 1
; COMPUTE_PGM_RSRC2:TGID_Y_EN: 1
; COMPUTE_PGM_RSRC2:TGID_Z_EN: 1
; COMPUTE_PGM_RSRC2:TIDIG_COMP_CNT: 2
	.section	.text._ZL19k_bin_bcast_unravelIXadL_ZL6op_addffEEfffJPKfS1_S1_S1_S1_EEvPKT0_PKT1_PT2_15HIP_vector_typeIjLj3EESB_SB_jSB_SB_SB_SB_SB_SB_iiiiiiiiiiiDpT3_,"axG",@progbits,_ZL19k_bin_bcast_unravelIXadL_ZL6op_addffEEfffJPKfS1_S1_S1_S1_EEvPKT0_PKT1_PT2_15HIP_vector_typeIjLj3EESB_SB_jSB_SB_SB_SB_SB_SB_iiiiiiiiiiiDpT3_,comdat
	.globl	_ZL19k_bin_bcast_unravelIXadL_ZL6op_addffEEfffJPKfS1_S1_S1_S1_EEvPKT0_PKT1_PT2_15HIP_vector_typeIjLj3EESB_SB_jSB_SB_SB_SB_SB_SB_iiiiiiiiiiiDpT3_ ; -- Begin function _ZL19k_bin_bcast_unravelIXadL_ZL6op_addffEEfffJPKfS1_S1_S1_S1_EEvPKT0_PKT1_PT2_15HIP_vector_typeIjLj3EESB_SB_jSB_SB_SB_SB_SB_SB_iiiiiiiiiiiDpT3_
	.p2align	8
	.type	_ZL19k_bin_bcast_unravelIXadL_ZL6op_addffEEfffJPKfS1_S1_S1_S1_EEvPKT0_PKT1_PT2_15HIP_vector_typeIjLj3EESB_SB_jSB_SB_SB_SB_SB_SB_iiiiiiiiiiiDpT3_,@function
_ZL19k_bin_bcast_unravelIXadL_ZL6op_addffEEfffJPKfS1_S1_S1_S1_EEvPKT0_PKT1_PT2_15HIP_vector_typeIjLj3EESB_SB_jSB_SB_SB_SB_SB_SB_iiiiiiiiiiiDpT3_: ; @_ZL19k_bin_bcast_unravelIXadL_ZL6op_addffEEfffJPKfS1_S1_S1_S1_EEvPKT0_PKT1_PT2_15HIP_vector_typeIjLj3EESB_SB_jSB_SB_SB_SB_SB_SB_iiiiiiiiiiiDpT3_
; %bb.0:
	s_load_b32 s2, s[0:1], 0xec
	s_bfe_u32 s3, ttmp6, 0x4000c
	s_load_b256 s[4:11], s[0:1], 0x38
	s_add_co_i32 s3, s3, 1
	s_and_b32 s12, ttmp6, 15
	s_mul_i32 s3, ttmp9, s3
	s_getreg_b32 s13, hwreg(HW_REG_IB_STS2, 6, 4)
	s_add_co_i32 s12, s12, s3
	s_wait_kmcnt 0x0
	s_and_b32 s2, s2, 0xffff
	s_cmp_eq_u32 s13, 0
	s_cselect_b32 s3, ttmp9, s12
	s_delay_alu instid0(SALU_CYCLE_1) | instskip(SKIP_1) | instid1(VALU_DEP_1)
	v_mad_u32 v0, s3, s2, v0
	s_load_b32 s2, s[0:1], 0x2c
	v_mul_hi_u32 v1, v0, s6
	s_delay_alu instid0(VALU_DEP_1) | instskip(NEXT) | instid1(VALU_DEP_1)
	v_add_nc_u32_e32 v1, v0, v1
	v_lshrrev_b32_e32 v1, s7, v1
	s_delay_alu instid0(VALU_DEP_1) | instskip(NEXT) | instid1(VALU_DEP_1)
	v_mul_lo_u32 v2, v1, s8
	v_sub_nc_u32_e32 v0, v0, v2
	s_delay_alu instid0(VALU_DEP_1) | instskip(NEXT) | instid1(VALU_DEP_1)
	v_mul_hi_u32 v2, v0, s9
	v_add_nc_u32_e32 v2, v0, v2
	s_delay_alu instid0(VALU_DEP_1) | instskip(SKIP_1) | instid1(VALU_DEP_1)
	v_lshrrev_b32_e32 v2, s10, v2
	s_load_b96 s[8:10], s[0:1], 0x18
	v_mul_lo_u32 v3, v2, s11
	s_delay_alu instid0(VALU_DEP_1) | instskip(SKIP_3) | instid1(VALU_DEP_3)
	v_sub_nc_u32_e32 v0, v0, v3
	v_cmp_gt_u32_e64 s3, s4, v2
	v_cmp_gt_u32_e64 s4, s5, v1
	s_wait_kmcnt 0x0
	v_mul_hi_u32 v3, v0, s8
	s_delay_alu instid0(VALU_DEP_1) | instskip(NEXT) | instid1(VALU_DEP_1)
	v_add_nc_u32_e32 v3, v0, v3
	v_lshrrev_b32_e32 v4, s9, v3
	s_delay_alu instid0(VALU_DEP_1) | instskip(NEXT) | instid1(VALU_DEP_1)
	v_mul_lo_u32 v3, v4, s10
	v_sub_nc_u32_e32 v0, v0, v3
	v_cmp_gt_u32_e64 s2, s2, v4
	s_delay_alu instid0(VALU_DEP_2) | instskip(SKIP_1) | instid1(SALU_CYCLE_1)
	v_cmp_gt_u32_e32 vcc_lo, s10, v0
	s_and_b32 s2, vcc_lo, s2
	s_and_b32 s2, s2, s3
	s_delay_alu instid0(SALU_CYCLE_1) | instskip(NEXT) | instid1(SALU_CYCLE_1)
	s_and_b32 s2, s4, s2
	s_and_saveexec_b32 s3, s2
	s_cbranch_execz .LBB64_4
; %bb.1:
	s_clause 0x4
	s_load_b64 s[2:3], s[0:1], 0x0
	s_load_b96 s[24:26], s[0:1], 0xa8
	s_load_b256 s[4:11], s[0:1], 0x88
	s_load_b128 s[20:23], s[0:1], 0x78
	s_load_b256 s[12:19], s[0:1], 0x58
	v_dual_mov_b32 v3, 0 :: v_dual_mov_b32 v5, 0
	s_wait_kmcnt 0x0
	s_cmp_eq_u64 s[2:3], 0
	s_cbranch_scc1 .LBB64_3
; %bb.2:
	v_mul_lo_u32 v5, v1, s10
	v_mov_b32_e32 v7, 0
	s_delay_alu instid0(VALU_DEP_2) | instskip(NEXT) | instid1(VALU_DEP_1)
	v_mad_u32 v5, v2, s9, v5
	v_mad_u32 v6, v4, s8, v5
	s_delay_alu instid0(VALU_DEP_1) | instskip(SKIP_1) | instid1(VALU_DEP_1)
	v_lshl_add_u64 v[8:9], v[6:7], 2, s[2:3]
	v_mul_lo_u32 v6, v0, s7
	v_lshl_add_u64 v[6:7], v[6:7], 2, v[8:9]
	global_load_b32 v5, v[6:7], off
.LBB64_3:
	s_wait_xcnt 0x0
	v_mul_hi_u32 v6, s21, v1
	v_mul_hi_u32 v7, s18, v2
	;; [unrolled: 1-line block ×4, first 2 shown]
	s_load_b64 s[2:3], s[0:1], 0xd8
	s_delay_alu instid0(VALU_DEP_3) | instskip(NEXT) | instid1(VALU_DEP_1)
	v_dual_add_nc_u32 v6, v1, v6 :: v_dual_add_nc_u32 v7, v2, v7
	v_dual_lshrrev_b32 v6, s22, v6 :: v_dual_lshrrev_b32 v7, s19, v7
	s_delay_alu instid0(VALU_DEP_1) | instskip(SKIP_1) | instid1(VALU_DEP_3)
	v_mul_lo_u32 v6, v6, s23
	v_add_nc_u32_e32 v8, v4, v8
	v_mul_lo_u32 v7, v7, s20
	s_delay_alu instid0(VALU_DEP_3) | instskip(NEXT) | instid1(VALU_DEP_3)
	v_dual_sub_nc_u32 v6, v1, v6 :: v_dual_add_nc_u32 v9, v0, v9
	v_lshrrev_b32_e32 v8, s16, v8
	v_mul_lo_u32 v1, v1, s6
	s_delay_alu instid0(VALU_DEP_4) | instskip(NEXT) | instid1(VALU_DEP_4)
	v_sub_nc_u32_e32 v7, v2, v7
	v_mul_lo_u32 v6, v6, s26
	v_lshrrev_b32_e32 v9, s13, v9
	v_mul_lo_u32 v8, v8, s17
	s_delay_alu instid0(VALU_DEP_2) | instskip(SKIP_2) | instid1(VALU_DEP_4)
	v_mul_lo_u32 v9, v9, s14
	v_mad_u32 v1, v2, s5, v1
	v_mad_u32 v7, v7, s25, v6
	v_sub_nc_u32_e32 v8, v4, v8
	s_delay_alu instid0(VALU_DEP_3) | instskip(NEXT) | instid1(VALU_DEP_2)
	v_mad_u32 v2, v4, s4, v1
	v_mad_u32 v8, v8, s24, v7
	s_delay_alu instid0(VALU_DEP_1) | instskip(NEXT) | instid1(VALU_DEP_1)
	v_dual_sub_nc_u32 v6, v0, v9 :: v_dual_ashrrev_i32 v9, 31, v8
	v_mul_lo_u32 v6, v6, s11
	s_load_b256 s[8:15], s[0:1], 0xb8
	s_delay_alu instid0(VALU_DEP_1) | instskip(SKIP_2) | instid1(VALU_DEP_1)
	v_ashrrev_i32_e32 v7, 31, v6
	s_wait_xcnt 0x0
	s_load_b64 s[0:1], s[0:1], 0x10
	v_add_nc_u64_e32 v[6:7], v[6:7], v[8:9]
	s_delay_alu instid0(VALU_DEP_1) | instskip(SKIP_1) | instid1(VALU_DEP_1)
	v_lshlrev_b64_e32 v[6:7], 2, v[6:7]
	s_wait_kmcnt 0x0
	v_add_nc_u64_e32 v[8:9], s[8:9], v[6:7]
	v_add_nc_u64_e32 v[10:11], s[10:11], v[6:7]
	global_load_b32 v12, v[8:9], off
	s_wait_xcnt 0x0
	v_add_nc_u64_e32 v[8:9], s[12:13], v[6:7]
	global_load_b32 v13, v[10:11], off
	s_wait_xcnt 0x0
	v_add_nc_u64_e32 v[10:11], s[14:15], v[6:7]
	v_add_nc_u64_e32 v[6:7], s[2:3], v[6:7]
	global_load_b32 v8, v[8:9], off
	global_load_b32 v9, v[10:11], off
	;; [unrolled: 1-line block ×3, first 2 shown]
	s_wait_loadcnt 0x4
	v_add_f32_e32 v5, v5, v12
	s_wait_loadcnt 0x3
	s_delay_alu instid0(VALU_DEP_1) | instskip(SKIP_1) | instid1(VALU_DEP_1)
	v_add_f32_e32 v1, v5, v13
	s_wait_loadcnt 0x2
	v_dual_add_f32 v4, v1, v8 :: v_dual_mov_b32 v1, v3
	v_lshl_add_u64 v[2:3], v[2:3], 2, s[0:1]
	s_wait_loadcnt 0x1
	s_delay_alu instid0(VALU_DEP_2) | instskip(NEXT) | instid1(VALU_DEP_2)
	v_add_f32_e32 v4, v4, v9
	v_lshl_add_u64 v[0:1], v[0:1], 2, v[2:3]
	s_wait_loadcnt 0x0
	s_delay_alu instid0(VALU_DEP_2)
	v_add_f32_e32 v4, v4, v14
	global_store_b32 v[0:1], v4, off
.LBB64_4:
	s_endpgm
	.section	.rodata,"a",@progbits
	.p2align	6, 0x0
	.amdhsa_kernel _ZL19k_bin_bcast_unravelIXadL_ZL6op_addffEEfffJPKfS1_S1_S1_S1_EEvPKT0_PKT1_PT2_15HIP_vector_typeIjLj3EESB_SB_jSB_SB_SB_SB_SB_SB_iiiiiiiiiiiDpT3_
		.amdhsa_group_segment_fixed_size 0
		.amdhsa_private_segment_fixed_size 0
		.amdhsa_kernarg_size 480
		.amdhsa_user_sgpr_count 2
		.amdhsa_user_sgpr_dispatch_ptr 0
		.amdhsa_user_sgpr_queue_ptr 0
		.amdhsa_user_sgpr_kernarg_segment_ptr 1
		.amdhsa_user_sgpr_dispatch_id 0
		.amdhsa_user_sgpr_kernarg_preload_length 0
		.amdhsa_user_sgpr_kernarg_preload_offset 0
		.amdhsa_user_sgpr_private_segment_size 0
		.amdhsa_wavefront_size32 1
		.amdhsa_uses_dynamic_stack 0
		.amdhsa_enable_private_segment 0
		.amdhsa_system_sgpr_workgroup_id_x 1
		.amdhsa_system_sgpr_workgroup_id_y 0
		.amdhsa_system_sgpr_workgroup_id_z 0
		.amdhsa_system_sgpr_workgroup_info 0
		.amdhsa_system_vgpr_workitem_id 0
		.amdhsa_next_free_vgpr 15
		.amdhsa_next_free_sgpr 27
		.amdhsa_named_barrier_count 0
		.amdhsa_reserve_vcc 1
		.amdhsa_float_round_mode_32 0
		.amdhsa_float_round_mode_16_64 0
		.amdhsa_float_denorm_mode_32 3
		.amdhsa_float_denorm_mode_16_64 3
		.amdhsa_fp16_overflow 0
		.amdhsa_memory_ordered 1
		.amdhsa_forward_progress 1
		.amdhsa_inst_pref_size 7
		.amdhsa_round_robin_scheduling 0
		.amdhsa_exception_fp_ieee_invalid_op 0
		.amdhsa_exception_fp_denorm_src 0
		.amdhsa_exception_fp_ieee_div_zero 0
		.amdhsa_exception_fp_ieee_overflow 0
		.amdhsa_exception_fp_ieee_underflow 0
		.amdhsa_exception_fp_ieee_inexact 0
		.amdhsa_exception_int_div_zero 0
	.end_amdhsa_kernel
	.section	.text._ZL19k_bin_bcast_unravelIXadL_ZL6op_addffEEfffJPKfS1_S1_S1_S1_EEvPKT0_PKT1_PT2_15HIP_vector_typeIjLj3EESB_SB_jSB_SB_SB_SB_SB_SB_iiiiiiiiiiiDpT3_,"axG",@progbits,_ZL19k_bin_bcast_unravelIXadL_ZL6op_addffEEfffJPKfS1_S1_S1_S1_EEvPKT0_PKT1_PT2_15HIP_vector_typeIjLj3EESB_SB_jSB_SB_SB_SB_SB_SB_iiiiiiiiiiiDpT3_,comdat
.Lfunc_end64:
	.size	_ZL19k_bin_bcast_unravelIXadL_ZL6op_addffEEfffJPKfS1_S1_S1_S1_EEvPKT0_PKT1_PT2_15HIP_vector_typeIjLj3EESB_SB_jSB_SB_SB_SB_SB_SB_iiiiiiiiiiiDpT3_, .Lfunc_end64-_ZL19k_bin_bcast_unravelIXadL_ZL6op_addffEEfffJPKfS1_S1_S1_S1_EEvPKT0_PKT1_PT2_15HIP_vector_typeIjLj3EESB_SB_jSB_SB_SB_SB_SB_SB_iiiiiiiiiiiDpT3_
                                        ; -- End function
	.set _ZL19k_bin_bcast_unravelIXadL_ZL6op_addffEEfffJPKfS1_S1_S1_S1_EEvPKT0_PKT1_PT2_15HIP_vector_typeIjLj3EESB_SB_jSB_SB_SB_SB_SB_SB_iiiiiiiiiiiDpT3_.num_vgpr, 15
	.set _ZL19k_bin_bcast_unravelIXadL_ZL6op_addffEEfffJPKfS1_S1_S1_S1_EEvPKT0_PKT1_PT2_15HIP_vector_typeIjLj3EESB_SB_jSB_SB_SB_SB_SB_SB_iiiiiiiiiiiDpT3_.num_agpr, 0
	.set _ZL19k_bin_bcast_unravelIXadL_ZL6op_addffEEfffJPKfS1_S1_S1_S1_EEvPKT0_PKT1_PT2_15HIP_vector_typeIjLj3EESB_SB_jSB_SB_SB_SB_SB_SB_iiiiiiiiiiiDpT3_.numbered_sgpr, 27
	.set _ZL19k_bin_bcast_unravelIXadL_ZL6op_addffEEfffJPKfS1_S1_S1_S1_EEvPKT0_PKT1_PT2_15HIP_vector_typeIjLj3EESB_SB_jSB_SB_SB_SB_SB_SB_iiiiiiiiiiiDpT3_.num_named_barrier, 0
	.set _ZL19k_bin_bcast_unravelIXadL_ZL6op_addffEEfffJPKfS1_S1_S1_S1_EEvPKT0_PKT1_PT2_15HIP_vector_typeIjLj3EESB_SB_jSB_SB_SB_SB_SB_SB_iiiiiiiiiiiDpT3_.private_seg_size, 0
	.set _ZL19k_bin_bcast_unravelIXadL_ZL6op_addffEEfffJPKfS1_S1_S1_S1_EEvPKT0_PKT1_PT2_15HIP_vector_typeIjLj3EESB_SB_jSB_SB_SB_SB_SB_SB_iiiiiiiiiiiDpT3_.uses_vcc, 1
	.set _ZL19k_bin_bcast_unravelIXadL_ZL6op_addffEEfffJPKfS1_S1_S1_S1_EEvPKT0_PKT1_PT2_15HIP_vector_typeIjLj3EESB_SB_jSB_SB_SB_SB_SB_SB_iiiiiiiiiiiDpT3_.uses_flat_scratch, 0
	.set _ZL19k_bin_bcast_unravelIXadL_ZL6op_addffEEfffJPKfS1_S1_S1_S1_EEvPKT0_PKT1_PT2_15HIP_vector_typeIjLj3EESB_SB_jSB_SB_SB_SB_SB_SB_iiiiiiiiiiiDpT3_.has_dyn_sized_stack, 0
	.set _ZL19k_bin_bcast_unravelIXadL_ZL6op_addffEEfffJPKfS1_S1_S1_S1_EEvPKT0_PKT1_PT2_15HIP_vector_typeIjLj3EESB_SB_jSB_SB_SB_SB_SB_SB_iiiiiiiiiiiDpT3_.has_recursion, 0
	.set _ZL19k_bin_bcast_unravelIXadL_ZL6op_addffEEfffJPKfS1_S1_S1_S1_EEvPKT0_PKT1_PT2_15HIP_vector_typeIjLj3EESB_SB_jSB_SB_SB_SB_SB_SB_iiiiiiiiiiiDpT3_.has_indirect_call, 0
	.section	.AMDGPU.csdata,"",@progbits
; Kernel info:
; codeLenInByte = 852
; TotalNumSgprs: 29
; NumVgprs: 15
; ScratchSize: 0
; MemoryBound: 0
; FloatMode: 240
; IeeeMode: 1
; LDSByteSize: 0 bytes/workgroup (compile time only)
; SGPRBlocks: 0
; VGPRBlocks: 0
; NumSGPRsForWavesPerEU: 29
; NumVGPRsForWavesPerEU: 15
; NamedBarCnt: 0
; Occupancy: 16
; WaveLimiterHint : 1
; COMPUTE_PGM_RSRC2:SCRATCH_EN: 0
; COMPUTE_PGM_RSRC2:USER_SGPR: 2
; COMPUTE_PGM_RSRC2:TRAP_HANDLER: 0
; COMPUTE_PGM_RSRC2:TGID_X_EN: 1
; COMPUTE_PGM_RSRC2:TGID_Y_EN: 0
; COMPUTE_PGM_RSRC2:TGID_Z_EN: 0
; COMPUTE_PGM_RSRC2:TIDIG_COMP_CNT: 0
	.section	.text._ZL11k_bin_bcastIXadL_ZL6op_addffEEfffJPKfS1_S1_S1_S1_EEvPKT0_PKT1_PT2_iii15HIP_vector_typeIjLj3EESB_SB_SB_SB_iiiiiiiiiiiDpT3_,"axG",@progbits,_ZL11k_bin_bcastIXadL_ZL6op_addffEEfffJPKfS1_S1_S1_S1_EEvPKT0_PKT1_PT2_iii15HIP_vector_typeIjLj3EESB_SB_SB_SB_iiiiiiiiiiiDpT3_,comdat
	.globl	_ZL11k_bin_bcastIXadL_ZL6op_addffEEfffJPKfS1_S1_S1_S1_EEvPKT0_PKT1_PT2_iii15HIP_vector_typeIjLj3EESB_SB_SB_SB_iiiiiiiiiiiDpT3_ ; -- Begin function _ZL11k_bin_bcastIXadL_ZL6op_addffEEfffJPKfS1_S1_S1_S1_EEvPKT0_PKT1_PT2_iii15HIP_vector_typeIjLj3EESB_SB_SB_SB_iiiiiiiiiiiDpT3_
	.p2align	8
	.type	_ZL11k_bin_bcastIXadL_ZL6op_addffEEfffJPKfS1_S1_S1_S1_EEvPKT0_PKT1_PT2_iii15HIP_vector_typeIjLj3EESB_SB_SB_SB_iiiiiiiiiiiDpT3_,@function
_ZL11k_bin_bcastIXadL_ZL6op_addffEEfffJPKfS1_S1_S1_S1_EEvPKT0_PKT1_PT2_iii15HIP_vector_typeIjLj3EESB_SB_SB_SB_iiiiiiiiiiiDpT3_: ; @_ZL11k_bin_bcastIXadL_ZL6op_addffEEfffJPKfS1_S1_S1_S1_EEvPKT0_PKT1_PT2_iii15HIP_vector_typeIjLj3EESB_SB_SB_SB_iiiiiiiiiiiDpT3_
; %bb.0:
	s_load_b64 s[2:3], s[0:1], 0xc4
	s_bfe_u32 s5, ttmp6, 0x40014
	s_bfe_u32 s7, ttmp6, 0x40010
	;; [unrolled: 1-line block ×3, first 2 shown]
	s_lshr_b32 s4, ttmp7, 16
	s_and_b32 s16, ttmp7, 0xffff
	s_add_co_i32 s5, s5, 1
	s_add_co_i32 s7, s7, 1
	s_load_b256 s[8:15], s[0:1], 0x18
	s_add_co_i32 s19, s19, 1
	s_bfe_u32 s6, ttmp6, 0x40008
	s_bfe_u32 s17, ttmp6, 0x40004
	s_mul_i32 s5, s4, s5
	s_mul_i32 s7, s16, s7
	s_and_b32 s18, ttmp6, 15
	s_mul_i32 s19, ttmp9, s19
	s_add_co_i32 s6, s6, s5
	s_add_co_i32 s17, s17, s7
	;; [unrolled: 1-line block ×3, first 2 shown]
	v_bfe_u32 v1, v0, 20, 10
	s_wait_kmcnt 0x0
	s_lshr_b32 s5, s2, 16
	s_and_b32 s7, s2, 0xffff
	s_getreg_b32 s2, hwreg(HW_REG_IB_STS2, 6, 4)
	s_and_b32 s3, s3, 0xffff
	s_cmp_eq_u32 s2, 0
	v_and_b32_e32 v2, 0x3ff, v0
	s_cselect_b32 s2, s4, s6
	v_bfe_u32 v4, v0, 10, 10
	v_mad_u32 v3, s2, s3, v1
	s_cselect_b32 s2, ttmp9, s18
	s_cselect_b32 s3, s16, s17
	v_mad_u32 v0, s2, s7, v2
	v_mad_u32 v2, s3, s5, v4
	s_delay_alu instid0(VALU_DEP_3) | instskip(NEXT) | instid1(VALU_DEP_3)
	v_mul_hi_u32 v1, v3, s11
	v_cmp_gt_u32_e32 vcc_lo, s8, v0
	s_delay_alu instid0(VALU_DEP_3) | instskip(SKIP_2) | instid1(VALU_DEP_1)
	v_cmp_gt_u32_e64 s2, s9, v2
	s_and_b32 s2, vcc_lo, s2
	v_add_nc_u32_e32 v1, v3, v1
	v_lshrrev_b32_e32 v1, s12, v1
	s_delay_alu instid0(VALU_DEP_1) | instskip(SKIP_3) | instid1(VALU_DEP_1)
	v_mul_lo_u32 v5, v1, s13
	v_cmp_gt_u32_e64 s3, s10, v1
	s_and_b32 s2, s2, s3
	v_sub_nc_u32_e32 v3, v3, v5
	v_cmp_gt_u32_e64 s4, s13, v3
	s_and_b32 s2, s2, s4
	s_delay_alu instid0(SALU_CYCLE_1)
	s_and_saveexec_b32 s3, s2
	s_cbranch_execz .LBB65_6
; %bb.1:
	v_cmp_gt_i32_e32 vcc_lo, s8, v0
	s_and_b32 exec_lo, exec_lo, vcc_lo
	s_cbranch_execz .LBB65_6
; %bb.2:
	s_clause 0x5
	s_load_b256 s[24:31], s[0:1], 0x3c
	s_load_b32 s2, s[0:1], 0x5c
	s_load_b256 s[16:23], s[0:1], 0x60
	s_load_b96 s[4:6], s[0:1], 0x80
	s_load_b64 s[10:11], s[0:1], 0x0
	s_load_b64 s[12:13], s[0:1], 0x10
	s_wait_kmcnt 0x0
	v_mul_hi_u32 v4, s30, v3
	v_mul_hi_u32 v5, s27, v1
	;; [unrolled: 1-line block ×3, first 2 shown]
	v_mul_lo_u32 v7, v2, s20
	v_mul_lo_u32 v8, v2, s16
	s_cmp_lg_u64 s[10:11], 0
	s_delay_alu instid0(VALU_DEP_4) | instskip(NEXT) | instid1(VALU_DEP_3)
	v_dual_add_nc_u32 v4, v3, v4 :: v_dual_add_nc_u32 v5, v1, v5
	v_mad_u32 v7, v1, s21, v7
	s_delay_alu instid0(VALU_DEP_3) | instskip(NEXT) | instid1(VALU_DEP_3)
	v_mad_u32 v8, v1, s17, v8
	v_dual_lshrrev_b32 v4, s31, v4 :: v_dual_lshrrev_b32 v5, s28, v5
	s_delay_alu instid0(VALU_DEP_1) | instskip(SKIP_1) | instid1(VALU_DEP_3)
	v_mul_lo_u32 v4, v4, s2
	v_add_nc_u32_e32 v6, v2, v6
	v_mul_lo_u32 v5, v5, s29
	s_add_nc_u64 s[2:3], s[0:1], 0xb8
	v_mad_u32 v8, v3, s18, v8
	s_delay_alu instid0(VALU_DEP_3) | instskip(NEXT) | instid1(VALU_DEP_3)
	v_dual_sub_nc_u32 v4, v3, v4 :: v_dual_lshrrev_b32 v6, s25, v6
	v_sub_nc_u32_e32 v5, v1, v5
	s_delay_alu instid0(VALU_DEP_2) | instskip(NEXT) | instid1(VALU_DEP_3)
	v_mul_lo_u32 v9, v4, s6
	v_mul_lo_u32 v6, v6, s26
	s_load_b32 s6, s[2:3], 0x0
	s_load_b32 s9, s[0:1], 0x38
	v_mad_u32 v4, v3, s22, v7
	s_wait_xcnt 0x0
	s_clause 0x1
	s_load_b64 s[2:3], s[0:1], 0xb0
	s_load_b256 s[24:31], s[0:1], 0x90
	v_mov_b32_e32 v1, 0
	s_wait_xcnt 0x0
	s_mov_b32 s1, 0
	s_mov_b32 s0, s14
	v_mad_u32 v7, v5, s5, v9
	v_sub_nc_u32_e32 v2, v2, v6
	v_mul_lo_u32 v6, s19, v0
	v_dual_mov_b32 v5, v1 :: v_dual_mov_b32 v9, v1
	v_mov_b32_e32 v3, v1
	s_cselect_b32 s5, -1, 0
	s_delay_alu instid0(VALU_DEP_2) | instskip(NEXT) | instid1(VALU_DEP_3)
	v_lshl_add_u64 v[4:5], v[4:5], 2, s[10:11]
	v_lshl_add_u64 v[8:9], v[8:9], 2, s[12:13]
	v_mad_u32 v2, v2, s4, v7
	s_wait_kmcnt 0x0
	s_mul_i32 s4, s6, s7
	s_sub_co_i32 s7, 0, s9
	s_mul_i32 s6, s4, s19
	s_mov_b32 s9, s1
	s_branch .LBB65_4
.LBB65_3:                               ;   in Loop: Header=BB65_4 Depth=1
	s_wait_xcnt 0x0
	v_mul_u64_e32 v[10:11], s[0:1], v[0:1]
	s_delay_alu instid0(VALU_DEP_1) | instskip(NEXT) | instid1(VALU_DEP_1)
	v_dual_add_nc_u32 v6, s6, v6 :: v_dual_add_nc_u32 v10, v0, v11
	v_dual_mov_b32 v11, v1 :: v_dual_lshrrev_b32 v10, s15, v10
	s_delay_alu instid0(VALU_DEP_1) | instskip(NEXT) | instid1(VALU_DEP_1)
	v_mad_u32 v10, s7, v10, v0
	v_mul_lo_u32 v10, v10, s23
	s_delay_alu instid0(VALU_DEP_1) | instskip(NEXT) | instid1(VALU_DEP_1)
	v_add_nc_u64_e32 v[10:11], v[10:11], v[2:3]
	v_lshlrev_b64_e32 v[10:11], 2, v[10:11]
	s_delay_alu instid0(VALU_DEP_1)
	v_add_nc_u64_e32 v[12:13], s[24:25], v[10:11]
	v_add_nc_u64_e32 v[14:15], s[26:27], v[10:11]
	global_load_b32 v16, v[12:13], off
	s_wait_xcnt 0x0
	v_add_nc_u64_e32 v[12:13], s[28:29], v[10:11]
	global_load_b32 v17, v[14:15], off
	s_wait_xcnt 0x0
	v_add_nc_u64_e32 v[14:15], s[30:31], v[10:11]
	v_add_nc_u64_e32 v[10:11], s[2:3], v[10:11]
	global_load_b32 v12, v[12:13], off
	global_load_b32 v13, v[14:15], off
	;; [unrolled: 1-line block ×3, first 2 shown]
	s_wait_xcnt 0x0
	v_dual_mov_b32 v10, v0 :: v_dual_ashrrev_i32 v11, 31, v0
	s_delay_alu instid0(VALU_DEP_1) | instskip(SKIP_3) | instid1(VALU_DEP_1)
	v_lshl_add_u64 v[10:11], v[10:11], 2, v[8:9]
	s_wait_loadcnt 0x4
	v_add_f32_e32 v7, v7, v16
	s_wait_loadcnt 0x3
	v_add_f32_e32 v7, v7, v17
	s_wait_loadcnt 0x2
	s_delay_alu instid0(VALU_DEP_1) | instskip(SKIP_1) | instid1(VALU_DEP_1)
	v_add_f32_e32 v7, v7, v12
	s_wait_loadcnt 0x1
	v_dual_add_f32 v7, v7, v13 :: v_dual_add_nc_u32 v0, s4, v0
	s_delay_alu instid0(VALU_DEP_1) | instskip(SKIP_1) | instid1(VALU_DEP_2)
	v_cmp_le_i32_e32 vcc_lo, s8, v0
	s_wait_loadcnt 0x0
	v_add_f32_e32 v7, v7, v18
	s_or_b32 s9, vcc_lo, s9
	global_store_b32 v[10:11], v7, off
	s_wait_xcnt 0x0
	s_and_not1_b32 exec_lo, exec_lo, s9
	s_cbranch_execz .LBB65_6
.LBB65_4:                               ; =>This Inner Loop Header: Depth=1
	v_mov_b32_e32 v7, 0
	s_and_not1_b32 vcc_lo, exec_lo, s5
	s_cbranch_vccnz .LBB65_3
; %bb.5:                                ;   in Loop: Header=BB65_4 Depth=1
	v_ashrrev_i32_e32 v7, 31, v6
	s_delay_alu instid0(VALU_DEP_1)
	v_lshl_add_u64 v[10:11], v[6:7], 2, v[4:5]
	global_load_b32 v7, v[10:11], off
	s_branch .LBB65_3
.LBB65_6:
	s_endpgm
	.section	.rodata,"a",@progbits
	.p2align	6, 0x0
	.amdhsa_kernel _ZL11k_bin_bcastIXadL_ZL6op_addffEEfffJPKfS1_S1_S1_S1_EEvPKT0_PKT1_PT2_iii15HIP_vector_typeIjLj3EESB_SB_SB_SB_iiiiiiiiiiiDpT3_
		.amdhsa_group_segment_fixed_size 0
		.amdhsa_private_segment_fixed_size 0
		.amdhsa_kernarg_size 440
		.amdhsa_user_sgpr_count 2
		.amdhsa_user_sgpr_dispatch_ptr 0
		.amdhsa_user_sgpr_queue_ptr 0
		.amdhsa_user_sgpr_kernarg_segment_ptr 1
		.amdhsa_user_sgpr_dispatch_id 0
		.amdhsa_user_sgpr_kernarg_preload_length 0
		.amdhsa_user_sgpr_kernarg_preload_offset 0
		.amdhsa_user_sgpr_private_segment_size 0
		.amdhsa_wavefront_size32 1
		.amdhsa_uses_dynamic_stack 0
		.amdhsa_enable_private_segment 0
		.amdhsa_system_sgpr_workgroup_id_x 1
		.amdhsa_system_sgpr_workgroup_id_y 1
		.amdhsa_system_sgpr_workgroup_id_z 1
		.amdhsa_system_sgpr_workgroup_info 0
		.amdhsa_system_vgpr_workitem_id 2
		.amdhsa_next_free_vgpr 19
		.amdhsa_next_free_sgpr 32
		.amdhsa_named_barrier_count 0
		.amdhsa_reserve_vcc 1
		.amdhsa_float_round_mode_32 0
		.amdhsa_float_round_mode_16_64 0
		.amdhsa_float_denorm_mode_32 3
		.amdhsa_float_denorm_mode_16_64 3
		.amdhsa_fp16_overflow 0
		.amdhsa_memory_ordered 1
		.amdhsa_forward_progress 1
		.amdhsa_inst_pref_size 8
		.amdhsa_round_robin_scheduling 0
		.amdhsa_exception_fp_ieee_invalid_op 0
		.amdhsa_exception_fp_denorm_src 0
		.amdhsa_exception_fp_ieee_div_zero 0
		.amdhsa_exception_fp_ieee_overflow 0
		.amdhsa_exception_fp_ieee_underflow 0
		.amdhsa_exception_fp_ieee_inexact 0
		.amdhsa_exception_int_div_zero 0
	.end_amdhsa_kernel
	.section	.text._ZL11k_bin_bcastIXadL_ZL6op_addffEEfffJPKfS1_S1_S1_S1_EEvPKT0_PKT1_PT2_iii15HIP_vector_typeIjLj3EESB_SB_SB_SB_iiiiiiiiiiiDpT3_,"axG",@progbits,_ZL11k_bin_bcastIXadL_ZL6op_addffEEfffJPKfS1_S1_S1_S1_EEvPKT0_PKT1_PT2_iii15HIP_vector_typeIjLj3EESB_SB_SB_SB_iiiiiiiiiiiDpT3_,comdat
.Lfunc_end65:
	.size	_ZL11k_bin_bcastIXadL_ZL6op_addffEEfffJPKfS1_S1_S1_S1_EEvPKT0_PKT1_PT2_iii15HIP_vector_typeIjLj3EESB_SB_SB_SB_iiiiiiiiiiiDpT3_, .Lfunc_end65-_ZL11k_bin_bcastIXadL_ZL6op_addffEEfffJPKfS1_S1_S1_S1_EEvPKT0_PKT1_PT2_iii15HIP_vector_typeIjLj3EESB_SB_SB_SB_iiiiiiiiiiiDpT3_
                                        ; -- End function
	.set _ZL11k_bin_bcastIXadL_ZL6op_addffEEfffJPKfS1_S1_S1_S1_EEvPKT0_PKT1_PT2_iii15HIP_vector_typeIjLj3EESB_SB_SB_SB_iiiiiiiiiiiDpT3_.num_vgpr, 19
	.set _ZL11k_bin_bcastIXadL_ZL6op_addffEEfffJPKfS1_S1_S1_S1_EEvPKT0_PKT1_PT2_iii15HIP_vector_typeIjLj3EESB_SB_SB_SB_iiiiiiiiiiiDpT3_.num_agpr, 0
	.set _ZL11k_bin_bcastIXadL_ZL6op_addffEEfffJPKfS1_S1_S1_S1_EEvPKT0_PKT1_PT2_iii15HIP_vector_typeIjLj3EESB_SB_SB_SB_iiiiiiiiiiiDpT3_.numbered_sgpr, 32
	.set _ZL11k_bin_bcastIXadL_ZL6op_addffEEfffJPKfS1_S1_S1_S1_EEvPKT0_PKT1_PT2_iii15HIP_vector_typeIjLj3EESB_SB_SB_SB_iiiiiiiiiiiDpT3_.num_named_barrier, 0
	.set _ZL11k_bin_bcastIXadL_ZL6op_addffEEfffJPKfS1_S1_S1_S1_EEvPKT0_PKT1_PT2_iii15HIP_vector_typeIjLj3EESB_SB_SB_SB_iiiiiiiiiiiDpT3_.private_seg_size, 0
	.set _ZL11k_bin_bcastIXadL_ZL6op_addffEEfffJPKfS1_S1_S1_S1_EEvPKT0_PKT1_PT2_iii15HIP_vector_typeIjLj3EESB_SB_SB_SB_iiiiiiiiiiiDpT3_.uses_vcc, 1
	.set _ZL11k_bin_bcastIXadL_ZL6op_addffEEfffJPKfS1_S1_S1_S1_EEvPKT0_PKT1_PT2_iii15HIP_vector_typeIjLj3EESB_SB_SB_SB_iiiiiiiiiiiDpT3_.uses_flat_scratch, 0
	.set _ZL11k_bin_bcastIXadL_ZL6op_addffEEfffJPKfS1_S1_S1_S1_EEvPKT0_PKT1_PT2_iii15HIP_vector_typeIjLj3EESB_SB_SB_SB_iiiiiiiiiiiDpT3_.has_dyn_sized_stack, 0
	.set _ZL11k_bin_bcastIXadL_ZL6op_addffEEfffJPKfS1_S1_S1_S1_EEvPKT0_PKT1_PT2_iii15HIP_vector_typeIjLj3EESB_SB_SB_SB_iiiiiiiiiiiDpT3_.has_recursion, 0
	.set _ZL11k_bin_bcastIXadL_ZL6op_addffEEfffJPKfS1_S1_S1_S1_EEvPKT0_PKT1_PT2_iii15HIP_vector_typeIjLj3EESB_SB_SB_SB_iiiiiiiiiiiDpT3_.has_indirect_call, 0
	.section	.AMDGPU.csdata,"",@progbits
; Kernel info:
; codeLenInByte = 1000
; TotalNumSgprs: 34
; NumVgprs: 19
; ScratchSize: 0
; MemoryBound: 0
; FloatMode: 240
; IeeeMode: 1
; LDSByteSize: 0 bytes/workgroup (compile time only)
; SGPRBlocks: 0
; VGPRBlocks: 1
; NumSGPRsForWavesPerEU: 34
; NumVGPRsForWavesPerEU: 19
; NamedBarCnt: 0
; Occupancy: 16
; WaveLimiterHint : 1
; COMPUTE_PGM_RSRC2:SCRATCH_EN: 0
; COMPUTE_PGM_RSRC2:USER_SGPR: 2
; COMPUTE_PGM_RSRC2:TRAP_HANDLER: 0
; COMPUTE_PGM_RSRC2:TGID_X_EN: 1
; COMPUTE_PGM_RSRC2:TGID_Y_EN: 1
; COMPUTE_PGM_RSRC2:TGID_Z_EN: 1
; COMPUTE_PGM_RSRC2:TIDIG_COMP_CNT: 2
	.section	.text._ZL19k_bin_bcast_unravelIXadL_ZL6op_addffEE6__halfS0_S0_JPKS0_S2_S2_S2_S2_EEvPKT0_PKT1_PT2_15HIP_vector_typeIjLj3EESC_SC_jSC_SC_SC_SC_SC_SC_iiiiiiiiiiiDpT3_,"axG",@progbits,_ZL19k_bin_bcast_unravelIXadL_ZL6op_addffEE6__halfS0_S0_JPKS0_S2_S2_S2_S2_EEvPKT0_PKT1_PT2_15HIP_vector_typeIjLj3EESC_SC_jSC_SC_SC_SC_SC_SC_iiiiiiiiiiiDpT3_,comdat
	.globl	_ZL19k_bin_bcast_unravelIXadL_ZL6op_addffEE6__halfS0_S0_JPKS0_S2_S2_S2_S2_EEvPKT0_PKT1_PT2_15HIP_vector_typeIjLj3EESC_SC_jSC_SC_SC_SC_SC_SC_iiiiiiiiiiiDpT3_ ; -- Begin function _ZL19k_bin_bcast_unravelIXadL_ZL6op_addffEE6__halfS0_S0_JPKS0_S2_S2_S2_S2_EEvPKT0_PKT1_PT2_15HIP_vector_typeIjLj3EESC_SC_jSC_SC_SC_SC_SC_SC_iiiiiiiiiiiDpT3_
	.p2align	8
	.type	_ZL19k_bin_bcast_unravelIXadL_ZL6op_addffEE6__halfS0_S0_JPKS0_S2_S2_S2_S2_EEvPKT0_PKT1_PT2_15HIP_vector_typeIjLj3EESC_SC_jSC_SC_SC_SC_SC_SC_iiiiiiiiiiiDpT3_,@function
_ZL19k_bin_bcast_unravelIXadL_ZL6op_addffEE6__halfS0_S0_JPKS0_S2_S2_S2_S2_EEvPKT0_PKT1_PT2_15HIP_vector_typeIjLj3EESC_SC_jSC_SC_SC_SC_SC_SC_iiiiiiiiiiiDpT3_: ; @_ZL19k_bin_bcast_unravelIXadL_ZL6op_addffEE6__halfS0_S0_JPKS0_S2_S2_S2_S2_EEvPKT0_PKT1_PT2_15HIP_vector_typeIjLj3EESC_SC_jSC_SC_SC_SC_SC_SC_iiiiiiiiiiiDpT3_
; %bb.0:
	s_load_b32 s2, s[0:1], 0xec
	s_bfe_u32 s3, ttmp6, 0x4000c
	s_load_b256 s[4:11], s[0:1], 0x38
	s_add_co_i32 s3, s3, 1
	s_and_b32 s12, ttmp6, 15
	s_mul_i32 s3, ttmp9, s3
	s_getreg_b32 s13, hwreg(HW_REG_IB_STS2, 6, 4)
	s_add_co_i32 s12, s12, s3
	s_wait_kmcnt 0x0
	s_and_b32 s2, s2, 0xffff
	s_cmp_eq_u32 s13, 0
	s_cselect_b32 s3, ttmp9, s12
	s_delay_alu instid0(SALU_CYCLE_1) | instskip(SKIP_1) | instid1(VALU_DEP_1)
	v_mad_u32 v0, s3, s2, v0
	s_load_b32 s2, s[0:1], 0x2c
	v_mul_hi_u32 v1, v0, s6
	s_delay_alu instid0(VALU_DEP_1) | instskip(NEXT) | instid1(VALU_DEP_1)
	v_add_nc_u32_e32 v1, v0, v1
	v_lshrrev_b32_e32 v1, s7, v1
	s_delay_alu instid0(VALU_DEP_1) | instskip(NEXT) | instid1(VALU_DEP_1)
	v_mul_lo_u32 v2, v1, s8
	v_sub_nc_u32_e32 v0, v0, v2
	s_delay_alu instid0(VALU_DEP_1) | instskip(NEXT) | instid1(VALU_DEP_1)
	v_mul_hi_u32 v2, v0, s9
	v_add_nc_u32_e32 v2, v0, v2
	s_delay_alu instid0(VALU_DEP_1) | instskip(SKIP_1) | instid1(VALU_DEP_1)
	v_lshrrev_b32_e32 v2, s10, v2
	s_load_b96 s[8:10], s[0:1], 0x18
	v_mul_lo_u32 v3, v2, s11
	s_delay_alu instid0(VALU_DEP_1) | instskip(SKIP_3) | instid1(VALU_DEP_3)
	v_sub_nc_u32_e32 v0, v0, v3
	v_cmp_gt_u32_e64 s3, s4, v2
	v_cmp_gt_u32_e64 s4, s5, v1
	s_wait_kmcnt 0x0
	v_mul_hi_u32 v3, v0, s8
	s_delay_alu instid0(VALU_DEP_1) | instskip(NEXT) | instid1(VALU_DEP_1)
	v_add_nc_u32_e32 v3, v0, v3
	v_lshrrev_b32_e32 v4, s9, v3
	s_delay_alu instid0(VALU_DEP_1) | instskip(NEXT) | instid1(VALU_DEP_1)
	v_mul_lo_u32 v3, v4, s10
	v_sub_nc_u32_e32 v0, v0, v3
	v_cmp_gt_u32_e64 s2, s2, v4
	s_delay_alu instid0(VALU_DEP_2) | instskip(SKIP_1) | instid1(SALU_CYCLE_1)
	v_cmp_gt_u32_e32 vcc_lo, s10, v0
	s_and_b32 s2, vcc_lo, s2
	s_and_b32 s2, s2, s3
	s_delay_alu instid0(SALU_CYCLE_1) | instskip(NEXT) | instid1(SALU_CYCLE_1)
	s_and_b32 s2, s4, s2
	s_and_saveexec_b32 s3, s2
	s_cbranch_execz .LBB66_4
; %bb.1:
	s_clause 0x4
	s_load_b64 s[2:3], s[0:1], 0x0
	s_load_b96 s[24:26], s[0:1], 0xa8
	s_load_b256 s[4:11], s[0:1], 0x88
	s_load_b128 s[20:23], s[0:1], 0x78
	s_load_b256 s[12:19], s[0:1], 0x58
	v_dual_mov_b32 v3, 0 :: v_dual_mov_b32 v5, 0
	s_wait_kmcnt 0x0
	s_cmp_eq_u64 s[2:3], 0
	s_cbranch_scc1 .LBB66_3
; %bb.2:
	v_mul_lo_u32 v5, v1, s10
	v_mov_b32_e32 v7, 0
	s_delay_alu instid0(VALU_DEP_2) | instskip(NEXT) | instid1(VALU_DEP_1)
	v_mad_u32 v5, v2, s9, v5
	v_mad_u32 v6, v4, s8, v5
	s_delay_alu instid0(VALU_DEP_1) | instskip(SKIP_1) | instid1(VALU_DEP_1)
	v_lshl_add_u64 v[8:9], v[6:7], 1, s[2:3]
	v_mul_lo_u32 v6, v0, s7
	v_lshl_add_u64 v[6:7], v[6:7], 1, v[8:9]
	global_load_u16 v5, v[6:7], off
	s_wait_loadcnt 0x0
	v_cvt_f32_f16_e32 v5, v5
.LBB66_3:
	v_mul_hi_u32 v6, s21, v1
	v_mul_hi_u32 v7, s18, v2
	;; [unrolled: 1-line block ×4, first 2 shown]
	s_load_b64 s[2:3], s[0:1], 0xd8
	s_delay_alu instid0(VALU_DEP_3) | instskip(NEXT) | instid1(VALU_DEP_1)
	v_dual_add_nc_u32 v6, v1, v6 :: v_dual_add_nc_u32 v7, v2, v7
	v_dual_lshrrev_b32 v6, s22, v6 :: v_dual_lshrrev_b32 v7, s19, v7
	s_delay_alu instid0(VALU_DEP_1) | instskip(SKIP_1) | instid1(VALU_DEP_3)
	v_mul_lo_u32 v6, v6, s23
	v_add_nc_u32_e32 v8, v4, v8
	v_mul_lo_u32 v7, v7, s20
	s_delay_alu instid0(VALU_DEP_3) | instskip(NEXT) | instid1(VALU_DEP_3)
	v_dual_sub_nc_u32 v6, v1, v6 :: v_dual_add_nc_u32 v9, v0, v9
	v_lshrrev_b32_e32 v8, s16, v8
	v_mul_lo_u32 v1, v1, s6
	s_delay_alu instid0(VALU_DEP_4) | instskip(NEXT) | instid1(VALU_DEP_4)
	v_sub_nc_u32_e32 v7, v2, v7
	v_mul_lo_u32 v6, v6, s26
	v_lshrrev_b32_e32 v9, s13, v9
	v_mul_lo_u32 v8, v8, s17
	s_delay_alu instid0(VALU_DEP_2) | instskip(SKIP_2) | instid1(VALU_DEP_4)
	v_mul_lo_u32 v9, v9, s14
	v_mad_u32 v1, v2, s5, v1
	v_mad_u32 v7, v7, s25, v6
	v_sub_nc_u32_e32 v8, v4, v8
	s_delay_alu instid0(VALU_DEP_1) | instskip(NEXT) | instid1(VALU_DEP_1)
	v_mad_u32 v8, v8, s24, v7
	v_dual_sub_nc_u32 v6, v0, v9 :: v_dual_ashrrev_i32 v9, 31, v8
	s_delay_alu instid0(VALU_DEP_1) | instskip(SKIP_1) | instid1(VALU_DEP_1)
	v_mul_lo_u32 v6, v6, s11
	s_load_b256 s[8:15], s[0:1], 0xb8
	v_ashrrev_i32_e32 v7, 31, v6
	s_wait_xcnt 0x0
	s_load_b64 s[0:1], s[0:1], 0x10
	s_delay_alu instid0(VALU_DEP_1) | instskip(NEXT) | instid1(VALU_DEP_1)
	v_add_nc_u64_e32 v[6:7], v[6:7], v[8:9]
	v_lshlrev_b64_e32 v[6:7], 1, v[6:7]
	s_wait_kmcnt 0x0
	s_delay_alu instid0(VALU_DEP_1)
	v_add_nc_u64_e32 v[8:9], s[8:9], v[6:7]
	v_add_nc_u64_e32 v[10:11], s[10:11], v[6:7]
	global_load_u16 v12, v[8:9], off
	s_wait_xcnt 0x0
	v_add_nc_u64_e32 v[8:9], s[12:13], v[6:7]
	global_load_u16 v13, v[10:11], off
	s_wait_xcnt 0x0
	v_add_nc_u64_e32 v[10:11], s[14:15], v[6:7]
	v_add_nc_u64_e32 v[6:7], s[2:3], v[6:7]
	global_load_u16 v8, v[8:9], off
	global_load_u16 v9, v[10:11], off
	;; [unrolled: 1-line block ×3, first 2 shown]
	s_wait_loadcnt 0x4
	s_wait_xcnt 0x0
	v_cvt_f32_f16_e32 v6, v12
	s_wait_loadcnt 0x3
	v_cvt_f32_f16_e32 v2, v13
	s_delay_alu instid0(VALU_DEP_2) | instskip(SKIP_2) | instid1(VALU_DEP_2)
	v_add_f32_e32 v5, v5, v6
	s_wait_loadcnt 0x2
	v_cvt_f32_f16_e32 v6, v8
	v_add_f32_e32 v5, v5, v2
	v_mad_u32 v2, v4, s4, v1
	s_wait_loadcnt 0x1
	v_cvt_f32_f16_e32 v1, v9
	s_delay_alu instid0(VALU_DEP_3) | instskip(SKIP_2) | instid1(VALU_DEP_2)
	v_add_f32_e32 v4, v5, v6
	s_wait_loadcnt 0x0
	v_cvt_f32_f16_e32 v5, v14
	v_dual_add_f32 v4, v4, v1 :: v_dual_mov_b32 v1, v3
	v_lshl_add_u64 v[2:3], v[2:3], 1, s[0:1]
	s_delay_alu instid0(VALU_DEP_2) | instskip(NEXT) | instid1(VALU_DEP_2)
	v_add_f32_e32 v4, v4, v5
	v_lshl_add_u64 v[0:1], v[0:1], 1, v[2:3]
	s_delay_alu instid0(VALU_DEP_2)
	v_cvt_f16_f32_e32 v4, v4
	global_store_b16 v[0:1], v4, off
.LBB66_4:
	s_endpgm
	.section	.rodata,"a",@progbits
	.p2align	6, 0x0
	.amdhsa_kernel _ZL19k_bin_bcast_unravelIXadL_ZL6op_addffEE6__halfS0_S0_JPKS0_S2_S2_S2_S2_EEvPKT0_PKT1_PT2_15HIP_vector_typeIjLj3EESC_SC_jSC_SC_SC_SC_SC_SC_iiiiiiiiiiiDpT3_
		.amdhsa_group_segment_fixed_size 0
		.amdhsa_private_segment_fixed_size 0
		.amdhsa_kernarg_size 480
		.amdhsa_user_sgpr_count 2
		.amdhsa_user_sgpr_dispatch_ptr 0
		.amdhsa_user_sgpr_queue_ptr 0
		.amdhsa_user_sgpr_kernarg_segment_ptr 1
		.amdhsa_user_sgpr_dispatch_id 0
		.amdhsa_user_sgpr_kernarg_preload_length 0
		.amdhsa_user_sgpr_kernarg_preload_offset 0
		.amdhsa_user_sgpr_private_segment_size 0
		.amdhsa_wavefront_size32 1
		.amdhsa_uses_dynamic_stack 0
		.amdhsa_enable_private_segment 0
		.amdhsa_system_sgpr_workgroup_id_x 1
		.amdhsa_system_sgpr_workgroup_id_y 0
		.amdhsa_system_sgpr_workgroup_id_z 0
		.amdhsa_system_sgpr_workgroup_info 0
		.amdhsa_system_vgpr_workitem_id 0
		.amdhsa_next_free_vgpr 15
		.amdhsa_next_free_sgpr 27
		.amdhsa_named_barrier_count 0
		.amdhsa_reserve_vcc 1
		.amdhsa_float_round_mode_32 0
		.amdhsa_float_round_mode_16_64 0
		.amdhsa_float_denorm_mode_32 3
		.amdhsa_float_denorm_mode_16_64 3
		.amdhsa_fp16_overflow 0
		.amdhsa_memory_ordered 1
		.amdhsa_forward_progress 1
		.amdhsa_inst_pref_size 7
		.amdhsa_round_robin_scheduling 0
		.amdhsa_exception_fp_ieee_invalid_op 0
		.amdhsa_exception_fp_denorm_src 0
		.amdhsa_exception_fp_ieee_div_zero 0
		.amdhsa_exception_fp_ieee_overflow 0
		.amdhsa_exception_fp_ieee_underflow 0
		.amdhsa_exception_fp_ieee_inexact 0
		.amdhsa_exception_int_div_zero 0
	.end_amdhsa_kernel
	.section	.text._ZL19k_bin_bcast_unravelIXadL_ZL6op_addffEE6__halfS0_S0_JPKS0_S2_S2_S2_S2_EEvPKT0_PKT1_PT2_15HIP_vector_typeIjLj3EESC_SC_jSC_SC_SC_SC_SC_SC_iiiiiiiiiiiDpT3_,"axG",@progbits,_ZL19k_bin_bcast_unravelIXadL_ZL6op_addffEE6__halfS0_S0_JPKS0_S2_S2_S2_S2_EEvPKT0_PKT1_PT2_15HIP_vector_typeIjLj3EESC_SC_jSC_SC_SC_SC_SC_SC_iiiiiiiiiiiDpT3_,comdat
.Lfunc_end66:
	.size	_ZL19k_bin_bcast_unravelIXadL_ZL6op_addffEE6__halfS0_S0_JPKS0_S2_S2_S2_S2_EEvPKT0_PKT1_PT2_15HIP_vector_typeIjLj3EESC_SC_jSC_SC_SC_SC_SC_SC_iiiiiiiiiiiDpT3_, .Lfunc_end66-_ZL19k_bin_bcast_unravelIXadL_ZL6op_addffEE6__halfS0_S0_JPKS0_S2_S2_S2_S2_EEvPKT0_PKT1_PT2_15HIP_vector_typeIjLj3EESC_SC_jSC_SC_SC_SC_SC_SC_iiiiiiiiiiiDpT3_
                                        ; -- End function
	.set _ZL19k_bin_bcast_unravelIXadL_ZL6op_addffEE6__halfS0_S0_JPKS0_S2_S2_S2_S2_EEvPKT0_PKT1_PT2_15HIP_vector_typeIjLj3EESC_SC_jSC_SC_SC_SC_SC_SC_iiiiiiiiiiiDpT3_.num_vgpr, 15
	.set _ZL19k_bin_bcast_unravelIXadL_ZL6op_addffEE6__halfS0_S0_JPKS0_S2_S2_S2_S2_EEvPKT0_PKT1_PT2_15HIP_vector_typeIjLj3EESC_SC_jSC_SC_SC_SC_SC_SC_iiiiiiiiiiiDpT3_.num_agpr, 0
	.set _ZL19k_bin_bcast_unravelIXadL_ZL6op_addffEE6__halfS0_S0_JPKS0_S2_S2_S2_S2_EEvPKT0_PKT1_PT2_15HIP_vector_typeIjLj3EESC_SC_jSC_SC_SC_SC_SC_SC_iiiiiiiiiiiDpT3_.numbered_sgpr, 27
	.set _ZL19k_bin_bcast_unravelIXadL_ZL6op_addffEE6__halfS0_S0_JPKS0_S2_S2_S2_S2_EEvPKT0_PKT1_PT2_15HIP_vector_typeIjLj3EESC_SC_jSC_SC_SC_SC_SC_SC_iiiiiiiiiiiDpT3_.num_named_barrier, 0
	.set _ZL19k_bin_bcast_unravelIXadL_ZL6op_addffEE6__halfS0_S0_JPKS0_S2_S2_S2_S2_EEvPKT0_PKT1_PT2_15HIP_vector_typeIjLj3EESC_SC_jSC_SC_SC_SC_SC_SC_iiiiiiiiiiiDpT3_.private_seg_size, 0
	.set _ZL19k_bin_bcast_unravelIXadL_ZL6op_addffEE6__halfS0_S0_JPKS0_S2_S2_S2_S2_EEvPKT0_PKT1_PT2_15HIP_vector_typeIjLj3EESC_SC_jSC_SC_SC_SC_SC_SC_iiiiiiiiiiiDpT3_.uses_vcc, 1
	.set _ZL19k_bin_bcast_unravelIXadL_ZL6op_addffEE6__halfS0_S0_JPKS0_S2_S2_S2_S2_EEvPKT0_PKT1_PT2_15HIP_vector_typeIjLj3EESC_SC_jSC_SC_SC_SC_SC_SC_iiiiiiiiiiiDpT3_.uses_flat_scratch, 0
	.set _ZL19k_bin_bcast_unravelIXadL_ZL6op_addffEE6__halfS0_S0_JPKS0_S2_S2_S2_S2_EEvPKT0_PKT1_PT2_15HIP_vector_typeIjLj3EESC_SC_jSC_SC_SC_SC_SC_SC_iiiiiiiiiiiDpT3_.has_dyn_sized_stack, 0
	.set _ZL19k_bin_bcast_unravelIXadL_ZL6op_addffEE6__halfS0_S0_JPKS0_S2_S2_S2_S2_EEvPKT0_PKT1_PT2_15HIP_vector_typeIjLj3EESC_SC_jSC_SC_SC_SC_SC_SC_iiiiiiiiiiiDpT3_.has_recursion, 0
	.set _ZL19k_bin_bcast_unravelIXadL_ZL6op_addffEE6__halfS0_S0_JPKS0_S2_S2_S2_S2_EEvPKT0_PKT1_PT2_15HIP_vector_typeIjLj3EESC_SC_jSC_SC_SC_SC_SC_SC_iiiiiiiiiiiDpT3_.has_indirect_call, 0
	.section	.AMDGPU.csdata,"",@progbits
; Kernel info:
; codeLenInByte = 888
; TotalNumSgprs: 29
; NumVgprs: 15
; ScratchSize: 0
; MemoryBound: 0
; FloatMode: 240
; IeeeMode: 1
; LDSByteSize: 0 bytes/workgroup (compile time only)
; SGPRBlocks: 0
; VGPRBlocks: 0
; NumSGPRsForWavesPerEU: 29
; NumVGPRsForWavesPerEU: 15
; NamedBarCnt: 0
; Occupancy: 16
; WaveLimiterHint : 1
; COMPUTE_PGM_RSRC2:SCRATCH_EN: 0
; COMPUTE_PGM_RSRC2:USER_SGPR: 2
; COMPUTE_PGM_RSRC2:TRAP_HANDLER: 0
; COMPUTE_PGM_RSRC2:TGID_X_EN: 1
; COMPUTE_PGM_RSRC2:TGID_Y_EN: 0
; COMPUTE_PGM_RSRC2:TGID_Z_EN: 0
; COMPUTE_PGM_RSRC2:TIDIG_COMP_CNT: 0
	.section	.text._ZL11k_bin_bcastIXadL_ZL6op_addffEE6__halfS0_S0_JPKS0_S2_S2_S2_S2_EEvPKT0_PKT1_PT2_iii15HIP_vector_typeIjLj3EESC_SC_SC_SC_iiiiiiiiiiiDpT3_,"axG",@progbits,_ZL11k_bin_bcastIXadL_ZL6op_addffEE6__halfS0_S0_JPKS0_S2_S2_S2_S2_EEvPKT0_PKT1_PT2_iii15HIP_vector_typeIjLj3EESC_SC_SC_SC_iiiiiiiiiiiDpT3_,comdat
	.globl	_ZL11k_bin_bcastIXadL_ZL6op_addffEE6__halfS0_S0_JPKS0_S2_S2_S2_S2_EEvPKT0_PKT1_PT2_iii15HIP_vector_typeIjLj3EESC_SC_SC_SC_iiiiiiiiiiiDpT3_ ; -- Begin function _ZL11k_bin_bcastIXadL_ZL6op_addffEE6__halfS0_S0_JPKS0_S2_S2_S2_S2_EEvPKT0_PKT1_PT2_iii15HIP_vector_typeIjLj3EESC_SC_SC_SC_iiiiiiiiiiiDpT3_
	.p2align	8
	.type	_ZL11k_bin_bcastIXadL_ZL6op_addffEE6__halfS0_S0_JPKS0_S2_S2_S2_S2_EEvPKT0_PKT1_PT2_iii15HIP_vector_typeIjLj3EESC_SC_SC_SC_iiiiiiiiiiiDpT3_,@function
_ZL11k_bin_bcastIXadL_ZL6op_addffEE6__halfS0_S0_JPKS0_S2_S2_S2_S2_EEvPKT0_PKT1_PT2_iii15HIP_vector_typeIjLj3EESC_SC_SC_SC_iiiiiiiiiiiDpT3_: ; @_ZL11k_bin_bcastIXadL_ZL6op_addffEE6__halfS0_S0_JPKS0_S2_S2_S2_S2_EEvPKT0_PKT1_PT2_iii15HIP_vector_typeIjLj3EESC_SC_SC_SC_iiiiiiiiiiiDpT3_
; %bb.0:
	s_load_b64 s[2:3], s[0:1], 0xc4
	s_bfe_u32 s5, ttmp6, 0x40014
	s_bfe_u32 s7, ttmp6, 0x40010
	;; [unrolled: 1-line block ×3, first 2 shown]
	s_lshr_b32 s4, ttmp7, 16
	s_and_b32 s16, ttmp7, 0xffff
	s_add_co_i32 s5, s5, 1
	s_add_co_i32 s7, s7, 1
	s_load_b256 s[8:15], s[0:1], 0x18
	s_add_co_i32 s19, s19, 1
	s_bfe_u32 s6, ttmp6, 0x40008
	s_bfe_u32 s17, ttmp6, 0x40004
	s_mul_i32 s5, s4, s5
	s_mul_i32 s7, s16, s7
	s_and_b32 s18, ttmp6, 15
	s_mul_i32 s19, ttmp9, s19
	s_add_co_i32 s6, s6, s5
	s_add_co_i32 s17, s17, s7
	;; [unrolled: 1-line block ×3, first 2 shown]
	v_bfe_u32 v1, v0, 20, 10
	s_wait_kmcnt 0x0
	s_lshr_b32 s5, s2, 16
	s_and_b32 s7, s2, 0xffff
	s_getreg_b32 s2, hwreg(HW_REG_IB_STS2, 6, 4)
	s_and_b32 s3, s3, 0xffff
	s_cmp_eq_u32 s2, 0
	v_and_b32_e32 v2, 0x3ff, v0
	s_cselect_b32 s2, s4, s6
	v_bfe_u32 v4, v0, 10, 10
	v_mad_u32 v3, s2, s3, v1
	s_cselect_b32 s2, ttmp9, s18
	s_cselect_b32 s3, s16, s17
	v_mad_u32 v0, s2, s7, v2
	v_mad_u32 v2, s3, s5, v4
	s_delay_alu instid0(VALU_DEP_3) | instskip(NEXT) | instid1(VALU_DEP_3)
	v_mul_hi_u32 v1, v3, s11
	v_cmp_gt_u32_e32 vcc_lo, s8, v0
	s_delay_alu instid0(VALU_DEP_3) | instskip(SKIP_2) | instid1(VALU_DEP_1)
	v_cmp_gt_u32_e64 s2, s9, v2
	s_and_b32 s2, vcc_lo, s2
	v_add_nc_u32_e32 v1, v3, v1
	v_lshrrev_b32_e32 v1, s12, v1
	s_delay_alu instid0(VALU_DEP_1) | instskip(SKIP_3) | instid1(VALU_DEP_1)
	v_mul_lo_u32 v5, v1, s13
	v_cmp_gt_u32_e64 s3, s10, v1
	s_and_b32 s2, s2, s3
	v_sub_nc_u32_e32 v3, v3, v5
	v_cmp_gt_u32_e64 s4, s13, v3
	s_and_b32 s2, s2, s4
	s_delay_alu instid0(SALU_CYCLE_1)
	s_and_saveexec_b32 s3, s2
	s_cbranch_execz .LBB67_6
; %bb.1:
	v_cmp_gt_i32_e32 vcc_lo, s8, v0
	s_and_b32 exec_lo, exec_lo, vcc_lo
	s_cbranch_execz .LBB67_6
; %bb.2:
	s_clause 0x5
	s_load_b256 s[24:31], s[0:1], 0x3c
	s_load_b32 s2, s[0:1], 0x5c
	s_load_b256 s[16:23], s[0:1], 0x60
	s_load_b96 s[4:6], s[0:1], 0x80
	s_load_b64 s[10:11], s[0:1], 0x0
	s_load_b64 s[12:13], s[0:1], 0x10
	s_wait_kmcnt 0x0
	v_mul_hi_u32 v4, s30, v3
	v_mul_hi_u32 v5, s27, v1
	v_mul_hi_u32 v6, s24, v2
	v_mul_lo_u32 v7, v2, s20
	v_mul_lo_u32 v8, v2, s16
	s_cmp_lg_u64 s[10:11], 0
	s_delay_alu instid0(VALU_DEP_4) | instskip(NEXT) | instid1(VALU_DEP_3)
	v_dual_add_nc_u32 v4, v3, v4 :: v_dual_add_nc_u32 v5, v1, v5
	v_mad_u32 v7, v1, s21, v7
	s_delay_alu instid0(VALU_DEP_3) | instskip(NEXT) | instid1(VALU_DEP_3)
	v_mad_u32 v8, v1, s17, v8
	v_dual_lshrrev_b32 v4, s31, v4 :: v_dual_lshrrev_b32 v5, s28, v5
	s_delay_alu instid0(VALU_DEP_1) | instskip(SKIP_1) | instid1(VALU_DEP_3)
	v_mul_lo_u32 v4, v4, s2
	v_add_nc_u32_e32 v6, v2, v6
	v_mul_lo_u32 v5, v5, s29
	s_add_nc_u64 s[2:3], s[0:1], 0xb8
	v_mad_u32 v8, v3, s18, v8
	s_delay_alu instid0(VALU_DEP_3) | instskip(NEXT) | instid1(VALU_DEP_3)
	v_dual_sub_nc_u32 v4, v3, v4 :: v_dual_lshrrev_b32 v6, s25, v6
	v_sub_nc_u32_e32 v5, v1, v5
	s_delay_alu instid0(VALU_DEP_2) | instskip(NEXT) | instid1(VALU_DEP_3)
	v_mul_lo_u32 v9, v4, s6
	v_mul_lo_u32 v6, v6, s26
	s_load_b32 s6, s[2:3], 0x0
	s_load_b32 s9, s[0:1], 0x38
	v_mad_u32 v4, v3, s22, v7
	s_wait_xcnt 0x0
	s_clause 0x1
	s_load_b64 s[2:3], s[0:1], 0xb0
	s_load_b256 s[24:31], s[0:1], 0x90
	v_mov_b32_e32 v1, 0
	s_wait_xcnt 0x0
	s_mov_b32 s1, 0
	s_mov_b32 s0, s14
	v_mad_u32 v7, v5, s5, v9
	v_sub_nc_u32_e32 v2, v2, v6
	v_mul_lo_u32 v6, s19, v0
	v_dual_mov_b32 v5, v1 :: v_dual_mov_b32 v9, v1
	v_mov_b32_e32 v3, v1
	s_cselect_b32 s5, -1, 0
	s_delay_alu instid0(VALU_DEP_2) | instskip(NEXT) | instid1(VALU_DEP_3)
	v_lshl_add_u64 v[4:5], v[4:5], 1, s[10:11]
	v_lshl_add_u64 v[8:9], v[8:9], 1, s[12:13]
	v_mad_u32 v2, v2, s4, v7
	s_wait_kmcnt 0x0
	s_mul_i32 s4, s6, s7
	s_sub_co_i32 s7, 0, s9
	s_mul_i32 s6, s4, s19
	s_mov_b32 s9, s1
	s_branch .LBB67_4
.LBB67_3:                               ;   in Loop: Header=BB67_4 Depth=1
	s_wait_xcnt 0x0
	v_mul_u64_e32 v[10:11], s[0:1], v[0:1]
	s_delay_alu instid0(VALU_DEP_1) | instskip(NEXT) | instid1(VALU_DEP_1)
	v_dual_add_nc_u32 v6, s6, v6 :: v_dual_add_nc_u32 v10, v0, v11
	v_dual_mov_b32 v11, v1 :: v_dual_lshrrev_b32 v10, s15, v10
	s_delay_alu instid0(VALU_DEP_1) | instskip(NEXT) | instid1(VALU_DEP_1)
	v_mad_u32 v10, s7, v10, v0
	v_mul_lo_u32 v10, v10, s23
	s_delay_alu instid0(VALU_DEP_1) | instskip(NEXT) | instid1(VALU_DEP_1)
	v_add_nc_u64_e32 v[10:11], v[10:11], v[2:3]
	v_lshlrev_b64_e32 v[10:11], 1, v[10:11]
	s_delay_alu instid0(VALU_DEP_1)
	v_add_nc_u64_e32 v[12:13], s[24:25], v[10:11]
	v_add_nc_u64_e32 v[14:15], s[26:27], v[10:11]
	global_load_u16 v16, v[12:13], off
	s_wait_xcnt 0x0
	v_add_nc_u64_e32 v[12:13], s[28:29], v[10:11]
	global_load_u16 v17, v[14:15], off
	s_wait_xcnt 0x0
	v_add_nc_u64_e32 v[14:15], s[30:31], v[10:11]
	v_add_nc_u64_e32 v[10:11], s[2:3], v[10:11]
	global_load_u16 v12, v[12:13], off
	global_load_u16 v13, v[14:15], off
	;; [unrolled: 1-line block ×3, first 2 shown]
	s_wait_loadcnt 0x4
	s_wait_xcnt 0x0
	v_cvt_f32_f16_e32 v10, v16
	s_wait_loadcnt 0x3
	v_cvt_f32_f16_e32 v11, v17
	s_delay_alu instid0(VALU_DEP_2) | instskip(SKIP_2) | instid1(VALU_DEP_2)
	v_add_f32_e32 v7, v7, v10
	s_wait_loadcnt 0x2
	v_cvt_f32_f16_e32 v10, v12
	v_add_f32_e32 v7, v7, v11
	s_wait_loadcnt 0x1
	v_cvt_f32_f16_e32 v11, v13
	s_wait_loadcnt 0x0
	v_cvt_f32_f16_e32 v12, v18
	v_dual_add_f32 v7, v7, v10 :: v_dual_mov_b32 v10, v0
	s_delay_alu instid0(VALU_DEP_1) | instskip(SKIP_1) | instid1(VALU_DEP_2)
	v_dual_add_f32 v7, v7, v11 :: v_dual_ashrrev_i32 v11, 31, v0
	v_add_nc_u32_e32 v0, s4, v0
	v_add_f32_e32 v7, v7, v12
	s_delay_alu instid0(VALU_DEP_3) | instskip(NEXT) | instid1(VALU_DEP_3)
	v_lshl_add_u64 v[10:11], v[10:11], 1, v[8:9]
	v_cmp_le_i32_e32 vcc_lo, s8, v0
	s_delay_alu instid0(VALU_DEP_3)
	v_cvt_f16_f32_e32 v7, v7
	s_or_b32 s9, vcc_lo, s9
	global_store_b16 v[10:11], v7, off
	s_wait_xcnt 0x0
	s_and_not1_b32 exec_lo, exec_lo, s9
	s_cbranch_execz .LBB67_6
.LBB67_4:                               ; =>This Inner Loop Header: Depth=1
	v_mov_b32_e32 v7, 0
	s_and_not1_b32 vcc_lo, exec_lo, s5
	s_cbranch_vccnz .LBB67_3
; %bb.5:                                ;   in Loop: Header=BB67_4 Depth=1
	v_ashrrev_i32_e32 v7, 31, v6
	s_delay_alu instid0(VALU_DEP_1)
	v_lshl_add_u64 v[10:11], v[6:7], 1, v[4:5]
	global_load_u16 v7, v[10:11], off
	s_wait_loadcnt 0x0
	v_cvt_f32_f16_e32 v7, v7
	s_branch .LBB67_3
.LBB67_6:
	s_endpgm
	.section	.rodata,"a",@progbits
	.p2align	6, 0x0
	.amdhsa_kernel _ZL11k_bin_bcastIXadL_ZL6op_addffEE6__halfS0_S0_JPKS0_S2_S2_S2_S2_EEvPKT0_PKT1_PT2_iii15HIP_vector_typeIjLj3EESC_SC_SC_SC_iiiiiiiiiiiDpT3_
		.amdhsa_group_segment_fixed_size 0
		.amdhsa_private_segment_fixed_size 0
		.amdhsa_kernarg_size 440
		.amdhsa_user_sgpr_count 2
		.amdhsa_user_sgpr_dispatch_ptr 0
		.amdhsa_user_sgpr_queue_ptr 0
		.amdhsa_user_sgpr_kernarg_segment_ptr 1
		.amdhsa_user_sgpr_dispatch_id 0
		.amdhsa_user_sgpr_kernarg_preload_length 0
		.amdhsa_user_sgpr_kernarg_preload_offset 0
		.amdhsa_user_sgpr_private_segment_size 0
		.amdhsa_wavefront_size32 1
		.amdhsa_uses_dynamic_stack 0
		.amdhsa_enable_private_segment 0
		.amdhsa_system_sgpr_workgroup_id_x 1
		.amdhsa_system_sgpr_workgroup_id_y 1
		.amdhsa_system_sgpr_workgroup_id_z 1
		.amdhsa_system_sgpr_workgroup_info 0
		.amdhsa_system_vgpr_workitem_id 2
		.amdhsa_next_free_vgpr 19
		.amdhsa_next_free_sgpr 32
		.amdhsa_named_barrier_count 0
		.amdhsa_reserve_vcc 1
		.amdhsa_float_round_mode_32 0
		.amdhsa_float_round_mode_16_64 0
		.amdhsa_float_denorm_mode_32 3
		.amdhsa_float_denorm_mode_16_64 3
		.amdhsa_fp16_overflow 0
		.amdhsa_memory_ordered 1
		.amdhsa_forward_progress 1
		.amdhsa_inst_pref_size 9
		.amdhsa_round_robin_scheduling 0
		.amdhsa_exception_fp_ieee_invalid_op 0
		.amdhsa_exception_fp_denorm_src 0
		.amdhsa_exception_fp_ieee_div_zero 0
		.amdhsa_exception_fp_ieee_overflow 0
		.amdhsa_exception_fp_ieee_underflow 0
		.amdhsa_exception_fp_ieee_inexact 0
		.amdhsa_exception_int_div_zero 0
	.end_amdhsa_kernel
	.section	.text._ZL11k_bin_bcastIXadL_ZL6op_addffEE6__halfS0_S0_JPKS0_S2_S2_S2_S2_EEvPKT0_PKT1_PT2_iii15HIP_vector_typeIjLj3EESC_SC_SC_SC_iiiiiiiiiiiDpT3_,"axG",@progbits,_ZL11k_bin_bcastIXadL_ZL6op_addffEE6__halfS0_S0_JPKS0_S2_S2_S2_S2_EEvPKT0_PKT1_PT2_iii15HIP_vector_typeIjLj3EESC_SC_SC_SC_iiiiiiiiiiiDpT3_,comdat
.Lfunc_end67:
	.size	_ZL11k_bin_bcastIXadL_ZL6op_addffEE6__halfS0_S0_JPKS0_S2_S2_S2_S2_EEvPKT0_PKT1_PT2_iii15HIP_vector_typeIjLj3EESC_SC_SC_SC_iiiiiiiiiiiDpT3_, .Lfunc_end67-_ZL11k_bin_bcastIXadL_ZL6op_addffEE6__halfS0_S0_JPKS0_S2_S2_S2_S2_EEvPKT0_PKT1_PT2_iii15HIP_vector_typeIjLj3EESC_SC_SC_SC_iiiiiiiiiiiDpT3_
                                        ; -- End function
	.set _ZL11k_bin_bcastIXadL_ZL6op_addffEE6__halfS0_S0_JPKS0_S2_S2_S2_S2_EEvPKT0_PKT1_PT2_iii15HIP_vector_typeIjLj3EESC_SC_SC_SC_iiiiiiiiiiiDpT3_.num_vgpr, 19
	.set _ZL11k_bin_bcastIXadL_ZL6op_addffEE6__halfS0_S0_JPKS0_S2_S2_S2_S2_EEvPKT0_PKT1_PT2_iii15HIP_vector_typeIjLj3EESC_SC_SC_SC_iiiiiiiiiiiDpT3_.num_agpr, 0
	.set _ZL11k_bin_bcastIXadL_ZL6op_addffEE6__halfS0_S0_JPKS0_S2_S2_S2_S2_EEvPKT0_PKT1_PT2_iii15HIP_vector_typeIjLj3EESC_SC_SC_SC_iiiiiiiiiiiDpT3_.numbered_sgpr, 32
	.set _ZL11k_bin_bcastIXadL_ZL6op_addffEE6__halfS0_S0_JPKS0_S2_S2_S2_S2_EEvPKT0_PKT1_PT2_iii15HIP_vector_typeIjLj3EESC_SC_SC_SC_iiiiiiiiiiiDpT3_.num_named_barrier, 0
	.set _ZL11k_bin_bcastIXadL_ZL6op_addffEE6__halfS0_S0_JPKS0_S2_S2_S2_S2_EEvPKT0_PKT1_PT2_iii15HIP_vector_typeIjLj3EESC_SC_SC_SC_iiiiiiiiiiiDpT3_.private_seg_size, 0
	.set _ZL11k_bin_bcastIXadL_ZL6op_addffEE6__halfS0_S0_JPKS0_S2_S2_S2_S2_EEvPKT0_PKT1_PT2_iii15HIP_vector_typeIjLj3EESC_SC_SC_SC_iiiiiiiiiiiDpT3_.uses_vcc, 1
	.set _ZL11k_bin_bcastIXadL_ZL6op_addffEE6__halfS0_S0_JPKS0_S2_S2_S2_S2_EEvPKT0_PKT1_PT2_iii15HIP_vector_typeIjLj3EESC_SC_SC_SC_iiiiiiiiiiiDpT3_.uses_flat_scratch, 0
	.set _ZL11k_bin_bcastIXadL_ZL6op_addffEE6__halfS0_S0_JPKS0_S2_S2_S2_S2_EEvPKT0_PKT1_PT2_iii15HIP_vector_typeIjLj3EESC_SC_SC_SC_iiiiiiiiiiiDpT3_.has_dyn_sized_stack, 0
	.set _ZL11k_bin_bcastIXadL_ZL6op_addffEE6__halfS0_S0_JPKS0_S2_S2_S2_S2_EEvPKT0_PKT1_PT2_iii15HIP_vector_typeIjLj3EESC_SC_SC_SC_iiiiiiiiiiiDpT3_.has_recursion, 0
	.set _ZL11k_bin_bcastIXadL_ZL6op_addffEE6__halfS0_S0_JPKS0_S2_S2_S2_S2_EEvPKT0_PKT1_PT2_iii15HIP_vector_typeIjLj3EESC_SC_SC_SC_iiiiiiiiiiiDpT3_.has_indirect_call, 0
	.section	.AMDGPU.csdata,"",@progbits
; Kernel info:
; codeLenInByte = 1040
; TotalNumSgprs: 34
; NumVgprs: 19
; ScratchSize: 0
; MemoryBound: 0
; FloatMode: 240
; IeeeMode: 1
; LDSByteSize: 0 bytes/workgroup (compile time only)
; SGPRBlocks: 0
; VGPRBlocks: 1
; NumSGPRsForWavesPerEU: 34
; NumVGPRsForWavesPerEU: 19
; NamedBarCnt: 0
; Occupancy: 16
; WaveLimiterHint : 1
; COMPUTE_PGM_RSRC2:SCRATCH_EN: 0
; COMPUTE_PGM_RSRC2:USER_SGPR: 2
; COMPUTE_PGM_RSRC2:TRAP_HANDLER: 0
; COMPUTE_PGM_RSRC2:TGID_X_EN: 1
; COMPUTE_PGM_RSRC2:TGID_Y_EN: 1
; COMPUTE_PGM_RSRC2:TGID_Z_EN: 1
; COMPUTE_PGM_RSRC2:TIDIG_COMP_CNT: 2
	.section	.text._ZL19k_bin_bcast_unravelIXadL_ZL6op_addffEE6__halffS0_JPKfS2_S2_S2_S2_EEvPKT0_PKT1_PT2_15HIP_vector_typeIjLj3EESC_SC_jSC_SC_SC_SC_SC_SC_iiiiiiiiiiiDpT3_,"axG",@progbits,_ZL19k_bin_bcast_unravelIXadL_ZL6op_addffEE6__halffS0_JPKfS2_S2_S2_S2_EEvPKT0_PKT1_PT2_15HIP_vector_typeIjLj3EESC_SC_jSC_SC_SC_SC_SC_SC_iiiiiiiiiiiDpT3_,comdat
	.globl	_ZL19k_bin_bcast_unravelIXadL_ZL6op_addffEE6__halffS0_JPKfS2_S2_S2_S2_EEvPKT0_PKT1_PT2_15HIP_vector_typeIjLj3EESC_SC_jSC_SC_SC_SC_SC_SC_iiiiiiiiiiiDpT3_ ; -- Begin function _ZL19k_bin_bcast_unravelIXadL_ZL6op_addffEE6__halffS0_JPKfS2_S2_S2_S2_EEvPKT0_PKT1_PT2_15HIP_vector_typeIjLj3EESC_SC_jSC_SC_SC_SC_SC_SC_iiiiiiiiiiiDpT3_
	.p2align	8
	.type	_ZL19k_bin_bcast_unravelIXadL_ZL6op_addffEE6__halffS0_JPKfS2_S2_S2_S2_EEvPKT0_PKT1_PT2_15HIP_vector_typeIjLj3EESC_SC_jSC_SC_SC_SC_SC_SC_iiiiiiiiiiiDpT3_,@function
_ZL19k_bin_bcast_unravelIXadL_ZL6op_addffEE6__halffS0_JPKfS2_S2_S2_S2_EEvPKT0_PKT1_PT2_15HIP_vector_typeIjLj3EESC_SC_jSC_SC_SC_SC_SC_SC_iiiiiiiiiiiDpT3_: ; @_ZL19k_bin_bcast_unravelIXadL_ZL6op_addffEE6__halffS0_JPKfS2_S2_S2_S2_EEvPKT0_PKT1_PT2_15HIP_vector_typeIjLj3EESC_SC_jSC_SC_SC_SC_SC_SC_iiiiiiiiiiiDpT3_
; %bb.0:
	s_load_b32 s2, s[0:1], 0xec
	s_bfe_u32 s3, ttmp6, 0x4000c
	s_load_b256 s[4:11], s[0:1], 0x38
	s_add_co_i32 s3, s3, 1
	s_and_b32 s12, ttmp6, 15
	s_mul_i32 s3, ttmp9, s3
	s_getreg_b32 s13, hwreg(HW_REG_IB_STS2, 6, 4)
	s_add_co_i32 s12, s12, s3
	s_wait_kmcnt 0x0
	s_and_b32 s2, s2, 0xffff
	s_cmp_eq_u32 s13, 0
	s_cselect_b32 s3, ttmp9, s12
	s_delay_alu instid0(SALU_CYCLE_1) | instskip(SKIP_1) | instid1(VALU_DEP_1)
	v_mad_u32 v0, s3, s2, v0
	s_load_b32 s2, s[0:1], 0x2c
	v_mul_hi_u32 v1, v0, s6
	s_delay_alu instid0(VALU_DEP_1) | instskip(NEXT) | instid1(VALU_DEP_1)
	v_add_nc_u32_e32 v1, v0, v1
	v_lshrrev_b32_e32 v1, s7, v1
	s_delay_alu instid0(VALU_DEP_1) | instskip(NEXT) | instid1(VALU_DEP_1)
	v_mul_lo_u32 v2, v1, s8
	v_sub_nc_u32_e32 v0, v0, v2
	s_delay_alu instid0(VALU_DEP_1) | instskip(NEXT) | instid1(VALU_DEP_1)
	v_mul_hi_u32 v2, v0, s9
	v_add_nc_u32_e32 v2, v0, v2
	s_delay_alu instid0(VALU_DEP_1) | instskip(SKIP_1) | instid1(VALU_DEP_1)
	v_lshrrev_b32_e32 v2, s10, v2
	s_load_b96 s[8:10], s[0:1], 0x18
	v_mul_lo_u32 v3, v2, s11
	s_delay_alu instid0(VALU_DEP_1) | instskip(SKIP_3) | instid1(VALU_DEP_3)
	v_sub_nc_u32_e32 v0, v0, v3
	v_cmp_gt_u32_e64 s3, s4, v2
	v_cmp_gt_u32_e64 s4, s5, v1
	s_wait_kmcnt 0x0
	v_mul_hi_u32 v3, v0, s8
	s_delay_alu instid0(VALU_DEP_1) | instskip(NEXT) | instid1(VALU_DEP_1)
	v_add_nc_u32_e32 v3, v0, v3
	v_lshrrev_b32_e32 v4, s9, v3
	s_delay_alu instid0(VALU_DEP_1) | instskip(NEXT) | instid1(VALU_DEP_1)
	v_mul_lo_u32 v3, v4, s10
	v_sub_nc_u32_e32 v0, v0, v3
	v_cmp_gt_u32_e64 s2, s2, v4
	s_delay_alu instid0(VALU_DEP_2) | instskip(SKIP_1) | instid1(SALU_CYCLE_1)
	v_cmp_gt_u32_e32 vcc_lo, s10, v0
	s_and_b32 s2, vcc_lo, s2
	s_and_b32 s2, s2, s3
	s_delay_alu instid0(SALU_CYCLE_1) | instskip(NEXT) | instid1(SALU_CYCLE_1)
	s_and_b32 s2, s4, s2
	s_and_saveexec_b32 s3, s2
	s_cbranch_execz .LBB68_4
; %bb.1:
	s_clause 0x4
	s_load_b64 s[2:3], s[0:1], 0x0
	s_load_b96 s[24:26], s[0:1], 0xa8
	s_load_b256 s[4:11], s[0:1], 0x88
	s_load_b128 s[20:23], s[0:1], 0x78
	s_load_b256 s[12:19], s[0:1], 0x58
	v_dual_mov_b32 v3, 0 :: v_dual_mov_b32 v5, 0
	s_wait_kmcnt 0x0
	s_cmp_eq_u64 s[2:3], 0
	s_cbranch_scc1 .LBB68_3
; %bb.2:
	v_mul_lo_u32 v5, v1, s10
	v_mov_b32_e32 v7, 0
	s_delay_alu instid0(VALU_DEP_2) | instskip(NEXT) | instid1(VALU_DEP_1)
	v_mad_u32 v5, v2, s9, v5
	v_mad_u32 v6, v4, s8, v5
	s_delay_alu instid0(VALU_DEP_1) | instskip(SKIP_1) | instid1(VALU_DEP_1)
	v_lshl_add_u64 v[8:9], v[6:7], 1, s[2:3]
	v_mul_lo_u32 v6, v0, s7
	v_lshl_add_u64 v[6:7], v[6:7], 1, v[8:9]
	global_load_u16 v5, v[6:7], off
	s_wait_loadcnt 0x0
	v_cvt_f32_f16_e32 v5, v5
.LBB68_3:
	v_mul_hi_u32 v6, s21, v1
	v_mul_hi_u32 v7, s18, v2
	;; [unrolled: 1-line block ×4, first 2 shown]
	s_load_b64 s[2:3], s[0:1], 0xd8
	s_delay_alu instid0(VALU_DEP_3) | instskip(NEXT) | instid1(VALU_DEP_1)
	v_dual_add_nc_u32 v6, v1, v6 :: v_dual_add_nc_u32 v7, v2, v7
	v_dual_lshrrev_b32 v6, s22, v6 :: v_dual_lshrrev_b32 v7, s19, v7
	s_delay_alu instid0(VALU_DEP_1) | instskip(SKIP_1) | instid1(VALU_DEP_3)
	v_mul_lo_u32 v6, v6, s23
	v_add_nc_u32_e32 v8, v4, v8
	v_mul_lo_u32 v7, v7, s20
	s_delay_alu instid0(VALU_DEP_3) | instskip(NEXT) | instid1(VALU_DEP_3)
	v_dual_sub_nc_u32 v6, v1, v6 :: v_dual_add_nc_u32 v9, v0, v9
	v_lshrrev_b32_e32 v8, s16, v8
	v_mul_lo_u32 v1, v1, s6
	s_delay_alu instid0(VALU_DEP_4) | instskip(NEXT) | instid1(VALU_DEP_4)
	v_sub_nc_u32_e32 v7, v2, v7
	v_mul_lo_u32 v6, v6, s26
	v_lshrrev_b32_e32 v9, s13, v9
	v_mul_lo_u32 v8, v8, s17
	s_delay_alu instid0(VALU_DEP_2) | instskip(SKIP_2) | instid1(VALU_DEP_4)
	v_mul_lo_u32 v9, v9, s14
	v_mad_u32 v1, v2, s5, v1
	v_mad_u32 v7, v7, s25, v6
	v_sub_nc_u32_e32 v8, v4, v8
	s_delay_alu instid0(VALU_DEP_1) | instskip(NEXT) | instid1(VALU_DEP_1)
	v_mad_u32 v8, v8, s24, v7
	v_dual_sub_nc_u32 v6, v0, v9 :: v_dual_ashrrev_i32 v9, 31, v8
	s_delay_alu instid0(VALU_DEP_1) | instskip(SKIP_1) | instid1(VALU_DEP_1)
	v_mul_lo_u32 v6, v6, s11
	s_load_b256 s[8:15], s[0:1], 0xb8
	v_ashrrev_i32_e32 v7, 31, v6
	s_wait_xcnt 0x0
	s_load_b64 s[0:1], s[0:1], 0x10
	s_delay_alu instid0(VALU_DEP_1) | instskip(NEXT) | instid1(VALU_DEP_1)
	v_add_nc_u64_e32 v[6:7], v[6:7], v[8:9]
	v_lshlrev_b64_e32 v[6:7], 2, v[6:7]
	s_wait_kmcnt 0x0
	s_delay_alu instid0(VALU_DEP_1)
	v_add_nc_u64_e32 v[8:9], s[8:9], v[6:7]
	v_add_nc_u64_e32 v[10:11], s[10:11], v[6:7]
	global_load_b32 v12, v[8:9], off
	s_wait_xcnt 0x0
	v_add_nc_u64_e32 v[8:9], s[12:13], v[6:7]
	global_load_b32 v13, v[10:11], off
	s_wait_xcnt 0x0
	v_add_nc_u64_e32 v[10:11], s[14:15], v[6:7]
	v_add_nc_u64_e32 v[6:7], s[2:3], v[6:7]
	global_load_b32 v8, v[8:9], off
	global_load_b32 v9, v[10:11], off
	;; [unrolled: 1-line block ×3, first 2 shown]
	s_wait_loadcnt 0x4
	v_add_f32_e32 v2, v5, v12
	s_wait_loadcnt 0x3
	s_delay_alu instid0(VALU_DEP_1) | instskip(SKIP_2) | instid1(VALU_DEP_2)
	v_add_f32_e32 v5, v2, v13
	v_mad_u32 v2, v4, s4, v1
	s_wait_loadcnt 0x2
	v_add_f32_e32 v1, v5, v8
	s_wait_loadcnt 0x1
	s_delay_alu instid0(VALU_DEP_1) | instskip(NEXT) | instid1(VALU_DEP_3)
	v_dual_add_f32 v4, v1, v9 :: v_dual_mov_b32 v1, v3
	v_lshl_add_u64 v[2:3], v[2:3], 1, s[0:1]
	s_wait_loadcnt 0x0
	s_delay_alu instid0(VALU_DEP_2) | instskip(NEXT) | instid1(VALU_DEP_2)
	v_add_f32_e32 v4, v4, v14
	v_lshl_add_u64 v[0:1], v[0:1], 1, v[2:3]
	s_delay_alu instid0(VALU_DEP_2)
	v_cvt_f16_f32_e32 v4, v4
	global_store_b16 v[0:1], v4, off
.LBB68_4:
	s_endpgm
	.section	.rodata,"a",@progbits
	.p2align	6, 0x0
	.amdhsa_kernel _ZL19k_bin_bcast_unravelIXadL_ZL6op_addffEE6__halffS0_JPKfS2_S2_S2_S2_EEvPKT0_PKT1_PT2_15HIP_vector_typeIjLj3EESC_SC_jSC_SC_SC_SC_SC_SC_iiiiiiiiiiiDpT3_
		.amdhsa_group_segment_fixed_size 0
		.amdhsa_private_segment_fixed_size 0
		.amdhsa_kernarg_size 480
		.amdhsa_user_sgpr_count 2
		.amdhsa_user_sgpr_dispatch_ptr 0
		.amdhsa_user_sgpr_queue_ptr 0
		.amdhsa_user_sgpr_kernarg_segment_ptr 1
		.amdhsa_user_sgpr_dispatch_id 0
		.amdhsa_user_sgpr_kernarg_preload_length 0
		.amdhsa_user_sgpr_kernarg_preload_offset 0
		.amdhsa_user_sgpr_private_segment_size 0
		.amdhsa_wavefront_size32 1
		.amdhsa_uses_dynamic_stack 0
		.amdhsa_enable_private_segment 0
		.amdhsa_system_sgpr_workgroup_id_x 1
		.amdhsa_system_sgpr_workgroup_id_y 0
		.amdhsa_system_sgpr_workgroup_id_z 0
		.amdhsa_system_sgpr_workgroup_info 0
		.amdhsa_system_vgpr_workitem_id 0
		.amdhsa_next_free_vgpr 15
		.amdhsa_next_free_sgpr 27
		.amdhsa_named_barrier_count 0
		.amdhsa_reserve_vcc 1
		.amdhsa_float_round_mode_32 0
		.amdhsa_float_round_mode_16_64 0
		.amdhsa_float_denorm_mode_32 3
		.amdhsa_float_denorm_mode_16_64 3
		.amdhsa_fp16_overflow 0
		.amdhsa_memory_ordered 1
		.amdhsa_forward_progress 1
		.amdhsa_inst_pref_size 7
		.amdhsa_round_robin_scheduling 0
		.amdhsa_exception_fp_ieee_invalid_op 0
		.amdhsa_exception_fp_denorm_src 0
		.amdhsa_exception_fp_ieee_div_zero 0
		.amdhsa_exception_fp_ieee_overflow 0
		.amdhsa_exception_fp_ieee_underflow 0
		.amdhsa_exception_fp_ieee_inexact 0
		.amdhsa_exception_int_div_zero 0
	.end_amdhsa_kernel
	.section	.text._ZL19k_bin_bcast_unravelIXadL_ZL6op_addffEE6__halffS0_JPKfS2_S2_S2_S2_EEvPKT0_PKT1_PT2_15HIP_vector_typeIjLj3EESC_SC_jSC_SC_SC_SC_SC_SC_iiiiiiiiiiiDpT3_,"axG",@progbits,_ZL19k_bin_bcast_unravelIXadL_ZL6op_addffEE6__halffS0_JPKfS2_S2_S2_S2_EEvPKT0_PKT1_PT2_15HIP_vector_typeIjLj3EESC_SC_jSC_SC_SC_SC_SC_SC_iiiiiiiiiiiDpT3_,comdat
.Lfunc_end68:
	.size	_ZL19k_bin_bcast_unravelIXadL_ZL6op_addffEE6__halffS0_JPKfS2_S2_S2_S2_EEvPKT0_PKT1_PT2_15HIP_vector_typeIjLj3EESC_SC_jSC_SC_SC_SC_SC_SC_iiiiiiiiiiiDpT3_, .Lfunc_end68-_ZL19k_bin_bcast_unravelIXadL_ZL6op_addffEE6__halffS0_JPKfS2_S2_S2_S2_EEvPKT0_PKT1_PT2_15HIP_vector_typeIjLj3EESC_SC_jSC_SC_SC_SC_SC_SC_iiiiiiiiiiiDpT3_
                                        ; -- End function
	.set _ZL19k_bin_bcast_unravelIXadL_ZL6op_addffEE6__halffS0_JPKfS2_S2_S2_S2_EEvPKT0_PKT1_PT2_15HIP_vector_typeIjLj3EESC_SC_jSC_SC_SC_SC_SC_SC_iiiiiiiiiiiDpT3_.num_vgpr, 15
	.set _ZL19k_bin_bcast_unravelIXadL_ZL6op_addffEE6__halffS0_JPKfS2_S2_S2_S2_EEvPKT0_PKT1_PT2_15HIP_vector_typeIjLj3EESC_SC_jSC_SC_SC_SC_SC_SC_iiiiiiiiiiiDpT3_.num_agpr, 0
	.set _ZL19k_bin_bcast_unravelIXadL_ZL6op_addffEE6__halffS0_JPKfS2_S2_S2_S2_EEvPKT0_PKT1_PT2_15HIP_vector_typeIjLj3EESC_SC_jSC_SC_SC_SC_SC_SC_iiiiiiiiiiiDpT3_.numbered_sgpr, 27
	.set _ZL19k_bin_bcast_unravelIXadL_ZL6op_addffEE6__halffS0_JPKfS2_S2_S2_S2_EEvPKT0_PKT1_PT2_15HIP_vector_typeIjLj3EESC_SC_jSC_SC_SC_SC_SC_SC_iiiiiiiiiiiDpT3_.num_named_barrier, 0
	.set _ZL19k_bin_bcast_unravelIXadL_ZL6op_addffEE6__halffS0_JPKfS2_S2_S2_S2_EEvPKT0_PKT1_PT2_15HIP_vector_typeIjLj3EESC_SC_jSC_SC_SC_SC_SC_SC_iiiiiiiiiiiDpT3_.private_seg_size, 0
	.set _ZL19k_bin_bcast_unravelIXadL_ZL6op_addffEE6__halffS0_JPKfS2_S2_S2_S2_EEvPKT0_PKT1_PT2_15HIP_vector_typeIjLj3EESC_SC_jSC_SC_SC_SC_SC_SC_iiiiiiiiiiiDpT3_.uses_vcc, 1
	.set _ZL19k_bin_bcast_unravelIXadL_ZL6op_addffEE6__halffS0_JPKfS2_S2_S2_S2_EEvPKT0_PKT1_PT2_15HIP_vector_typeIjLj3EESC_SC_jSC_SC_SC_SC_SC_SC_iiiiiiiiiiiDpT3_.uses_flat_scratch, 0
	.set _ZL19k_bin_bcast_unravelIXadL_ZL6op_addffEE6__halffS0_JPKfS2_S2_S2_S2_EEvPKT0_PKT1_PT2_15HIP_vector_typeIjLj3EESC_SC_jSC_SC_SC_SC_SC_SC_iiiiiiiiiiiDpT3_.has_dyn_sized_stack, 0
	.set _ZL19k_bin_bcast_unravelIXadL_ZL6op_addffEE6__halffS0_JPKfS2_S2_S2_S2_EEvPKT0_PKT1_PT2_15HIP_vector_typeIjLj3EESC_SC_jSC_SC_SC_SC_SC_SC_iiiiiiiiiiiDpT3_.has_recursion, 0
	.set _ZL19k_bin_bcast_unravelIXadL_ZL6op_addffEE6__halffS0_JPKfS2_S2_S2_S2_EEvPKT0_PKT1_PT2_15HIP_vector_typeIjLj3EESC_SC_jSC_SC_SC_SC_SC_SC_iiiiiiiiiiiDpT3_.has_indirect_call, 0
	.section	.AMDGPU.csdata,"",@progbits
; Kernel info:
; codeLenInByte = 864
; TotalNumSgprs: 29
; NumVgprs: 15
; ScratchSize: 0
; MemoryBound: 0
; FloatMode: 240
; IeeeMode: 1
; LDSByteSize: 0 bytes/workgroup (compile time only)
; SGPRBlocks: 0
; VGPRBlocks: 0
; NumSGPRsForWavesPerEU: 29
; NumVGPRsForWavesPerEU: 15
; NamedBarCnt: 0
; Occupancy: 16
; WaveLimiterHint : 1
; COMPUTE_PGM_RSRC2:SCRATCH_EN: 0
; COMPUTE_PGM_RSRC2:USER_SGPR: 2
; COMPUTE_PGM_RSRC2:TRAP_HANDLER: 0
; COMPUTE_PGM_RSRC2:TGID_X_EN: 1
; COMPUTE_PGM_RSRC2:TGID_Y_EN: 0
; COMPUTE_PGM_RSRC2:TGID_Z_EN: 0
; COMPUTE_PGM_RSRC2:TIDIG_COMP_CNT: 0
	.section	.text._ZL11k_bin_bcastIXadL_ZL6op_addffEE6__halffS0_JPKfS2_S2_S2_S2_EEvPKT0_PKT1_PT2_iii15HIP_vector_typeIjLj3EESC_SC_SC_SC_iiiiiiiiiiiDpT3_,"axG",@progbits,_ZL11k_bin_bcastIXadL_ZL6op_addffEE6__halffS0_JPKfS2_S2_S2_S2_EEvPKT0_PKT1_PT2_iii15HIP_vector_typeIjLj3EESC_SC_SC_SC_iiiiiiiiiiiDpT3_,comdat
	.globl	_ZL11k_bin_bcastIXadL_ZL6op_addffEE6__halffS0_JPKfS2_S2_S2_S2_EEvPKT0_PKT1_PT2_iii15HIP_vector_typeIjLj3EESC_SC_SC_SC_iiiiiiiiiiiDpT3_ ; -- Begin function _ZL11k_bin_bcastIXadL_ZL6op_addffEE6__halffS0_JPKfS2_S2_S2_S2_EEvPKT0_PKT1_PT2_iii15HIP_vector_typeIjLj3EESC_SC_SC_SC_iiiiiiiiiiiDpT3_
	.p2align	8
	.type	_ZL11k_bin_bcastIXadL_ZL6op_addffEE6__halffS0_JPKfS2_S2_S2_S2_EEvPKT0_PKT1_PT2_iii15HIP_vector_typeIjLj3EESC_SC_SC_SC_iiiiiiiiiiiDpT3_,@function
_ZL11k_bin_bcastIXadL_ZL6op_addffEE6__halffS0_JPKfS2_S2_S2_S2_EEvPKT0_PKT1_PT2_iii15HIP_vector_typeIjLj3EESC_SC_SC_SC_iiiiiiiiiiiDpT3_: ; @_ZL11k_bin_bcastIXadL_ZL6op_addffEE6__halffS0_JPKfS2_S2_S2_S2_EEvPKT0_PKT1_PT2_iii15HIP_vector_typeIjLj3EESC_SC_SC_SC_iiiiiiiiiiiDpT3_
; %bb.0:
	s_load_b64 s[2:3], s[0:1], 0xc4
	s_bfe_u32 s5, ttmp6, 0x40014
	s_bfe_u32 s7, ttmp6, 0x40010
	;; [unrolled: 1-line block ×3, first 2 shown]
	s_lshr_b32 s4, ttmp7, 16
	s_and_b32 s16, ttmp7, 0xffff
	s_add_co_i32 s5, s5, 1
	s_add_co_i32 s7, s7, 1
	s_load_b256 s[8:15], s[0:1], 0x18
	s_add_co_i32 s19, s19, 1
	s_bfe_u32 s6, ttmp6, 0x40008
	s_bfe_u32 s17, ttmp6, 0x40004
	s_mul_i32 s5, s4, s5
	s_mul_i32 s7, s16, s7
	s_and_b32 s18, ttmp6, 15
	s_mul_i32 s19, ttmp9, s19
	s_add_co_i32 s6, s6, s5
	s_add_co_i32 s17, s17, s7
	;; [unrolled: 1-line block ×3, first 2 shown]
	v_bfe_u32 v1, v0, 20, 10
	s_wait_kmcnt 0x0
	s_lshr_b32 s5, s2, 16
	s_and_b32 s7, s2, 0xffff
	s_getreg_b32 s2, hwreg(HW_REG_IB_STS2, 6, 4)
	s_and_b32 s3, s3, 0xffff
	s_cmp_eq_u32 s2, 0
	v_and_b32_e32 v2, 0x3ff, v0
	s_cselect_b32 s2, s4, s6
	v_bfe_u32 v4, v0, 10, 10
	v_mad_u32 v3, s2, s3, v1
	s_cselect_b32 s2, ttmp9, s18
	s_cselect_b32 s3, s16, s17
	v_mad_u32 v0, s2, s7, v2
	v_mad_u32 v2, s3, s5, v4
	s_delay_alu instid0(VALU_DEP_3) | instskip(NEXT) | instid1(VALU_DEP_3)
	v_mul_hi_u32 v1, v3, s11
	v_cmp_gt_u32_e32 vcc_lo, s8, v0
	s_delay_alu instid0(VALU_DEP_3) | instskip(SKIP_2) | instid1(VALU_DEP_1)
	v_cmp_gt_u32_e64 s2, s9, v2
	s_and_b32 s2, vcc_lo, s2
	v_add_nc_u32_e32 v1, v3, v1
	v_lshrrev_b32_e32 v1, s12, v1
	s_delay_alu instid0(VALU_DEP_1) | instskip(SKIP_3) | instid1(VALU_DEP_1)
	v_mul_lo_u32 v5, v1, s13
	v_cmp_gt_u32_e64 s3, s10, v1
	s_and_b32 s2, s2, s3
	v_sub_nc_u32_e32 v3, v3, v5
	v_cmp_gt_u32_e64 s4, s13, v3
	s_and_b32 s2, s2, s4
	s_delay_alu instid0(SALU_CYCLE_1)
	s_and_saveexec_b32 s3, s2
	s_cbranch_execz .LBB69_6
; %bb.1:
	v_cmp_gt_i32_e32 vcc_lo, s8, v0
	s_and_b32 exec_lo, exec_lo, vcc_lo
	s_cbranch_execz .LBB69_6
; %bb.2:
	s_clause 0x5
	s_load_b256 s[24:31], s[0:1], 0x3c
	s_load_b32 s2, s[0:1], 0x5c
	s_load_b256 s[16:23], s[0:1], 0x60
	s_load_b96 s[4:6], s[0:1], 0x80
	s_load_b64 s[10:11], s[0:1], 0x0
	s_load_b64 s[12:13], s[0:1], 0x10
	s_wait_kmcnt 0x0
	v_mul_hi_u32 v4, s30, v3
	v_mul_hi_u32 v5, s27, v1
	;; [unrolled: 1-line block ×3, first 2 shown]
	v_mul_lo_u32 v7, v2, s20
	v_mul_lo_u32 v8, v2, s16
	s_cmp_lg_u64 s[10:11], 0
	s_delay_alu instid0(VALU_DEP_4) | instskip(NEXT) | instid1(VALU_DEP_3)
	v_dual_add_nc_u32 v4, v3, v4 :: v_dual_add_nc_u32 v5, v1, v5
	v_mad_u32 v7, v1, s21, v7
	s_delay_alu instid0(VALU_DEP_3) | instskip(NEXT) | instid1(VALU_DEP_3)
	v_mad_u32 v8, v1, s17, v8
	v_dual_lshrrev_b32 v4, s31, v4 :: v_dual_lshrrev_b32 v5, s28, v5
	s_delay_alu instid0(VALU_DEP_1) | instskip(SKIP_1) | instid1(VALU_DEP_3)
	v_mul_lo_u32 v4, v4, s2
	v_add_nc_u32_e32 v6, v2, v6
	v_mul_lo_u32 v5, v5, s29
	s_add_nc_u64 s[2:3], s[0:1], 0xb8
	v_mad_u32 v8, v3, s18, v8
	s_delay_alu instid0(VALU_DEP_3) | instskip(NEXT) | instid1(VALU_DEP_3)
	v_dual_sub_nc_u32 v4, v3, v4 :: v_dual_lshrrev_b32 v6, s25, v6
	v_sub_nc_u32_e32 v5, v1, v5
	s_delay_alu instid0(VALU_DEP_2) | instskip(NEXT) | instid1(VALU_DEP_3)
	v_mul_lo_u32 v9, v4, s6
	v_mul_lo_u32 v6, v6, s26
	s_load_b32 s6, s[2:3], 0x0
	s_load_b32 s9, s[0:1], 0x38
	v_mad_u32 v4, v3, s22, v7
	s_wait_xcnt 0x0
	s_clause 0x1
	s_load_b64 s[2:3], s[0:1], 0xb0
	s_load_b256 s[24:31], s[0:1], 0x90
	v_mov_b32_e32 v1, 0
	s_wait_xcnt 0x0
	s_mov_b32 s1, 0
	s_mov_b32 s0, s14
	v_mad_u32 v7, v5, s5, v9
	v_sub_nc_u32_e32 v2, v2, v6
	v_mul_lo_u32 v6, s19, v0
	v_dual_mov_b32 v5, v1 :: v_dual_mov_b32 v9, v1
	v_mov_b32_e32 v3, v1
	s_cselect_b32 s5, -1, 0
	s_delay_alu instid0(VALU_DEP_2) | instskip(NEXT) | instid1(VALU_DEP_3)
	v_lshl_add_u64 v[4:5], v[4:5], 1, s[10:11]
	v_lshl_add_u64 v[8:9], v[8:9], 1, s[12:13]
	v_mad_u32 v2, v2, s4, v7
	s_wait_kmcnt 0x0
	s_mul_i32 s4, s6, s7
	s_sub_co_i32 s7, 0, s9
	s_mul_i32 s6, s4, s19
	s_mov_b32 s9, s1
	s_branch .LBB69_4
.LBB69_3:                               ;   in Loop: Header=BB69_4 Depth=1
	s_wait_xcnt 0x0
	v_mul_u64_e32 v[10:11], s[0:1], v[0:1]
	s_delay_alu instid0(VALU_DEP_1) | instskip(NEXT) | instid1(VALU_DEP_1)
	v_dual_add_nc_u32 v6, s6, v6 :: v_dual_add_nc_u32 v10, v0, v11
	v_dual_mov_b32 v11, v1 :: v_dual_lshrrev_b32 v10, s15, v10
	s_delay_alu instid0(VALU_DEP_1) | instskip(NEXT) | instid1(VALU_DEP_1)
	v_mad_u32 v10, s7, v10, v0
	v_mul_lo_u32 v10, v10, s23
	s_delay_alu instid0(VALU_DEP_1) | instskip(NEXT) | instid1(VALU_DEP_1)
	v_add_nc_u64_e32 v[10:11], v[10:11], v[2:3]
	v_lshlrev_b64_e32 v[10:11], 2, v[10:11]
	s_delay_alu instid0(VALU_DEP_1)
	v_add_nc_u64_e32 v[12:13], s[24:25], v[10:11]
	v_add_nc_u64_e32 v[14:15], s[26:27], v[10:11]
	global_load_b32 v16, v[12:13], off
	s_wait_xcnt 0x0
	v_add_nc_u64_e32 v[12:13], s[28:29], v[10:11]
	global_load_b32 v17, v[14:15], off
	s_wait_xcnt 0x0
	v_add_nc_u64_e32 v[14:15], s[30:31], v[10:11]
	v_add_nc_u64_e32 v[10:11], s[2:3], v[10:11]
	global_load_b32 v12, v[12:13], off
	global_load_b32 v13, v[14:15], off
	;; [unrolled: 1-line block ×3, first 2 shown]
	s_wait_xcnt 0x0
	v_dual_mov_b32 v10, v0 :: v_dual_ashrrev_i32 v11, 31, v0
	v_add_nc_u32_e32 v0, s4, v0
	s_delay_alu instid0(VALU_DEP_2) | instskip(NEXT) | instid1(VALU_DEP_2)
	v_lshl_add_u64 v[10:11], v[10:11], 1, v[8:9]
	v_cmp_le_i32_e32 vcc_lo, s8, v0
	s_or_b32 s9, vcc_lo, s9
	s_wait_loadcnt 0x4
	v_add_f32_e32 v7, v7, v16
	s_wait_loadcnt 0x3
	s_delay_alu instid0(VALU_DEP_1) | instskip(SKIP_1) | instid1(VALU_DEP_1)
	v_add_f32_e32 v7, v7, v17
	s_wait_loadcnt 0x2
	v_add_f32_e32 v7, v7, v12
	s_wait_loadcnt 0x1
	s_delay_alu instid0(VALU_DEP_1) | instskip(SKIP_1) | instid1(VALU_DEP_1)
	v_add_f32_e32 v7, v7, v13
	s_wait_loadcnt 0x0
	v_add_f32_e32 v7, v7, v18
	s_delay_alu instid0(VALU_DEP_1)
	v_cvt_f16_f32_e32 v7, v7
	global_store_b16 v[10:11], v7, off
	s_wait_xcnt 0x0
	s_and_not1_b32 exec_lo, exec_lo, s9
	s_cbranch_execz .LBB69_6
.LBB69_4:                               ; =>This Inner Loop Header: Depth=1
	v_mov_b32_e32 v7, 0
	s_and_not1_b32 vcc_lo, exec_lo, s5
	s_cbranch_vccnz .LBB69_3
; %bb.5:                                ;   in Loop: Header=BB69_4 Depth=1
	v_ashrrev_i32_e32 v7, 31, v6
	s_delay_alu instid0(VALU_DEP_1)
	v_lshl_add_u64 v[10:11], v[6:7], 1, v[4:5]
	global_load_u16 v7, v[10:11], off
	s_wait_loadcnt 0x0
	v_cvt_f32_f16_e32 v7, v7
	s_branch .LBB69_3
.LBB69_6:
	s_endpgm
	.section	.rodata,"a",@progbits
	.p2align	6, 0x0
	.amdhsa_kernel _ZL11k_bin_bcastIXadL_ZL6op_addffEE6__halffS0_JPKfS2_S2_S2_S2_EEvPKT0_PKT1_PT2_iii15HIP_vector_typeIjLj3EESC_SC_SC_SC_iiiiiiiiiiiDpT3_
		.amdhsa_group_segment_fixed_size 0
		.amdhsa_private_segment_fixed_size 0
		.amdhsa_kernarg_size 440
		.amdhsa_user_sgpr_count 2
		.amdhsa_user_sgpr_dispatch_ptr 0
		.amdhsa_user_sgpr_queue_ptr 0
		.amdhsa_user_sgpr_kernarg_segment_ptr 1
		.amdhsa_user_sgpr_dispatch_id 0
		.amdhsa_user_sgpr_kernarg_preload_length 0
		.amdhsa_user_sgpr_kernarg_preload_offset 0
		.amdhsa_user_sgpr_private_segment_size 0
		.amdhsa_wavefront_size32 1
		.amdhsa_uses_dynamic_stack 0
		.amdhsa_enable_private_segment 0
		.amdhsa_system_sgpr_workgroup_id_x 1
		.amdhsa_system_sgpr_workgroup_id_y 1
		.amdhsa_system_sgpr_workgroup_id_z 1
		.amdhsa_system_sgpr_workgroup_info 0
		.amdhsa_system_vgpr_workitem_id 2
		.amdhsa_next_free_vgpr 19
		.amdhsa_next_free_sgpr 32
		.amdhsa_named_barrier_count 0
		.amdhsa_reserve_vcc 1
		.amdhsa_float_round_mode_32 0
		.amdhsa_float_round_mode_16_64 0
		.amdhsa_float_denorm_mode_32 3
		.amdhsa_float_denorm_mode_16_64 3
		.amdhsa_fp16_overflow 0
		.amdhsa_memory_ordered 1
		.amdhsa_forward_progress 1
		.amdhsa_inst_pref_size 8
		.amdhsa_round_robin_scheduling 0
		.amdhsa_exception_fp_ieee_invalid_op 0
		.amdhsa_exception_fp_denorm_src 0
		.amdhsa_exception_fp_ieee_div_zero 0
		.amdhsa_exception_fp_ieee_overflow 0
		.amdhsa_exception_fp_ieee_underflow 0
		.amdhsa_exception_fp_ieee_inexact 0
		.amdhsa_exception_int_div_zero 0
	.end_amdhsa_kernel
	.section	.text._ZL11k_bin_bcastIXadL_ZL6op_addffEE6__halffS0_JPKfS2_S2_S2_S2_EEvPKT0_PKT1_PT2_iii15HIP_vector_typeIjLj3EESC_SC_SC_SC_iiiiiiiiiiiDpT3_,"axG",@progbits,_ZL11k_bin_bcastIXadL_ZL6op_addffEE6__halffS0_JPKfS2_S2_S2_S2_EEvPKT0_PKT1_PT2_iii15HIP_vector_typeIjLj3EESC_SC_SC_SC_iiiiiiiiiiiDpT3_,comdat
.Lfunc_end69:
	.size	_ZL11k_bin_bcastIXadL_ZL6op_addffEE6__halffS0_JPKfS2_S2_S2_S2_EEvPKT0_PKT1_PT2_iii15HIP_vector_typeIjLj3EESC_SC_SC_SC_iiiiiiiiiiiDpT3_, .Lfunc_end69-_ZL11k_bin_bcastIXadL_ZL6op_addffEE6__halffS0_JPKfS2_S2_S2_S2_EEvPKT0_PKT1_PT2_iii15HIP_vector_typeIjLj3EESC_SC_SC_SC_iiiiiiiiiiiDpT3_
                                        ; -- End function
	.set _ZL11k_bin_bcastIXadL_ZL6op_addffEE6__halffS0_JPKfS2_S2_S2_S2_EEvPKT0_PKT1_PT2_iii15HIP_vector_typeIjLj3EESC_SC_SC_SC_iiiiiiiiiiiDpT3_.num_vgpr, 19
	.set _ZL11k_bin_bcastIXadL_ZL6op_addffEE6__halffS0_JPKfS2_S2_S2_S2_EEvPKT0_PKT1_PT2_iii15HIP_vector_typeIjLj3EESC_SC_SC_SC_iiiiiiiiiiiDpT3_.num_agpr, 0
	.set _ZL11k_bin_bcastIXadL_ZL6op_addffEE6__halffS0_JPKfS2_S2_S2_S2_EEvPKT0_PKT1_PT2_iii15HIP_vector_typeIjLj3EESC_SC_SC_SC_iiiiiiiiiiiDpT3_.numbered_sgpr, 32
	.set _ZL11k_bin_bcastIXadL_ZL6op_addffEE6__halffS0_JPKfS2_S2_S2_S2_EEvPKT0_PKT1_PT2_iii15HIP_vector_typeIjLj3EESC_SC_SC_SC_iiiiiiiiiiiDpT3_.num_named_barrier, 0
	.set _ZL11k_bin_bcastIXadL_ZL6op_addffEE6__halffS0_JPKfS2_S2_S2_S2_EEvPKT0_PKT1_PT2_iii15HIP_vector_typeIjLj3EESC_SC_SC_SC_iiiiiiiiiiiDpT3_.private_seg_size, 0
	.set _ZL11k_bin_bcastIXadL_ZL6op_addffEE6__halffS0_JPKfS2_S2_S2_S2_EEvPKT0_PKT1_PT2_iii15HIP_vector_typeIjLj3EESC_SC_SC_SC_iiiiiiiiiiiDpT3_.uses_vcc, 1
	.set _ZL11k_bin_bcastIXadL_ZL6op_addffEE6__halffS0_JPKfS2_S2_S2_S2_EEvPKT0_PKT1_PT2_iii15HIP_vector_typeIjLj3EESC_SC_SC_SC_iiiiiiiiiiiDpT3_.uses_flat_scratch, 0
	.set _ZL11k_bin_bcastIXadL_ZL6op_addffEE6__halffS0_JPKfS2_S2_S2_S2_EEvPKT0_PKT1_PT2_iii15HIP_vector_typeIjLj3EESC_SC_SC_SC_iiiiiiiiiiiDpT3_.has_dyn_sized_stack, 0
	.set _ZL11k_bin_bcastIXadL_ZL6op_addffEE6__halffS0_JPKfS2_S2_S2_S2_EEvPKT0_PKT1_PT2_iii15HIP_vector_typeIjLj3EESC_SC_SC_SC_iiiiiiiiiiiDpT3_.has_recursion, 0
	.set _ZL11k_bin_bcastIXadL_ZL6op_addffEE6__halffS0_JPKfS2_S2_S2_S2_EEvPKT0_PKT1_PT2_iii15HIP_vector_typeIjLj3EESC_SC_SC_SC_iiiiiiiiiiiDpT3_.has_indirect_call, 0
	.section	.AMDGPU.csdata,"",@progbits
; Kernel info:
; codeLenInByte = 1016
; TotalNumSgprs: 34
; NumVgprs: 19
; ScratchSize: 0
; MemoryBound: 0
; FloatMode: 240
; IeeeMode: 1
; LDSByteSize: 0 bytes/workgroup (compile time only)
; SGPRBlocks: 0
; VGPRBlocks: 1
; NumSGPRsForWavesPerEU: 34
; NumVGPRsForWavesPerEU: 19
; NamedBarCnt: 0
; Occupancy: 16
; WaveLimiterHint : 1
; COMPUTE_PGM_RSRC2:SCRATCH_EN: 0
; COMPUTE_PGM_RSRC2:USER_SGPR: 2
; COMPUTE_PGM_RSRC2:TRAP_HANDLER: 0
; COMPUTE_PGM_RSRC2:TGID_X_EN: 1
; COMPUTE_PGM_RSRC2:TGID_Y_EN: 1
; COMPUTE_PGM_RSRC2:TGID_Z_EN: 1
; COMPUTE_PGM_RSRC2:TIDIG_COMP_CNT: 2
	.section	.text._ZL19k_bin_bcast_unravelIXadL_ZL6op_addffEE6__halfffJPKfS2_S2_S2_S2_EEvPKT0_PKT1_PT2_15HIP_vector_typeIjLj3EESC_SC_jSC_SC_SC_SC_SC_SC_iiiiiiiiiiiDpT3_,"axG",@progbits,_ZL19k_bin_bcast_unravelIXadL_ZL6op_addffEE6__halfffJPKfS2_S2_S2_S2_EEvPKT0_PKT1_PT2_15HIP_vector_typeIjLj3EESC_SC_jSC_SC_SC_SC_SC_SC_iiiiiiiiiiiDpT3_,comdat
	.globl	_ZL19k_bin_bcast_unravelIXadL_ZL6op_addffEE6__halfffJPKfS2_S2_S2_S2_EEvPKT0_PKT1_PT2_15HIP_vector_typeIjLj3EESC_SC_jSC_SC_SC_SC_SC_SC_iiiiiiiiiiiDpT3_ ; -- Begin function _ZL19k_bin_bcast_unravelIXadL_ZL6op_addffEE6__halfffJPKfS2_S2_S2_S2_EEvPKT0_PKT1_PT2_15HIP_vector_typeIjLj3EESC_SC_jSC_SC_SC_SC_SC_SC_iiiiiiiiiiiDpT3_
	.p2align	8
	.type	_ZL19k_bin_bcast_unravelIXadL_ZL6op_addffEE6__halfffJPKfS2_S2_S2_S2_EEvPKT0_PKT1_PT2_15HIP_vector_typeIjLj3EESC_SC_jSC_SC_SC_SC_SC_SC_iiiiiiiiiiiDpT3_,@function
_ZL19k_bin_bcast_unravelIXadL_ZL6op_addffEE6__halfffJPKfS2_S2_S2_S2_EEvPKT0_PKT1_PT2_15HIP_vector_typeIjLj3EESC_SC_jSC_SC_SC_SC_SC_SC_iiiiiiiiiiiDpT3_: ; @_ZL19k_bin_bcast_unravelIXadL_ZL6op_addffEE6__halfffJPKfS2_S2_S2_S2_EEvPKT0_PKT1_PT2_15HIP_vector_typeIjLj3EESC_SC_jSC_SC_SC_SC_SC_SC_iiiiiiiiiiiDpT3_
; %bb.0:
	s_load_b32 s2, s[0:1], 0xec
	s_bfe_u32 s3, ttmp6, 0x4000c
	s_load_b256 s[4:11], s[0:1], 0x38
	s_add_co_i32 s3, s3, 1
	s_and_b32 s12, ttmp6, 15
	s_mul_i32 s3, ttmp9, s3
	s_getreg_b32 s13, hwreg(HW_REG_IB_STS2, 6, 4)
	s_add_co_i32 s12, s12, s3
	s_wait_kmcnt 0x0
	s_and_b32 s2, s2, 0xffff
	s_cmp_eq_u32 s13, 0
	s_cselect_b32 s3, ttmp9, s12
	s_delay_alu instid0(SALU_CYCLE_1) | instskip(SKIP_1) | instid1(VALU_DEP_1)
	v_mad_u32 v0, s3, s2, v0
	s_load_b32 s2, s[0:1], 0x2c
	v_mul_hi_u32 v1, v0, s6
	s_delay_alu instid0(VALU_DEP_1) | instskip(NEXT) | instid1(VALU_DEP_1)
	v_add_nc_u32_e32 v1, v0, v1
	v_lshrrev_b32_e32 v1, s7, v1
	s_delay_alu instid0(VALU_DEP_1) | instskip(NEXT) | instid1(VALU_DEP_1)
	v_mul_lo_u32 v2, v1, s8
	v_sub_nc_u32_e32 v0, v0, v2
	s_delay_alu instid0(VALU_DEP_1) | instskip(NEXT) | instid1(VALU_DEP_1)
	v_mul_hi_u32 v2, v0, s9
	v_add_nc_u32_e32 v2, v0, v2
	s_delay_alu instid0(VALU_DEP_1) | instskip(SKIP_1) | instid1(VALU_DEP_1)
	v_lshrrev_b32_e32 v2, s10, v2
	s_load_b96 s[8:10], s[0:1], 0x18
	v_mul_lo_u32 v3, v2, s11
	s_delay_alu instid0(VALU_DEP_1) | instskip(SKIP_3) | instid1(VALU_DEP_3)
	v_sub_nc_u32_e32 v0, v0, v3
	v_cmp_gt_u32_e64 s3, s4, v2
	v_cmp_gt_u32_e64 s4, s5, v1
	s_wait_kmcnt 0x0
	v_mul_hi_u32 v3, v0, s8
	s_delay_alu instid0(VALU_DEP_1) | instskip(NEXT) | instid1(VALU_DEP_1)
	v_add_nc_u32_e32 v3, v0, v3
	v_lshrrev_b32_e32 v4, s9, v3
	s_delay_alu instid0(VALU_DEP_1) | instskip(NEXT) | instid1(VALU_DEP_1)
	v_mul_lo_u32 v3, v4, s10
	v_sub_nc_u32_e32 v0, v0, v3
	v_cmp_gt_u32_e64 s2, s2, v4
	s_delay_alu instid0(VALU_DEP_2) | instskip(SKIP_1) | instid1(SALU_CYCLE_1)
	v_cmp_gt_u32_e32 vcc_lo, s10, v0
	s_and_b32 s2, vcc_lo, s2
	s_and_b32 s2, s2, s3
	s_delay_alu instid0(SALU_CYCLE_1) | instskip(NEXT) | instid1(SALU_CYCLE_1)
	s_and_b32 s2, s4, s2
	s_and_saveexec_b32 s3, s2
	s_cbranch_execz .LBB70_4
; %bb.1:
	s_clause 0x4
	s_load_b64 s[2:3], s[0:1], 0x0
	s_load_b96 s[24:26], s[0:1], 0xa8
	s_load_b256 s[4:11], s[0:1], 0x88
	s_load_b128 s[20:23], s[0:1], 0x78
	s_load_b256 s[12:19], s[0:1], 0x58
	v_dual_mov_b32 v3, 0 :: v_dual_mov_b32 v5, 0
	s_wait_kmcnt 0x0
	s_cmp_eq_u64 s[2:3], 0
	s_cbranch_scc1 .LBB70_3
; %bb.2:
	v_mul_lo_u32 v5, v1, s10
	v_mov_b32_e32 v7, 0
	s_delay_alu instid0(VALU_DEP_2) | instskip(NEXT) | instid1(VALU_DEP_1)
	v_mad_u32 v5, v2, s9, v5
	v_mad_u32 v6, v4, s8, v5
	s_delay_alu instid0(VALU_DEP_1) | instskip(SKIP_1) | instid1(VALU_DEP_1)
	v_lshl_add_u64 v[8:9], v[6:7], 1, s[2:3]
	v_mul_lo_u32 v6, v0, s7
	v_lshl_add_u64 v[6:7], v[6:7], 1, v[8:9]
	global_load_u16 v5, v[6:7], off
	s_wait_loadcnt 0x0
	v_cvt_f32_f16_e32 v5, v5
.LBB70_3:
	v_mul_hi_u32 v6, s21, v1
	v_mul_hi_u32 v7, s18, v2
	;; [unrolled: 1-line block ×4, first 2 shown]
	s_load_b64 s[2:3], s[0:1], 0xd8
	s_delay_alu instid0(VALU_DEP_3) | instskip(NEXT) | instid1(VALU_DEP_1)
	v_dual_add_nc_u32 v6, v1, v6 :: v_dual_add_nc_u32 v7, v2, v7
	v_dual_lshrrev_b32 v6, s22, v6 :: v_dual_lshrrev_b32 v7, s19, v7
	s_delay_alu instid0(VALU_DEP_1) | instskip(SKIP_1) | instid1(VALU_DEP_3)
	v_mul_lo_u32 v6, v6, s23
	v_add_nc_u32_e32 v8, v4, v8
	v_mul_lo_u32 v7, v7, s20
	s_delay_alu instid0(VALU_DEP_3) | instskip(NEXT) | instid1(VALU_DEP_3)
	v_dual_sub_nc_u32 v6, v1, v6 :: v_dual_add_nc_u32 v9, v0, v9
	v_lshrrev_b32_e32 v8, s16, v8
	v_mul_lo_u32 v1, v1, s6
	s_delay_alu instid0(VALU_DEP_4) | instskip(NEXT) | instid1(VALU_DEP_4)
	v_sub_nc_u32_e32 v7, v2, v7
	v_mul_lo_u32 v6, v6, s26
	v_lshrrev_b32_e32 v9, s13, v9
	v_mul_lo_u32 v8, v8, s17
	s_delay_alu instid0(VALU_DEP_2) | instskip(SKIP_2) | instid1(VALU_DEP_4)
	v_mul_lo_u32 v9, v9, s14
	v_mad_u32 v1, v2, s5, v1
	v_mad_u32 v7, v7, s25, v6
	v_sub_nc_u32_e32 v8, v4, v8
	s_delay_alu instid0(VALU_DEP_3) | instskip(NEXT) | instid1(VALU_DEP_2)
	v_mad_u32 v2, v4, s4, v1
	v_mad_u32 v8, v8, s24, v7
	s_delay_alu instid0(VALU_DEP_1) | instskip(NEXT) | instid1(VALU_DEP_1)
	v_dual_sub_nc_u32 v6, v0, v9 :: v_dual_ashrrev_i32 v9, 31, v8
	v_mul_lo_u32 v6, v6, s11
	s_load_b256 s[8:15], s[0:1], 0xb8
	s_delay_alu instid0(VALU_DEP_1) | instskip(SKIP_2) | instid1(VALU_DEP_1)
	v_ashrrev_i32_e32 v7, 31, v6
	s_wait_xcnt 0x0
	s_load_b64 s[0:1], s[0:1], 0x10
	v_add_nc_u64_e32 v[6:7], v[6:7], v[8:9]
	s_delay_alu instid0(VALU_DEP_1) | instskip(SKIP_1) | instid1(VALU_DEP_1)
	v_lshlrev_b64_e32 v[6:7], 2, v[6:7]
	s_wait_kmcnt 0x0
	v_add_nc_u64_e32 v[8:9], s[8:9], v[6:7]
	v_add_nc_u64_e32 v[10:11], s[10:11], v[6:7]
	global_load_b32 v12, v[8:9], off
	s_wait_xcnt 0x0
	v_add_nc_u64_e32 v[8:9], s[12:13], v[6:7]
	global_load_b32 v13, v[10:11], off
	s_wait_xcnt 0x0
	v_add_nc_u64_e32 v[10:11], s[14:15], v[6:7]
	v_add_nc_u64_e32 v[6:7], s[2:3], v[6:7]
	global_load_b32 v8, v[8:9], off
	global_load_b32 v9, v[10:11], off
	;; [unrolled: 1-line block ×3, first 2 shown]
	s_wait_loadcnt 0x4
	v_add_f32_e32 v5, v5, v12
	s_wait_loadcnt 0x3
	s_delay_alu instid0(VALU_DEP_1) | instskip(SKIP_1) | instid1(VALU_DEP_1)
	v_add_f32_e32 v1, v5, v13
	s_wait_loadcnt 0x2
	v_dual_add_f32 v4, v1, v8 :: v_dual_mov_b32 v1, v3
	v_lshl_add_u64 v[2:3], v[2:3], 2, s[0:1]
	s_wait_loadcnt 0x1
	s_delay_alu instid0(VALU_DEP_2) | instskip(NEXT) | instid1(VALU_DEP_2)
	v_add_f32_e32 v4, v4, v9
	v_lshl_add_u64 v[0:1], v[0:1], 2, v[2:3]
	s_wait_loadcnt 0x0
	s_delay_alu instid0(VALU_DEP_2)
	v_add_f32_e32 v4, v4, v14
	global_store_b32 v[0:1], v4, off
.LBB70_4:
	s_endpgm
	.section	.rodata,"a",@progbits
	.p2align	6, 0x0
	.amdhsa_kernel _ZL19k_bin_bcast_unravelIXadL_ZL6op_addffEE6__halfffJPKfS2_S2_S2_S2_EEvPKT0_PKT1_PT2_15HIP_vector_typeIjLj3EESC_SC_jSC_SC_SC_SC_SC_SC_iiiiiiiiiiiDpT3_
		.amdhsa_group_segment_fixed_size 0
		.amdhsa_private_segment_fixed_size 0
		.amdhsa_kernarg_size 480
		.amdhsa_user_sgpr_count 2
		.amdhsa_user_sgpr_dispatch_ptr 0
		.amdhsa_user_sgpr_queue_ptr 0
		.amdhsa_user_sgpr_kernarg_segment_ptr 1
		.amdhsa_user_sgpr_dispatch_id 0
		.amdhsa_user_sgpr_kernarg_preload_length 0
		.amdhsa_user_sgpr_kernarg_preload_offset 0
		.amdhsa_user_sgpr_private_segment_size 0
		.amdhsa_wavefront_size32 1
		.amdhsa_uses_dynamic_stack 0
		.amdhsa_enable_private_segment 0
		.amdhsa_system_sgpr_workgroup_id_x 1
		.amdhsa_system_sgpr_workgroup_id_y 0
		.amdhsa_system_sgpr_workgroup_id_z 0
		.amdhsa_system_sgpr_workgroup_info 0
		.amdhsa_system_vgpr_workitem_id 0
		.amdhsa_next_free_vgpr 15
		.amdhsa_next_free_sgpr 27
		.amdhsa_named_barrier_count 0
		.amdhsa_reserve_vcc 1
		.amdhsa_float_round_mode_32 0
		.amdhsa_float_round_mode_16_64 0
		.amdhsa_float_denorm_mode_32 3
		.amdhsa_float_denorm_mode_16_64 3
		.amdhsa_fp16_overflow 0
		.amdhsa_memory_ordered 1
		.amdhsa_forward_progress 1
		.amdhsa_inst_pref_size 7
		.amdhsa_round_robin_scheduling 0
		.amdhsa_exception_fp_ieee_invalid_op 0
		.amdhsa_exception_fp_denorm_src 0
		.amdhsa_exception_fp_ieee_div_zero 0
		.amdhsa_exception_fp_ieee_overflow 0
		.amdhsa_exception_fp_ieee_underflow 0
		.amdhsa_exception_fp_ieee_inexact 0
		.amdhsa_exception_int_div_zero 0
	.end_amdhsa_kernel
	.section	.text._ZL19k_bin_bcast_unravelIXadL_ZL6op_addffEE6__halfffJPKfS2_S2_S2_S2_EEvPKT0_PKT1_PT2_15HIP_vector_typeIjLj3EESC_SC_jSC_SC_SC_SC_SC_SC_iiiiiiiiiiiDpT3_,"axG",@progbits,_ZL19k_bin_bcast_unravelIXadL_ZL6op_addffEE6__halfffJPKfS2_S2_S2_S2_EEvPKT0_PKT1_PT2_15HIP_vector_typeIjLj3EESC_SC_jSC_SC_SC_SC_SC_SC_iiiiiiiiiiiDpT3_,comdat
.Lfunc_end70:
	.size	_ZL19k_bin_bcast_unravelIXadL_ZL6op_addffEE6__halfffJPKfS2_S2_S2_S2_EEvPKT0_PKT1_PT2_15HIP_vector_typeIjLj3EESC_SC_jSC_SC_SC_SC_SC_SC_iiiiiiiiiiiDpT3_, .Lfunc_end70-_ZL19k_bin_bcast_unravelIXadL_ZL6op_addffEE6__halfffJPKfS2_S2_S2_S2_EEvPKT0_PKT1_PT2_15HIP_vector_typeIjLj3EESC_SC_jSC_SC_SC_SC_SC_SC_iiiiiiiiiiiDpT3_
                                        ; -- End function
	.set _ZL19k_bin_bcast_unravelIXadL_ZL6op_addffEE6__halfffJPKfS2_S2_S2_S2_EEvPKT0_PKT1_PT2_15HIP_vector_typeIjLj3EESC_SC_jSC_SC_SC_SC_SC_SC_iiiiiiiiiiiDpT3_.num_vgpr, 15
	.set _ZL19k_bin_bcast_unravelIXadL_ZL6op_addffEE6__halfffJPKfS2_S2_S2_S2_EEvPKT0_PKT1_PT2_15HIP_vector_typeIjLj3EESC_SC_jSC_SC_SC_SC_SC_SC_iiiiiiiiiiiDpT3_.num_agpr, 0
	.set _ZL19k_bin_bcast_unravelIXadL_ZL6op_addffEE6__halfffJPKfS2_S2_S2_S2_EEvPKT0_PKT1_PT2_15HIP_vector_typeIjLj3EESC_SC_jSC_SC_SC_SC_SC_SC_iiiiiiiiiiiDpT3_.numbered_sgpr, 27
	.set _ZL19k_bin_bcast_unravelIXadL_ZL6op_addffEE6__halfffJPKfS2_S2_S2_S2_EEvPKT0_PKT1_PT2_15HIP_vector_typeIjLj3EESC_SC_jSC_SC_SC_SC_SC_SC_iiiiiiiiiiiDpT3_.num_named_barrier, 0
	.set _ZL19k_bin_bcast_unravelIXadL_ZL6op_addffEE6__halfffJPKfS2_S2_S2_S2_EEvPKT0_PKT1_PT2_15HIP_vector_typeIjLj3EESC_SC_jSC_SC_SC_SC_SC_SC_iiiiiiiiiiiDpT3_.private_seg_size, 0
	.set _ZL19k_bin_bcast_unravelIXadL_ZL6op_addffEE6__halfffJPKfS2_S2_S2_S2_EEvPKT0_PKT1_PT2_15HIP_vector_typeIjLj3EESC_SC_jSC_SC_SC_SC_SC_SC_iiiiiiiiiiiDpT3_.uses_vcc, 1
	.set _ZL19k_bin_bcast_unravelIXadL_ZL6op_addffEE6__halfffJPKfS2_S2_S2_S2_EEvPKT0_PKT1_PT2_15HIP_vector_typeIjLj3EESC_SC_jSC_SC_SC_SC_SC_SC_iiiiiiiiiiiDpT3_.uses_flat_scratch, 0
	.set _ZL19k_bin_bcast_unravelIXadL_ZL6op_addffEE6__halfffJPKfS2_S2_S2_S2_EEvPKT0_PKT1_PT2_15HIP_vector_typeIjLj3EESC_SC_jSC_SC_SC_SC_SC_SC_iiiiiiiiiiiDpT3_.has_dyn_sized_stack, 0
	.set _ZL19k_bin_bcast_unravelIXadL_ZL6op_addffEE6__halfffJPKfS2_S2_S2_S2_EEvPKT0_PKT1_PT2_15HIP_vector_typeIjLj3EESC_SC_jSC_SC_SC_SC_SC_SC_iiiiiiiiiiiDpT3_.has_recursion, 0
	.set _ZL19k_bin_bcast_unravelIXadL_ZL6op_addffEE6__halfffJPKfS2_S2_S2_S2_EEvPKT0_PKT1_PT2_15HIP_vector_typeIjLj3EESC_SC_jSC_SC_SC_SC_SC_SC_iiiiiiiiiiiDpT3_.has_indirect_call, 0
	.section	.AMDGPU.csdata,"",@progbits
; Kernel info:
; codeLenInByte = 856
; TotalNumSgprs: 29
; NumVgprs: 15
; ScratchSize: 0
; MemoryBound: 0
; FloatMode: 240
; IeeeMode: 1
; LDSByteSize: 0 bytes/workgroup (compile time only)
; SGPRBlocks: 0
; VGPRBlocks: 0
; NumSGPRsForWavesPerEU: 29
; NumVGPRsForWavesPerEU: 15
; NamedBarCnt: 0
; Occupancy: 16
; WaveLimiterHint : 1
; COMPUTE_PGM_RSRC2:SCRATCH_EN: 0
; COMPUTE_PGM_RSRC2:USER_SGPR: 2
; COMPUTE_PGM_RSRC2:TRAP_HANDLER: 0
; COMPUTE_PGM_RSRC2:TGID_X_EN: 1
; COMPUTE_PGM_RSRC2:TGID_Y_EN: 0
; COMPUTE_PGM_RSRC2:TGID_Z_EN: 0
; COMPUTE_PGM_RSRC2:TIDIG_COMP_CNT: 0
	.section	.text._ZL11k_bin_bcastIXadL_ZL6op_addffEE6__halfffJPKfS2_S2_S2_S2_EEvPKT0_PKT1_PT2_iii15HIP_vector_typeIjLj3EESC_SC_SC_SC_iiiiiiiiiiiDpT3_,"axG",@progbits,_ZL11k_bin_bcastIXadL_ZL6op_addffEE6__halfffJPKfS2_S2_S2_S2_EEvPKT0_PKT1_PT2_iii15HIP_vector_typeIjLj3EESC_SC_SC_SC_iiiiiiiiiiiDpT3_,comdat
	.globl	_ZL11k_bin_bcastIXadL_ZL6op_addffEE6__halfffJPKfS2_S2_S2_S2_EEvPKT0_PKT1_PT2_iii15HIP_vector_typeIjLj3EESC_SC_SC_SC_iiiiiiiiiiiDpT3_ ; -- Begin function _ZL11k_bin_bcastIXadL_ZL6op_addffEE6__halfffJPKfS2_S2_S2_S2_EEvPKT0_PKT1_PT2_iii15HIP_vector_typeIjLj3EESC_SC_SC_SC_iiiiiiiiiiiDpT3_
	.p2align	8
	.type	_ZL11k_bin_bcastIXadL_ZL6op_addffEE6__halfffJPKfS2_S2_S2_S2_EEvPKT0_PKT1_PT2_iii15HIP_vector_typeIjLj3EESC_SC_SC_SC_iiiiiiiiiiiDpT3_,@function
_ZL11k_bin_bcastIXadL_ZL6op_addffEE6__halfffJPKfS2_S2_S2_S2_EEvPKT0_PKT1_PT2_iii15HIP_vector_typeIjLj3EESC_SC_SC_SC_iiiiiiiiiiiDpT3_: ; @_ZL11k_bin_bcastIXadL_ZL6op_addffEE6__halfffJPKfS2_S2_S2_S2_EEvPKT0_PKT1_PT2_iii15HIP_vector_typeIjLj3EESC_SC_SC_SC_iiiiiiiiiiiDpT3_
; %bb.0:
	s_load_b64 s[2:3], s[0:1], 0xc4
	s_bfe_u32 s5, ttmp6, 0x40014
	s_bfe_u32 s7, ttmp6, 0x40010
	;; [unrolled: 1-line block ×3, first 2 shown]
	s_lshr_b32 s4, ttmp7, 16
	s_and_b32 s16, ttmp7, 0xffff
	s_add_co_i32 s5, s5, 1
	s_add_co_i32 s7, s7, 1
	s_load_b256 s[8:15], s[0:1], 0x18
	s_add_co_i32 s19, s19, 1
	s_bfe_u32 s6, ttmp6, 0x40008
	s_bfe_u32 s17, ttmp6, 0x40004
	s_mul_i32 s5, s4, s5
	s_mul_i32 s7, s16, s7
	s_and_b32 s18, ttmp6, 15
	s_mul_i32 s19, ttmp9, s19
	s_add_co_i32 s6, s6, s5
	s_add_co_i32 s17, s17, s7
	;; [unrolled: 1-line block ×3, first 2 shown]
	v_bfe_u32 v1, v0, 20, 10
	s_wait_kmcnt 0x0
	s_lshr_b32 s5, s2, 16
	s_and_b32 s7, s2, 0xffff
	s_getreg_b32 s2, hwreg(HW_REG_IB_STS2, 6, 4)
	s_and_b32 s3, s3, 0xffff
	s_cmp_eq_u32 s2, 0
	v_and_b32_e32 v2, 0x3ff, v0
	s_cselect_b32 s2, s4, s6
	v_bfe_u32 v4, v0, 10, 10
	v_mad_u32 v3, s2, s3, v1
	s_cselect_b32 s2, ttmp9, s18
	s_cselect_b32 s3, s16, s17
	v_mad_u32 v0, s2, s7, v2
	v_mad_u32 v2, s3, s5, v4
	s_delay_alu instid0(VALU_DEP_3) | instskip(NEXT) | instid1(VALU_DEP_3)
	v_mul_hi_u32 v1, v3, s11
	v_cmp_gt_u32_e32 vcc_lo, s8, v0
	s_delay_alu instid0(VALU_DEP_3) | instskip(SKIP_2) | instid1(VALU_DEP_1)
	v_cmp_gt_u32_e64 s2, s9, v2
	s_and_b32 s2, vcc_lo, s2
	v_add_nc_u32_e32 v1, v3, v1
	v_lshrrev_b32_e32 v1, s12, v1
	s_delay_alu instid0(VALU_DEP_1) | instskip(SKIP_3) | instid1(VALU_DEP_1)
	v_mul_lo_u32 v5, v1, s13
	v_cmp_gt_u32_e64 s3, s10, v1
	s_and_b32 s2, s2, s3
	v_sub_nc_u32_e32 v3, v3, v5
	v_cmp_gt_u32_e64 s4, s13, v3
	s_and_b32 s2, s2, s4
	s_delay_alu instid0(SALU_CYCLE_1)
	s_and_saveexec_b32 s3, s2
	s_cbranch_execz .LBB71_6
; %bb.1:
	v_cmp_gt_i32_e32 vcc_lo, s8, v0
	s_and_b32 exec_lo, exec_lo, vcc_lo
	s_cbranch_execz .LBB71_6
; %bb.2:
	s_clause 0x5
	s_load_b256 s[24:31], s[0:1], 0x3c
	s_load_b32 s2, s[0:1], 0x5c
	s_load_b256 s[16:23], s[0:1], 0x60
	s_load_b96 s[4:6], s[0:1], 0x80
	s_load_b64 s[10:11], s[0:1], 0x0
	s_load_b64 s[12:13], s[0:1], 0x10
	s_wait_kmcnt 0x0
	v_mul_hi_u32 v4, s30, v3
	v_mul_hi_u32 v5, s27, v1
	;; [unrolled: 1-line block ×3, first 2 shown]
	v_mul_lo_u32 v7, v2, s20
	v_mul_lo_u32 v8, v2, s16
	s_cmp_lg_u64 s[10:11], 0
	s_delay_alu instid0(VALU_DEP_4) | instskip(NEXT) | instid1(VALU_DEP_3)
	v_dual_add_nc_u32 v4, v3, v4 :: v_dual_add_nc_u32 v5, v1, v5
	v_mad_u32 v7, v1, s21, v7
	s_delay_alu instid0(VALU_DEP_3) | instskip(NEXT) | instid1(VALU_DEP_3)
	v_mad_u32 v8, v1, s17, v8
	v_dual_lshrrev_b32 v4, s31, v4 :: v_dual_lshrrev_b32 v5, s28, v5
	s_delay_alu instid0(VALU_DEP_1) | instskip(SKIP_1) | instid1(VALU_DEP_3)
	v_mul_lo_u32 v4, v4, s2
	v_add_nc_u32_e32 v6, v2, v6
	v_mul_lo_u32 v5, v5, s29
	s_add_nc_u64 s[2:3], s[0:1], 0xb8
	v_mad_u32 v8, v3, s18, v8
	s_delay_alu instid0(VALU_DEP_3) | instskip(NEXT) | instid1(VALU_DEP_3)
	v_dual_sub_nc_u32 v4, v3, v4 :: v_dual_lshrrev_b32 v6, s25, v6
	v_sub_nc_u32_e32 v5, v1, v5
	s_delay_alu instid0(VALU_DEP_2) | instskip(NEXT) | instid1(VALU_DEP_3)
	v_mul_lo_u32 v9, v4, s6
	v_mul_lo_u32 v6, v6, s26
	s_load_b32 s6, s[2:3], 0x0
	s_load_b32 s9, s[0:1], 0x38
	v_mad_u32 v4, v3, s22, v7
	s_wait_xcnt 0x0
	s_clause 0x1
	s_load_b64 s[2:3], s[0:1], 0xb0
	s_load_b256 s[24:31], s[0:1], 0x90
	v_mov_b32_e32 v1, 0
	s_wait_xcnt 0x0
	s_mov_b32 s1, 0
	s_mov_b32 s0, s14
	v_mad_u32 v7, v5, s5, v9
	v_sub_nc_u32_e32 v2, v2, v6
	v_mul_lo_u32 v6, s19, v0
	v_dual_mov_b32 v5, v1 :: v_dual_mov_b32 v9, v1
	v_mov_b32_e32 v3, v1
	s_cselect_b32 s5, -1, 0
	s_delay_alu instid0(VALU_DEP_2) | instskip(NEXT) | instid1(VALU_DEP_3)
	v_lshl_add_u64 v[4:5], v[4:5], 1, s[10:11]
	v_lshl_add_u64 v[8:9], v[8:9], 2, s[12:13]
	v_mad_u32 v2, v2, s4, v7
	s_wait_kmcnt 0x0
	s_mul_i32 s4, s6, s7
	s_sub_co_i32 s7, 0, s9
	s_mul_i32 s6, s4, s19
	s_mov_b32 s9, s1
	s_branch .LBB71_4
.LBB71_3:                               ;   in Loop: Header=BB71_4 Depth=1
	s_wait_xcnt 0x0
	v_mul_u64_e32 v[10:11], s[0:1], v[0:1]
	s_delay_alu instid0(VALU_DEP_1) | instskip(NEXT) | instid1(VALU_DEP_1)
	v_dual_add_nc_u32 v6, s6, v6 :: v_dual_add_nc_u32 v10, v0, v11
	v_dual_mov_b32 v11, v1 :: v_dual_lshrrev_b32 v10, s15, v10
	s_delay_alu instid0(VALU_DEP_1) | instskip(NEXT) | instid1(VALU_DEP_1)
	v_mad_u32 v10, s7, v10, v0
	v_mul_lo_u32 v10, v10, s23
	s_delay_alu instid0(VALU_DEP_1) | instskip(NEXT) | instid1(VALU_DEP_1)
	v_add_nc_u64_e32 v[10:11], v[10:11], v[2:3]
	v_lshlrev_b64_e32 v[10:11], 2, v[10:11]
	s_delay_alu instid0(VALU_DEP_1)
	v_add_nc_u64_e32 v[12:13], s[24:25], v[10:11]
	v_add_nc_u64_e32 v[14:15], s[26:27], v[10:11]
	global_load_b32 v16, v[12:13], off
	s_wait_xcnt 0x0
	v_add_nc_u64_e32 v[12:13], s[28:29], v[10:11]
	global_load_b32 v17, v[14:15], off
	s_wait_xcnt 0x0
	v_add_nc_u64_e32 v[14:15], s[30:31], v[10:11]
	v_add_nc_u64_e32 v[10:11], s[2:3], v[10:11]
	global_load_b32 v12, v[12:13], off
	global_load_b32 v13, v[14:15], off
	;; [unrolled: 1-line block ×3, first 2 shown]
	s_wait_xcnt 0x0
	v_dual_mov_b32 v10, v0 :: v_dual_ashrrev_i32 v11, 31, v0
	s_delay_alu instid0(VALU_DEP_1) | instskip(SKIP_3) | instid1(VALU_DEP_1)
	v_lshl_add_u64 v[10:11], v[10:11], 2, v[8:9]
	s_wait_loadcnt 0x4
	v_add_f32_e32 v7, v7, v16
	s_wait_loadcnt 0x3
	v_add_f32_e32 v7, v7, v17
	s_wait_loadcnt 0x2
	s_delay_alu instid0(VALU_DEP_1) | instskip(SKIP_1) | instid1(VALU_DEP_1)
	v_add_f32_e32 v7, v7, v12
	s_wait_loadcnt 0x1
	v_dual_add_f32 v7, v7, v13 :: v_dual_add_nc_u32 v0, s4, v0
	s_delay_alu instid0(VALU_DEP_1) | instskip(SKIP_1) | instid1(VALU_DEP_2)
	v_cmp_le_i32_e32 vcc_lo, s8, v0
	s_wait_loadcnt 0x0
	v_add_f32_e32 v7, v7, v18
	s_or_b32 s9, vcc_lo, s9
	global_store_b32 v[10:11], v7, off
	s_wait_xcnt 0x0
	s_and_not1_b32 exec_lo, exec_lo, s9
	s_cbranch_execz .LBB71_6
.LBB71_4:                               ; =>This Inner Loop Header: Depth=1
	v_mov_b32_e32 v7, 0
	s_and_not1_b32 vcc_lo, exec_lo, s5
	s_cbranch_vccnz .LBB71_3
; %bb.5:                                ;   in Loop: Header=BB71_4 Depth=1
	v_ashrrev_i32_e32 v7, 31, v6
	s_delay_alu instid0(VALU_DEP_1)
	v_lshl_add_u64 v[10:11], v[6:7], 1, v[4:5]
	global_load_u16 v7, v[10:11], off
	s_wait_loadcnt 0x0
	v_cvt_f32_f16_e32 v7, v7
	s_branch .LBB71_3
.LBB71_6:
	s_endpgm
	.section	.rodata,"a",@progbits
	.p2align	6, 0x0
	.amdhsa_kernel _ZL11k_bin_bcastIXadL_ZL6op_addffEE6__halfffJPKfS2_S2_S2_S2_EEvPKT0_PKT1_PT2_iii15HIP_vector_typeIjLj3EESC_SC_SC_SC_iiiiiiiiiiiDpT3_
		.amdhsa_group_segment_fixed_size 0
		.amdhsa_private_segment_fixed_size 0
		.amdhsa_kernarg_size 440
		.amdhsa_user_sgpr_count 2
		.amdhsa_user_sgpr_dispatch_ptr 0
		.amdhsa_user_sgpr_queue_ptr 0
		.amdhsa_user_sgpr_kernarg_segment_ptr 1
		.amdhsa_user_sgpr_dispatch_id 0
		.amdhsa_user_sgpr_kernarg_preload_length 0
		.amdhsa_user_sgpr_kernarg_preload_offset 0
		.amdhsa_user_sgpr_private_segment_size 0
		.amdhsa_wavefront_size32 1
		.amdhsa_uses_dynamic_stack 0
		.amdhsa_enable_private_segment 0
		.amdhsa_system_sgpr_workgroup_id_x 1
		.amdhsa_system_sgpr_workgroup_id_y 1
		.amdhsa_system_sgpr_workgroup_id_z 1
		.amdhsa_system_sgpr_workgroup_info 0
		.amdhsa_system_vgpr_workitem_id 2
		.amdhsa_next_free_vgpr 19
		.amdhsa_next_free_sgpr 32
		.amdhsa_named_barrier_count 0
		.amdhsa_reserve_vcc 1
		.amdhsa_float_round_mode_32 0
		.amdhsa_float_round_mode_16_64 0
		.amdhsa_float_denorm_mode_32 3
		.amdhsa_float_denorm_mode_16_64 3
		.amdhsa_fp16_overflow 0
		.amdhsa_memory_ordered 1
		.amdhsa_forward_progress 1
		.amdhsa_inst_pref_size 8
		.amdhsa_round_robin_scheduling 0
		.amdhsa_exception_fp_ieee_invalid_op 0
		.amdhsa_exception_fp_denorm_src 0
		.amdhsa_exception_fp_ieee_div_zero 0
		.amdhsa_exception_fp_ieee_overflow 0
		.amdhsa_exception_fp_ieee_underflow 0
		.amdhsa_exception_fp_ieee_inexact 0
		.amdhsa_exception_int_div_zero 0
	.end_amdhsa_kernel
	.section	.text._ZL11k_bin_bcastIXadL_ZL6op_addffEE6__halfffJPKfS2_S2_S2_S2_EEvPKT0_PKT1_PT2_iii15HIP_vector_typeIjLj3EESC_SC_SC_SC_iiiiiiiiiiiDpT3_,"axG",@progbits,_ZL11k_bin_bcastIXadL_ZL6op_addffEE6__halfffJPKfS2_S2_S2_S2_EEvPKT0_PKT1_PT2_iii15HIP_vector_typeIjLj3EESC_SC_SC_SC_iiiiiiiiiiiDpT3_,comdat
.Lfunc_end71:
	.size	_ZL11k_bin_bcastIXadL_ZL6op_addffEE6__halfffJPKfS2_S2_S2_S2_EEvPKT0_PKT1_PT2_iii15HIP_vector_typeIjLj3EESC_SC_SC_SC_iiiiiiiiiiiDpT3_, .Lfunc_end71-_ZL11k_bin_bcastIXadL_ZL6op_addffEE6__halfffJPKfS2_S2_S2_S2_EEvPKT0_PKT1_PT2_iii15HIP_vector_typeIjLj3EESC_SC_SC_SC_iiiiiiiiiiiDpT3_
                                        ; -- End function
	.set _ZL11k_bin_bcastIXadL_ZL6op_addffEE6__halfffJPKfS2_S2_S2_S2_EEvPKT0_PKT1_PT2_iii15HIP_vector_typeIjLj3EESC_SC_SC_SC_iiiiiiiiiiiDpT3_.num_vgpr, 19
	.set _ZL11k_bin_bcastIXadL_ZL6op_addffEE6__halfffJPKfS2_S2_S2_S2_EEvPKT0_PKT1_PT2_iii15HIP_vector_typeIjLj3EESC_SC_SC_SC_iiiiiiiiiiiDpT3_.num_agpr, 0
	.set _ZL11k_bin_bcastIXadL_ZL6op_addffEE6__halfffJPKfS2_S2_S2_S2_EEvPKT0_PKT1_PT2_iii15HIP_vector_typeIjLj3EESC_SC_SC_SC_iiiiiiiiiiiDpT3_.numbered_sgpr, 32
	.set _ZL11k_bin_bcastIXadL_ZL6op_addffEE6__halfffJPKfS2_S2_S2_S2_EEvPKT0_PKT1_PT2_iii15HIP_vector_typeIjLj3EESC_SC_SC_SC_iiiiiiiiiiiDpT3_.num_named_barrier, 0
	.set _ZL11k_bin_bcastIXadL_ZL6op_addffEE6__halfffJPKfS2_S2_S2_S2_EEvPKT0_PKT1_PT2_iii15HIP_vector_typeIjLj3EESC_SC_SC_SC_iiiiiiiiiiiDpT3_.private_seg_size, 0
	.set _ZL11k_bin_bcastIXadL_ZL6op_addffEE6__halfffJPKfS2_S2_S2_S2_EEvPKT0_PKT1_PT2_iii15HIP_vector_typeIjLj3EESC_SC_SC_SC_iiiiiiiiiiiDpT3_.uses_vcc, 1
	.set _ZL11k_bin_bcastIXadL_ZL6op_addffEE6__halfffJPKfS2_S2_S2_S2_EEvPKT0_PKT1_PT2_iii15HIP_vector_typeIjLj3EESC_SC_SC_SC_iiiiiiiiiiiDpT3_.uses_flat_scratch, 0
	.set _ZL11k_bin_bcastIXadL_ZL6op_addffEE6__halfffJPKfS2_S2_S2_S2_EEvPKT0_PKT1_PT2_iii15HIP_vector_typeIjLj3EESC_SC_SC_SC_iiiiiiiiiiiDpT3_.has_dyn_sized_stack, 0
	.set _ZL11k_bin_bcastIXadL_ZL6op_addffEE6__halfffJPKfS2_S2_S2_S2_EEvPKT0_PKT1_PT2_iii15HIP_vector_typeIjLj3EESC_SC_SC_SC_iiiiiiiiiiiDpT3_.has_recursion, 0
	.set _ZL11k_bin_bcastIXadL_ZL6op_addffEE6__halfffJPKfS2_S2_S2_S2_EEvPKT0_PKT1_PT2_iii15HIP_vector_typeIjLj3EESC_SC_SC_SC_iiiiiiiiiiiDpT3_.has_indirect_call, 0
	.section	.AMDGPU.csdata,"",@progbits
; Kernel info:
; codeLenInByte = 1008
; TotalNumSgprs: 34
; NumVgprs: 19
; ScratchSize: 0
; MemoryBound: 0
; FloatMode: 240
; IeeeMode: 1
; LDSByteSize: 0 bytes/workgroup (compile time only)
; SGPRBlocks: 0
; VGPRBlocks: 1
; NumSGPRsForWavesPerEU: 34
; NumVGPRsForWavesPerEU: 19
; NamedBarCnt: 0
; Occupancy: 16
; WaveLimiterHint : 1
; COMPUTE_PGM_RSRC2:SCRATCH_EN: 0
; COMPUTE_PGM_RSRC2:USER_SGPR: 2
; COMPUTE_PGM_RSRC2:TRAP_HANDLER: 0
; COMPUTE_PGM_RSRC2:TGID_X_EN: 1
; COMPUTE_PGM_RSRC2:TGID_Y_EN: 1
; COMPUTE_PGM_RSRC2:TGID_Z_EN: 1
; COMPUTE_PGM_RSRC2:TIDIG_COMP_CNT: 2
	.section	.text._ZL19k_bin_bcast_unravelIXadL_ZL6op_addffEEfffJPKfS1_S1_S1_S1_S1_EEvPKT0_PKT1_PT2_15HIP_vector_typeIjLj3EESB_SB_jSB_SB_SB_SB_SB_SB_iiiiiiiiiiiDpT3_,"axG",@progbits,_ZL19k_bin_bcast_unravelIXadL_ZL6op_addffEEfffJPKfS1_S1_S1_S1_S1_EEvPKT0_PKT1_PT2_15HIP_vector_typeIjLj3EESB_SB_jSB_SB_SB_SB_SB_SB_iiiiiiiiiiiDpT3_,comdat
	.globl	_ZL19k_bin_bcast_unravelIXadL_ZL6op_addffEEfffJPKfS1_S1_S1_S1_S1_EEvPKT0_PKT1_PT2_15HIP_vector_typeIjLj3EESB_SB_jSB_SB_SB_SB_SB_SB_iiiiiiiiiiiDpT3_ ; -- Begin function _ZL19k_bin_bcast_unravelIXadL_ZL6op_addffEEfffJPKfS1_S1_S1_S1_S1_EEvPKT0_PKT1_PT2_15HIP_vector_typeIjLj3EESB_SB_jSB_SB_SB_SB_SB_SB_iiiiiiiiiiiDpT3_
	.p2align	8
	.type	_ZL19k_bin_bcast_unravelIXadL_ZL6op_addffEEfffJPKfS1_S1_S1_S1_S1_EEvPKT0_PKT1_PT2_15HIP_vector_typeIjLj3EESB_SB_jSB_SB_SB_SB_SB_SB_iiiiiiiiiiiDpT3_,@function
_ZL19k_bin_bcast_unravelIXadL_ZL6op_addffEEfffJPKfS1_S1_S1_S1_S1_EEvPKT0_PKT1_PT2_15HIP_vector_typeIjLj3EESB_SB_jSB_SB_SB_SB_SB_SB_iiiiiiiiiiiDpT3_: ; @_ZL19k_bin_bcast_unravelIXadL_ZL6op_addffEEfffJPKfS1_S1_S1_S1_S1_EEvPKT0_PKT1_PT2_15HIP_vector_typeIjLj3EESB_SB_jSB_SB_SB_SB_SB_SB_iiiiiiiiiiiDpT3_
; %bb.0:
	s_load_b32 s2, s[0:1], 0xf4
	s_bfe_u32 s3, ttmp6, 0x4000c
	s_load_b256 s[4:11], s[0:1], 0x38
	s_add_co_i32 s3, s3, 1
	s_and_b32 s12, ttmp6, 15
	s_mul_i32 s3, ttmp9, s3
	s_getreg_b32 s13, hwreg(HW_REG_IB_STS2, 6, 4)
	s_add_co_i32 s12, s12, s3
	s_wait_kmcnt 0x0
	s_and_b32 s2, s2, 0xffff
	s_cmp_eq_u32 s13, 0
	s_cselect_b32 s3, ttmp9, s12
	s_delay_alu instid0(SALU_CYCLE_1) | instskip(SKIP_1) | instid1(VALU_DEP_1)
	v_mad_u32 v0, s3, s2, v0
	s_load_b32 s2, s[0:1], 0x2c
	v_mul_hi_u32 v1, v0, s6
	s_delay_alu instid0(VALU_DEP_1) | instskip(NEXT) | instid1(VALU_DEP_1)
	v_add_nc_u32_e32 v1, v0, v1
	v_lshrrev_b32_e32 v1, s7, v1
	s_delay_alu instid0(VALU_DEP_1) | instskip(NEXT) | instid1(VALU_DEP_1)
	v_mul_lo_u32 v2, v1, s8
	v_sub_nc_u32_e32 v0, v0, v2
	s_delay_alu instid0(VALU_DEP_1) | instskip(NEXT) | instid1(VALU_DEP_1)
	v_mul_hi_u32 v2, v0, s9
	v_add_nc_u32_e32 v2, v0, v2
	s_delay_alu instid0(VALU_DEP_1) | instskip(SKIP_1) | instid1(VALU_DEP_1)
	v_lshrrev_b32_e32 v2, s10, v2
	s_load_b96 s[8:10], s[0:1], 0x18
	v_mul_lo_u32 v3, v2, s11
	s_delay_alu instid0(VALU_DEP_1) | instskip(SKIP_3) | instid1(VALU_DEP_3)
	v_sub_nc_u32_e32 v0, v0, v3
	v_cmp_gt_u32_e64 s3, s4, v2
	v_cmp_gt_u32_e64 s4, s5, v1
	s_wait_kmcnt 0x0
	v_mul_hi_u32 v3, v0, s8
	s_delay_alu instid0(VALU_DEP_1) | instskip(NEXT) | instid1(VALU_DEP_1)
	v_add_nc_u32_e32 v3, v0, v3
	v_lshrrev_b32_e32 v4, s9, v3
	s_delay_alu instid0(VALU_DEP_1) | instskip(NEXT) | instid1(VALU_DEP_1)
	v_mul_lo_u32 v3, v4, s10
	v_sub_nc_u32_e32 v0, v0, v3
	v_cmp_gt_u32_e64 s2, s2, v4
	s_delay_alu instid0(VALU_DEP_2) | instskip(SKIP_1) | instid1(SALU_CYCLE_1)
	v_cmp_gt_u32_e32 vcc_lo, s10, v0
	s_and_b32 s2, vcc_lo, s2
	s_and_b32 s2, s2, s3
	s_delay_alu instid0(SALU_CYCLE_1) | instskip(NEXT) | instid1(SALU_CYCLE_1)
	s_and_b32 s2, s4, s2
	s_and_saveexec_b32 s3, s2
	s_cbranch_execz .LBB72_4
; %bb.1:
	s_clause 0x4
	s_load_b64 s[2:3], s[0:1], 0x0
	s_load_b96 s[24:26], s[0:1], 0xa8
	s_load_b256 s[4:11], s[0:1], 0x88
	s_load_b128 s[20:23], s[0:1], 0x78
	s_load_b256 s[12:19], s[0:1], 0x58
	v_dual_mov_b32 v3, 0 :: v_dual_mov_b32 v5, 0
	s_wait_kmcnt 0x0
	s_cmp_eq_u64 s[2:3], 0
	s_cbranch_scc1 .LBB72_3
; %bb.2:
	v_mul_lo_u32 v5, v1, s10
	v_mov_b32_e32 v7, 0
	s_delay_alu instid0(VALU_DEP_2) | instskip(NEXT) | instid1(VALU_DEP_1)
	v_mad_u32 v5, v2, s9, v5
	v_mad_u32 v6, v4, s8, v5
	s_delay_alu instid0(VALU_DEP_1) | instskip(SKIP_1) | instid1(VALU_DEP_1)
	v_lshl_add_u64 v[8:9], v[6:7], 2, s[2:3]
	v_mul_lo_u32 v6, v0, s7
	v_lshl_add_u64 v[6:7], v[6:7], 2, v[8:9]
	global_load_b32 v5, v[6:7], off
.LBB72_3:
	s_wait_xcnt 0x0
	v_mul_hi_u32 v6, s21, v1
	v_mul_hi_u32 v7, s18, v2
	;; [unrolled: 1-line block ×4, first 2 shown]
	s_delay_alu instid0(VALU_DEP_3) | instskip(NEXT) | instid1(VALU_DEP_1)
	v_dual_add_nc_u32 v6, v1, v6 :: v_dual_add_nc_u32 v7, v2, v7
	v_dual_lshrrev_b32 v6, s22, v6 :: v_dual_lshrrev_b32 v7, s19, v7
	s_delay_alu instid0(VALU_DEP_1) | instskip(SKIP_1) | instid1(VALU_DEP_3)
	v_mul_lo_u32 v6, v6, s23
	v_add_nc_u32_e32 v8, v4, v8
	v_mul_lo_u32 v7, v7, s20
	s_delay_alu instid0(VALU_DEP_3) | instskip(NEXT) | instid1(VALU_DEP_3)
	v_dual_sub_nc_u32 v6, v1, v6 :: v_dual_add_nc_u32 v9, v0, v9
	v_lshrrev_b32_e32 v8, s16, v8
	v_mul_lo_u32 v1, v1, s6
	s_delay_alu instid0(VALU_DEP_4) | instskip(NEXT) | instid1(VALU_DEP_4)
	v_sub_nc_u32_e32 v7, v2, v7
	v_mul_lo_u32 v6, v6, s26
	v_lshrrev_b32_e32 v9, s13, v9
	v_mul_lo_u32 v8, v8, s17
	s_load_b128 s[16:19], s[0:1], 0xd8
	s_delay_alu instid0(VALU_DEP_2) | instskip(SKIP_2) | instid1(VALU_DEP_4)
	v_mul_lo_u32 v9, v9, s14
	v_mad_u32 v1, v2, s5, v1
	v_mad_u32 v7, v7, s25, v6
	v_sub_nc_u32_e32 v8, v4, v8
	s_delay_alu instid0(VALU_DEP_1) | instskip(NEXT) | instid1(VALU_DEP_1)
	v_mad_u32 v8, v8, s24, v7
	v_dual_sub_nc_u32 v6, v0, v9 :: v_dual_ashrrev_i32 v9, 31, v8
	s_delay_alu instid0(VALU_DEP_1) | instskip(SKIP_1) | instid1(VALU_DEP_1)
	v_mul_lo_u32 v6, v6, s11
	s_load_b256 s[8:15], s[0:1], 0xb8
	v_ashrrev_i32_e32 v7, 31, v6
	s_wait_xcnt 0x0
	s_load_b64 s[0:1], s[0:1], 0x10
	s_delay_alu instid0(VALU_DEP_1) | instskip(NEXT) | instid1(VALU_DEP_1)
	v_add_nc_u64_e32 v[6:7], v[6:7], v[8:9]
	v_lshlrev_b64_e32 v[6:7], 2, v[6:7]
	s_wait_kmcnt 0x0
	s_delay_alu instid0(VALU_DEP_1)
	v_add_nc_u64_e32 v[8:9], s[8:9], v[6:7]
	v_add_nc_u64_e32 v[10:11], s[10:11], v[6:7]
	global_load_b32 v12, v[8:9], off
	s_wait_xcnt 0x0
	v_add_nc_u64_e32 v[8:9], s[12:13], v[6:7]
	global_load_b32 v13, v[10:11], off
	s_wait_xcnt 0x0
	;; [unrolled: 3-line block ×3, first 2 shown]
	v_add_nc_u64_e32 v[8:9], s[16:17], v[6:7]
	global_load_b32 v10, v[10:11], off
	v_add_nc_u64_e32 v[6:7], s[18:19], v[6:7]
	global_load_b32 v11, v[8:9], off
	global_load_b32 v15, v[6:7], off
	s_wait_loadcnt 0x5
	v_add_f32_e32 v2, v5, v12
	s_wait_loadcnt 0x4
	s_delay_alu instid0(VALU_DEP_1) | instskip(SKIP_2) | instid1(VALU_DEP_2)
	v_add_f32_e32 v5, v2, v13
	v_mad_u32 v2, v4, s4, v1
	s_wait_loadcnt 0x3
	v_add_f32_e32 v1, v5, v14
	s_wait_loadcnt 0x2
	s_delay_alu instid0(VALU_DEP_1) | instskip(NEXT) | instid1(VALU_DEP_3)
	v_dual_add_f32 v4, v1, v10 :: v_dual_mov_b32 v1, v3
	v_lshl_add_u64 v[2:3], v[2:3], 2, s[0:1]
	s_wait_loadcnt 0x1
	s_delay_alu instid0(VALU_DEP_2) | instskip(NEXT) | instid1(VALU_DEP_2)
	v_add_f32_e32 v4, v4, v11
	v_lshl_add_u64 v[0:1], v[0:1], 2, v[2:3]
	s_wait_loadcnt 0x0
	s_delay_alu instid0(VALU_DEP_2)
	v_add_f32_e32 v4, v4, v15
	global_store_b32 v[0:1], v4, off
.LBB72_4:
	s_endpgm
	.section	.rodata,"a",@progbits
	.p2align	6, 0x0
	.amdhsa_kernel _ZL19k_bin_bcast_unravelIXadL_ZL6op_addffEEfffJPKfS1_S1_S1_S1_S1_EEvPKT0_PKT1_PT2_15HIP_vector_typeIjLj3EESB_SB_jSB_SB_SB_SB_SB_SB_iiiiiiiiiiiDpT3_
		.amdhsa_group_segment_fixed_size 0
		.amdhsa_private_segment_fixed_size 0
		.amdhsa_kernarg_size 488
		.amdhsa_user_sgpr_count 2
		.amdhsa_user_sgpr_dispatch_ptr 0
		.amdhsa_user_sgpr_queue_ptr 0
		.amdhsa_user_sgpr_kernarg_segment_ptr 1
		.amdhsa_user_sgpr_dispatch_id 0
		.amdhsa_user_sgpr_kernarg_preload_length 0
		.amdhsa_user_sgpr_kernarg_preload_offset 0
		.amdhsa_user_sgpr_private_segment_size 0
		.amdhsa_wavefront_size32 1
		.amdhsa_uses_dynamic_stack 0
		.amdhsa_enable_private_segment 0
		.amdhsa_system_sgpr_workgroup_id_x 1
		.amdhsa_system_sgpr_workgroup_id_y 0
		.amdhsa_system_sgpr_workgroup_id_z 0
		.amdhsa_system_sgpr_workgroup_info 0
		.amdhsa_system_vgpr_workitem_id 0
		.amdhsa_next_free_vgpr 16
		.amdhsa_next_free_sgpr 27
		.amdhsa_named_barrier_count 0
		.amdhsa_reserve_vcc 1
		.amdhsa_float_round_mode_32 0
		.amdhsa_float_round_mode_16_64 0
		.amdhsa_float_denorm_mode_32 3
		.amdhsa_float_denorm_mode_16_64 3
		.amdhsa_fp16_overflow 0
		.amdhsa_memory_ordered 1
		.amdhsa_forward_progress 1
		.amdhsa_inst_pref_size 7
		.amdhsa_round_robin_scheduling 0
		.amdhsa_exception_fp_ieee_invalid_op 0
		.amdhsa_exception_fp_denorm_src 0
		.amdhsa_exception_fp_ieee_div_zero 0
		.amdhsa_exception_fp_ieee_overflow 0
		.amdhsa_exception_fp_ieee_underflow 0
		.amdhsa_exception_fp_ieee_inexact 0
		.amdhsa_exception_int_div_zero 0
	.end_amdhsa_kernel
	.section	.text._ZL19k_bin_bcast_unravelIXadL_ZL6op_addffEEfffJPKfS1_S1_S1_S1_S1_EEvPKT0_PKT1_PT2_15HIP_vector_typeIjLj3EESB_SB_jSB_SB_SB_SB_SB_SB_iiiiiiiiiiiDpT3_,"axG",@progbits,_ZL19k_bin_bcast_unravelIXadL_ZL6op_addffEEfffJPKfS1_S1_S1_S1_S1_EEvPKT0_PKT1_PT2_15HIP_vector_typeIjLj3EESB_SB_jSB_SB_SB_SB_SB_SB_iiiiiiiiiiiDpT3_,comdat
.Lfunc_end72:
	.size	_ZL19k_bin_bcast_unravelIXadL_ZL6op_addffEEfffJPKfS1_S1_S1_S1_S1_EEvPKT0_PKT1_PT2_15HIP_vector_typeIjLj3EESB_SB_jSB_SB_SB_SB_SB_SB_iiiiiiiiiiiDpT3_, .Lfunc_end72-_ZL19k_bin_bcast_unravelIXadL_ZL6op_addffEEfffJPKfS1_S1_S1_S1_S1_EEvPKT0_PKT1_PT2_15HIP_vector_typeIjLj3EESB_SB_jSB_SB_SB_SB_SB_SB_iiiiiiiiiiiDpT3_
                                        ; -- End function
	.set _ZL19k_bin_bcast_unravelIXadL_ZL6op_addffEEfffJPKfS1_S1_S1_S1_S1_EEvPKT0_PKT1_PT2_15HIP_vector_typeIjLj3EESB_SB_jSB_SB_SB_SB_SB_SB_iiiiiiiiiiiDpT3_.num_vgpr, 16
	.set _ZL19k_bin_bcast_unravelIXadL_ZL6op_addffEEfffJPKfS1_S1_S1_S1_S1_EEvPKT0_PKT1_PT2_15HIP_vector_typeIjLj3EESB_SB_jSB_SB_SB_SB_SB_SB_iiiiiiiiiiiDpT3_.num_agpr, 0
	.set _ZL19k_bin_bcast_unravelIXadL_ZL6op_addffEEfffJPKfS1_S1_S1_S1_S1_EEvPKT0_PKT1_PT2_15HIP_vector_typeIjLj3EESB_SB_jSB_SB_SB_SB_SB_SB_iiiiiiiiiiiDpT3_.numbered_sgpr, 27
	.set _ZL19k_bin_bcast_unravelIXadL_ZL6op_addffEEfffJPKfS1_S1_S1_S1_S1_EEvPKT0_PKT1_PT2_15HIP_vector_typeIjLj3EESB_SB_jSB_SB_SB_SB_SB_SB_iiiiiiiiiiiDpT3_.num_named_barrier, 0
	.set _ZL19k_bin_bcast_unravelIXadL_ZL6op_addffEEfffJPKfS1_S1_S1_S1_S1_EEvPKT0_PKT1_PT2_15HIP_vector_typeIjLj3EESB_SB_jSB_SB_SB_SB_SB_SB_iiiiiiiiiiiDpT3_.private_seg_size, 0
	.set _ZL19k_bin_bcast_unravelIXadL_ZL6op_addffEEfffJPKfS1_S1_S1_S1_S1_EEvPKT0_PKT1_PT2_15HIP_vector_typeIjLj3EESB_SB_jSB_SB_SB_SB_SB_SB_iiiiiiiiiiiDpT3_.uses_vcc, 1
	.set _ZL19k_bin_bcast_unravelIXadL_ZL6op_addffEEfffJPKfS1_S1_S1_S1_S1_EEvPKT0_PKT1_PT2_15HIP_vector_typeIjLj3EESB_SB_jSB_SB_SB_SB_SB_SB_iiiiiiiiiiiDpT3_.uses_flat_scratch, 0
	.set _ZL19k_bin_bcast_unravelIXadL_ZL6op_addffEEfffJPKfS1_S1_S1_S1_S1_EEvPKT0_PKT1_PT2_15HIP_vector_typeIjLj3EESB_SB_jSB_SB_SB_SB_SB_SB_iiiiiiiiiiiDpT3_.has_dyn_sized_stack, 0
	.set _ZL19k_bin_bcast_unravelIXadL_ZL6op_addffEEfffJPKfS1_S1_S1_S1_S1_EEvPKT0_PKT1_PT2_15HIP_vector_typeIjLj3EESB_SB_jSB_SB_SB_SB_SB_SB_iiiiiiiiiiiDpT3_.has_recursion, 0
	.set _ZL19k_bin_bcast_unravelIXadL_ZL6op_addffEEfffJPKfS1_S1_S1_S1_S1_EEvPKT0_PKT1_PT2_15HIP_vector_typeIjLj3EESB_SB_jSB_SB_SB_SB_SB_SB_iiiiiiiiiiiDpT3_.has_indirect_call, 0
	.section	.AMDGPU.csdata,"",@progbits
; Kernel info:
; codeLenInByte = 884
; TotalNumSgprs: 29
; NumVgprs: 16
; ScratchSize: 0
; MemoryBound: 0
; FloatMode: 240
; IeeeMode: 1
; LDSByteSize: 0 bytes/workgroup (compile time only)
; SGPRBlocks: 0
; VGPRBlocks: 0
; NumSGPRsForWavesPerEU: 29
; NumVGPRsForWavesPerEU: 16
; NamedBarCnt: 0
; Occupancy: 16
; WaveLimiterHint : 1
; COMPUTE_PGM_RSRC2:SCRATCH_EN: 0
; COMPUTE_PGM_RSRC2:USER_SGPR: 2
; COMPUTE_PGM_RSRC2:TRAP_HANDLER: 0
; COMPUTE_PGM_RSRC2:TGID_X_EN: 1
; COMPUTE_PGM_RSRC2:TGID_Y_EN: 0
; COMPUTE_PGM_RSRC2:TGID_Z_EN: 0
; COMPUTE_PGM_RSRC2:TIDIG_COMP_CNT: 0
	.section	.text._ZL11k_bin_bcastIXadL_ZL6op_addffEEfffJPKfS1_S1_S1_S1_S1_EEvPKT0_PKT1_PT2_iii15HIP_vector_typeIjLj3EESB_SB_SB_SB_iiiiiiiiiiiDpT3_,"axG",@progbits,_ZL11k_bin_bcastIXadL_ZL6op_addffEEfffJPKfS1_S1_S1_S1_S1_EEvPKT0_PKT1_PT2_iii15HIP_vector_typeIjLj3EESB_SB_SB_SB_iiiiiiiiiiiDpT3_,comdat
	.globl	_ZL11k_bin_bcastIXadL_ZL6op_addffEEfffJPKfS1_S1_S1_S1_S1_EEvPKT0_PKT1_PT2_iii15HIP_vector_typeIjLj3EESB_SB_SB_SB_iiiiiiiiiiiDpT3_ ; -- Begin function _ZL11k_bin_bcastIXadL_ZL6op_addffEEfffJPKfS1_S1_S1_S1_S1_EEvPKT0_PKT1_PT2_iii15HIP_vector_typeIjLj3EESB_SB_SB_SB_iiiiiiiiiiiDpT3_
	.p2align	8
	.type	_ZL11k_bin_bcastIXadL_ZL6op_addffEEfffJPKfS1_S1_S1_S1_S1_EEvPKT0_PKT1_PT2_iii15HIP_vector_typeIjLj3EESB_SB_SB_SB_iiiiiiiiiiiDpT3_,@function
_ZL11k_bin_bcastIXadL_ZL6op_addffEEfffJPKfS1_S1_S1_S1_S1_EEvPKT0_PKT1_PT2_iii15HIP_vector_typeIjLj3EESB_SB_SB_SB_iiiiiiiiiiiDpT3_: ; @_ZL11k_bin_bcastIXadL_ZL6op_addffEEfffJPKfS1_S1_S1_S1_S1_EEvPKT0_PKT1_PT2_iii15HIP_vector_typeIjLj3EESB_SB_SB_SB_iiiiiiiiiiiDpT3_
; %bb.0:
	s_load_b64 s[2:3], s[0:1], 0xcc
	s_bfe_u32 s5, ttmp6, 0x40014
	s_bfe_u32 s16, ttmp6, 0x40010
	;; [unrolled: 1-line block ×3, first 2 shown]
	s_lshr_b32 s4, ttmp7, 16
	s_add_co_i32 s5, s5, 1
	s_and_b32 s7, ttmp7, 0xffff
	s_load_b256 s[8:15], s[0:1], 0x18
	s_add_co_i32 s16, s16, 1
	s_add_co_i32 s19, s19, 1
	s_bfe_u32 s6, ttmp6, 0x40008
	s_mul_i32 s5, s4, s5
	s_bfe_u32 s17, ttmp6, 0x40004
	s_and_b32 s18, ttmp6, 15
	s_mul_i32 s16, s7, s16
	s_mul_i32 s19, ttmp9, s19
	s_add_co_i32 s6, s6, s5
	s_add_co_i32 s17, s17, s16
	;; [unrolled: 1-line block ×3, first 2 shown]
	v_bfe_u32 v1, v0, 20, 10
	s_wait_kmcnt 0x0
	s_lshr_b32 s5, s2, 16
	s_and_b32 s33, s2, 0xffff
	s_getreg_b32 s2, hwreg(HW_REG_IB_STS2, 6, 4)
	s_and_b32 s3, s3, 0xffff
	s_cmp_eq_u32 s2, 0
	v_and_b32_e32 v2, 0x3ff, v0
	s_cselect_b32 s2, s4, s6
	v_bfe_u32 v4, v0, 10, 10
	v_mad_u32 v3, s2, s3, v1
	s_cselect_b32 s2, ttmp9, s18
	s_cselect_b32 s3, s7, s17
	v_mad_u32 v0, s2, s33, v2
	v_mad_u32 v2, s3, s5, v4
	s_delay_alu instid0(VALU_DEP_3) | instskip(NEXT) | instid1(VALU_DEP_3)
	v_mul_hi_u32 v1, v3, s11
	v_cmp_gt_u32_e32 vcc_lo, s8, v0
	s_delay_alu instid0(VALU_DEP_3) | instskip(SKIP_2) | instid1(VALU_DEP_1)
	v_cmp_gt_u32_e64 s2, s9, v2
	s_and_b32 s2, vcc_lo, s2
	v_add_nc_u32_e32 v1, v3, v1
	v_lshrrev_b32_e32 v1, s12, v1
	s_delay_alu instid0(VALU_DEP_1) | instskip(SKIP_3) | instid1(VALU_DEP_1)
	v_mul_lo_u32 v5, v1, s13
	v_cmp_gt_u32_e64 s3, s10, v1
	s_and_b32 s2, s2, s3
	v_sub_nc_u32_e32 v3, v3, v5
	v_cmp_gt_u32_e64 s4, s13, v3
	s_and_b32 s2, s2, s4
	s_delay_alu instid0(SALU_CYCLE_1)
	s_and_saveexec_b32 s3, s2
	s_cbranch_execz .LBB73_6
; %bb.1:
	v_cmp_gt_i32_e32 vcc_lo, s8, v0
	s_and_b32 exec_lo, exec_lo, vcc_lo
	s_cbranch_execz .LBB73_6
; %bb.2:
	s_clause 0x3
	s_load_b256 s[24:31], s[0:1], 0x3c
	s_load_b32 s2, s[0:1], 0x5c
	s_load_b256 s[16:23], s[0:1], 0x60
	s_load_b96 s[36:38], s[0:1], 0x80
	s_add_nc_u64 s[4:5], s[0:1], 0xc0
	s_load_b32 s9, s[4:5], 0x0
	s_load_b32 s12, s[0:1], 0x38
	s_wait_xcnt 0x0
	s_clause 0x1
	s_load_b128 s[4:7], s[0:1], 0xb0
	s_load_b64 s[10:11], s[0:1], 0x10
	s_wait_kmcnt 0x0
	v_mul_hi_u32 v4, s30, v3
	v_mul_hi_u32 v5, s27, v1
	;; [unrolled: 1-line block ×3, first 2 shown]
	v_mul_lo_u32 v7, v2, s20
	v_mul_lo_u32 v8, v2, s16
	s_delay_alu instid0(VALU_DEP_4) | instskip(NEXT) | instid1(VALU_DEP_3)
	v_dual_add_nc_u32 v4, v3, v4 :: v_dual_add_nc_u32 v5, v1, v5
	v_mad_u32 v7, v1, s21, v7
	s_delay_alu instid0(VALU_DEP_3) | instskip(NEXT) | instid1(VALU_DEP_3)
	v_mad_u32 v8, v1, s17, v8
	v_dual_lshrrev_b32 v4, s31, v4 :: v_dual_lshrrev_b32 v5, s28, v5
	s_delay_alu instid0(VALU_DEP_1) | instskip(SKIP_1) | instid1(VALU_DEP_3)
	v_mul_lo_u32 v4, v4, s2
	v_add_nc_u32_e32 v6, v2, v6
	v_mul_lo_u32 v5, v5, s29
	s_load_b64 s[2:3], s[0:1], 0x0
	v_mad_u32 v8, v3, s18, v8
	s_delay_alu instid0(VALU_DEP_3) | instskip(NEXT) | instid1(VALU_DEP_3)
	v_dual_sub_nc_u32 v4, v3, v4 :: v_dual_lshrrev_b32 v6, s25, v6
	v_sub_nc_u32_e32 v5, v1, v5
	s_delay_alu instid0(VALU_DEP_2) | instskip(NEXT) | instid1(VALU_DEP_3)
	v_mul_lo_u32 v9, v4, s38
	v_mul_lo_u32 v6, v6, s26
	v_mad_u32 v4, v3, s22, v7
	s_load_b256 s[24:31], s[0:1], 0x90
	v_mov_b32_e32 v1, 0
	s_wait_xcnt 0x0
	s_mov_b32 s1, 0
	s_mov_b32 s0, s14
	s_wait_kmcnt 0x0
	s_cmp_lg_u64 s[2:3], 0
	s_delay_alu instid0(VALU_DEP_4) | instskip(NEXT) | instid1(VALU_DEP_4)
	v_mad_u32 v7, v5, s37, v9
	v_sub_nc_u32_e32 v2, v2, v6
	v_mul_lo_u32 v6, s19, v0
	v_dual_mov_b32 v5, v1 :: v_dual_mov_b32 v9, v1
	v_mov_b32_e32 v3, v1
	s_delay_alu instid0(VALU_DEP_2) | instskip(NEXT) | instid1(VALU_DEP_3)
	v_lshl_add_u64 v[4:5], v[4:5], 2, s[2:3]
	v_lshl_add_u64 v[8:9], v[8:9], 2, s[10:11]
	s_mul_i32 s2, s9, s33
	v_mad_u32 v2, v2, s36, v7
	s_cselect_b32 s3, -1, 0
	s_mul_i32 s9, s2, s19
	s_sub_co_i32 s10, 0, s12
	s_mov_b32 s11, s1
	s_branch .LBB73_4
.LBB73_3:                               ;   in Loop: Header=BB73_4 Depth=1
	s_wait_xcnt 0x0
	v_mul_u64_e32 v[10:11], s[0:1], v[0:1]
	s_delay_alu instid0(VALU_DEP_1) | instskip(NEXT) | instid1(VALU_DEP_1)
	v_dual_add_nc_u32 v6, s9, v6 :: v_dual_add_nc_u32 v10, v0, v11
	v_dual_mov_b32 v11, v1 :: v_dual_lshrrev_b32 v10, s15, v10
	s_delay_alu instid0(VALU_DEP_1) | instskip(NEXT) | instid1(VALU_DEP_1)
	v_mad_u32 v10, s10, v10, v0
	v_mul_lo_u32 v10, v10, s23
	s_delay_alu instid0(VALU_DEP_1) | instskip(NEXT) | instid1(VALU_DEP_1)
	v_add_nc_u64_e32 v[10:11], v[10:11], v[2:3]
	v_lshlrev_b64_e32 v[10:11], 2, v[10:11]
	s_delay_alu instid0(VALU_DEP_1)
	v_add_nc_u64_e32 v[12:13], s[24:25], v[10:11]
	v_add_nc_u64_e32 v[14:15], s[26:27], v[10:11]
	global_load_b32 v16, v[12:13], off
	s_wait_xcnt 0x0
	v_add_nc_u64_e32 v[12:13], s[28:29], v[10:11]
	global_load_b32 v17, v[14:15], off
	s_wait_xcnt 0x0
	;; [unrolled: 3-line block ×3, first 2 shown]
	v_add_nc_u64_e32 v[12:13], s[4:5], v[10:11]
	global_load_b32 v14, v[14:15], off
	v_add_nc_u64_e32 v[10:11], s[6:7], v[10:11]
	global_load_b32 v15, v[12:13], off
	global_load_b32 v19, v[10:11], off
	s_wait_xcnt 0x0
	v_dual_mov_b32 v10, v0 :: v_dual_ashrrev_i32 v11, 31, v0
	v_add_nc_u32_e32 v0, s2, v0
	s_delay_alu instid0(VALU_DEP_2) | instskip(NEXT) | instid1(VALU_DEP_2)
	v_lshl_add_u64 v[10:11], v[10:11], 2, v[8:9]
	v_cmp_le_i32_e32 vcc_lo, s8, v0
	s_or_b32 s11, vcc_lo, s11
	s_wait_loadcnt 0x5
	v_add_f32_e32 v7, v7, v16
	s_wait_loadcnt 0x4
	s_delay_alu instid0(VALU_DEP_1) | instskip(SKIP_1) | instid1(VALU_DEP_1)
	v_add_f32_e32 v7, v7, v17
	s_wait_loadcnt 0x3
	v_add_f32_e32 v7, v7, v18
	s_wait_loadcnt 0x2
	s_delay_alu instid0(VALU_DEP_1) | instskip(SKIP_1) | instid1(VALU_DEP_1)
	v_add_f32_e32 v7, v7, v14
	s_wait_loadcnt 0x1
	v_add_f32_e32 v7, v7, v15
	s_wait_loadcnt 0x0
	s_delay_alu instid0(VALU_DEP_1)
	v_add_f32_e32 v7, v7, v19
	global_store_b32 v[10:11], v7, off
	s_wait_xcnt 0x0
	s_and_not1_b32 exec_lo, exec_lo, s11
	s_cbranch_execz .LBB73_6
.LBB73_4:                               ; =>This Inner Loop Header: Depth=1
	v_mov_b32_e32 v7, 0
	s_and_not1_b32 vcc_lo, exec_lo, s3
	s_cbranch_vccnz .LBB73_3
; %bb.5:                                ;   in Loop: Header=BB73_4 Depth=1
	v_ashrrev_i32_e32 v7, 31, v6
	s_delay_alu instid0(VALU_DEP_1)
	v_lshl_add_u64 v[10:11], v[6:7], 2, v[4:5]
	global_load_b32 v7, v[10:11], off
	s_branch .LBB73_3
.LBB73_6:
	s_endpgm
	.section	.rodata,"a",@progbits
	.p2align	6, 0x0
	.amdhsa_kernel _ZL11k_bin_bcastIXadL_ZL6op_addffEEfffJPKfS1_S1_S1_S1_S1_EEvPKT0_PKT1_PT2_iii15HIP_vector_typeIjLj3EESB_SB_SB_SB_iiiiiiiiiiiDpT3_
		.amdhsa_group_segment_fixed_size 0
		.amdhsa_private_segment_fixed_size 0
		.amdhsa_kernarg_size 448
		.amdhsa_user_sgpr_count 2
		.amdhsa_user_sgpr_dispatch_ptr 0
		.amdhsa_user_sgpr_queue_ptr 0
		.amdhsa_user_sgpr_kernarg_segment_ptr 1
		.amdhsa_user_sgpr_dispatch_id 0
		.amdhsa_user_sgpr_kernarg_preload_length 0
		.amdhsa_user_sgpr_kernarg_preload_offset 0
		.amdhsa_user_sgpr_private_segment_size 0
		.amdhsa_wavefront_size32 1
		.amdhsa_uses_dynamic_stack 0
		.amdhsa_enable_private_segment 0
		.amdhsa_system_sgpr_workgroup_id_x 1
		.amdhsa_system_sgpr_workgroup_id_y 1
		.amdhsa_system_sgpr_workgroup_id_z 1
		.amdhsa_system_sgpr_workgroup_info 0
		.amdhsa_system_vgpr_workitem_id 2
		.amdhsa_next_free_vgpr 20
		.amdhsa_next_free_sgpr 39
		.amdhsa_named_barrier_count 0
		.amdhsa_reserve_vcc 1
		.amdhsa_float_round_mode_32 0
		.amdhsa_float_round_mode_16_64 0
		.amdhsa_float_denorm_mode_32 3
		.amdhsa_float_denorm_mode_16_64 3
		.amdhsa_fp16_overflow 0
		.amdhsa_memory_ordered 1
		.amdhsa_forward_progress 1
		.amdhsa_inst_pref_size 9
		.amdhsa_round_robin_scheduling 0
		.amdhsa_exception_fp_ieee_invalid_op 0
		.amdhsa_exception_fp_denorm_src 0
		.amdhsa_exception_fp_ieee_div_zero 0
		.amdhsa_exception_fp_ieee_overflow 0
		.amdhsa_exception_fp_ieee_underflow 0
		.amdhsa_exception_fp_ieee_inexact 0
		.amdhsa_exception_int_div_zero 0
	.end_amdhsa_kernel
	.section	.text._ZL11k_bin_bcastIXadL_ZL6op_addffEEfffJPKfS1_S1_S1_S1_S1_EEvPKT0_PKT1_PT2_iii15HIP_vector_typeIjLj3EESB_SB_SB_SB_iiiiiiiiiiiDpT3_,"axG",@progbits,_ZL11k_bin_bcastIXadL_ZL6op_addffEEfffJPKfS1_S1_S1_S1_S1_EEvPKT0_PKT1_PT2_iii15HIP_vector_typeIjLj3EESB_SB_SB_SB_iiiiiiiiiiiDpT3_,comdat
.Lfunc_end73:
	.size	_ZL11k_bin_bcastIXadL_ZL6op_addffEEfffJPKfS1_S1_S1_S1_S1_EEvPKT0_PKT1_PT2_iii15HIP_vector_typeIjLj3EESB_SB_SB_SB_iiiiiiiiiiiDpT3_, .Lfunc_end73-_ZL11k_bin_bcastIXadL_ZL6op_addffEEfffJPKfS1_S1_S1_S1_S1_EEvPKT0_PKT1_PT2_iii15HIP_vector_typeIjLj3EESB_SB_SB_SB_iiiiiiiiiiiDpT3_
                                        ; -- End function
	.set _ZL11k_bin_bcastIXadL_ZL6op_addffEEfffJPKfS1_S1_S1_S1_S1_EEvPKT0_PKT1_PT2_iii15HIP_vector_typeIjLj3EESB_SB_SB_SB_iiiiiiiiiiiDpT3_.num_vgpr, 20
	.set _ZL11k_bin_bcastIXadL_ZL6op_addffEEfffJPKfS1_S1_S1_S1_S1_EEvPKT0_PKT1_PT2_iii15HIP_vector_typeIjLj3EESB_SB_SB_SB_iiiiiiiiiiiDpT3_.num_agpr, 0
	.set _ZL11k_bin_bcastIXadL_ZL6op_addffEEfffJPKfS1_S1_S1_S1_S1_EEvPKT0_PKT1_PT2_iii15HIP_vector_typeIjLj3EESB_SB_SB_SB_iiiiiiiiiiiDpT3_.numbered_sgpr, 39
	.set _ZL11k_bin_bcastIXadL_ZL6op_addffEEfffJPKfS1_S1_S1_S1_S1_EEvPKT0_PKT1_PT2_iii15HIP_vector_typeIjLj3EESB_SB_SB_SB_iiiiiiiiiiiDpT3_.num_named_barrier, 0
	.set _ZL11k_bin_bcastIXadL_ZL6op_addffEEfffJPKfS1_S1_S1_S1_S1_EEvPKT0_PKT1_PT2_iii15HIP_vector_typeIjLj3EESB_SB_SB_SB_iiiiiiiiiiiDpT3_.private_seg_size, 0
	.set _ZL11k_bin_bcastIXadL_ZL6op_addffEEfffJPKfS1_S1_S1_S1_S1_EEvPKT0_PKT1_PT2_iii15HIP_vector_typeIjLj3EESB_SB_SB_SB_iiiiiiiiiiiDpT3_.uses_vcc, 1
	.set _ZL11k_bin_bcastIXadL_ZL6op_addffEEfffJPKfS1_S1_S1_S1_S1_EEvPKT0_PKT1_PT2_iii15HIP_vector_typeIjLj3EESB_SB_SB_SB_iiiiiiiiiiiDpT3_.uses_flat_scratch, 0
	.set _ZL11k_bin_bcastIXadL_ZL6op_addffEEfffJPKfS1_S1_S1_S1_S1_EEvPKT0_PKT1_PT2_iii15HIP_vector_typeIjLj3EESB_SB_SB_SB_iiiiiiiiiiiDpT3_.has_dyn_sized_stack, 0
	.set _ZL11k_bin_bcastIXadL_ZL6op_addffEEfffJPKfS1_S1_S1_S1_S1_EEvPKT0_PKT1_PT2_iii15HIP_vector_typeIjLj3EESB_SB_SB_SB_iiiiiiiiiiiDpT3_.has_recursion, 0
	.set _ZL11k_bin_bcastIXadL_ZL6op_addffEEfffJPKfS1_S1_S1_S1_S1_EEvPKT0_PKT1_PT2_iii15HIP_vector_typeIjLj3EESB_SB_SB_SB_iiiiiiiiiiiDpT3_.has_indirect_call, 0
	.section	.AMDGPU.csdata,"",@progbits
; Kernel info:
; codeLenInByte = 1036
; TotalNumSgprs: 41
; NumVgprs: 20
; ScratchSize: 0
; MemoryBound: 0
; FloatMode: 240
; IeeeMode: 1
; LDSByteSize: 0 bytes/workgroup (compile time only)
; SGPRBlocks: 0
; VGPRBlocks: 1
; NumSGPRsForWavesPerEU: 41
; NumVGPRsForWavesPerEU: 20
; NamedBarCnt: 0
; Occupancy: 16
; WaveLimiterHint : 1
; COMPUTE_PGM_RSRC2:SCRATCH_EN: 0
; COMPUTE_PGM_RSRC2:USER_SGPR: 2
; COMPUTE_PGM_RSRC2:TRAP_HANDLER: 0
; COMPUTE_PGM_RSRC2:TGID_X_EN: 1
; COMPUTE_PGM_RSRC2:TGID_Y_EN: 1
; COMPUTE_PGM_RSRC2:TGID_Z_EN: 1
; COMPUTE_PGM_RSRC2:TIDIG_COMP_CNT: 2
	.section	.text._ZL19k_bin_bcast_unravelIXadL_ZL6op_addffEE6__halfS0_S0_JPKS0_S2_S2_S2_S2_S2_EEvPKT0_PKT1_PT2_15HIP_vector_typeIjLj3EESC_SC_jSC_SC_SC_SC_SC_SC_iiiiiiiiiiiDpT3_,"axG",@progbits,_ZL19k_bin_bcast_unravelIXadL_ZL6op_addffEE6__halfS0_S0_JPKS0_S2_S2_S2_S2_S2_EEvPKT0_PKT1_PT2_15HIP_vector_typeIjLj3EESC_SC_jSC_SC_SC_SC_SC_SC_iiiiiiiiiiiDpT3_,comdat
	.globl	_ZL19k_bin_bcast_unravelIXadL_ZL6op_addffEE6__halfS0_S0_JPKS0_S2_S2_S2_S2_S2_EEvPKT0_PKT1_PT2_15HIP_vector_typeIjLj3EESC_SC_jSC_SC_SC_SC_SC_SC_iiiiiiiiiiiDpT3_ ; -- Begin function _ZL19k_bin_bcast_unravelIXadL_ZL6op_addffEE6__halfS0_S0_JPKS0_S2_S2_S2_S2_S2_EEvPKT0_PKT1_PT2_15HIP_vector_typeIjLj3EESC_SC_jSC_SC_SC_SC_SC_SC_iiiiiiiiiiiDpT3_
	.p2align	8
	.type	_ZL19k_bin_bcast_unravelIXadL_ZL6op_addffEE6__halfS0_S0_JPKS0_S2_S2_S2_S2_S2_EEvPKT0_PKT1_PT2_15HIP_vector_typeIjLj3EESC_SC_jSC_SC_SC_SC_SC_SC_iiiiiiiiiiiDpT3_,@function
_ZL19k_bin_bcast_unravelIXadL_ZL6op_addffEE6__halfS0_S0_JPKS0_S2_S2_S2_S2_S2_EEvPKT0_PKT1_PT2_15HIP_vector_typeIjLj3EESC_SC_jSC_SC_SC_SC_SC_SC_iiiiiiiiiiiDpT3_: ; @_ZL19k_bin_bcast_unravelIXadL_ZL6op_addffEE6__halfS0_S0_JPKS0_S2_S2_S2_S2_S2_EEvPKT0_PKT1_PT2_15HIP_vector_typeIjLj3EESC_SC_jSC_SC_SC_SC_SC_SC_iiiiiiiiiiiDpT3_
; %bb.0:
	s_load_b32 s2, s[0:1], 0xf4
	s_bfe_u32 s3, ttmp6, 0x4000c
	s_load_b256 s[4:11], s[0:1], 0x38
	s_add_co_i32 s3, s3, 1
	s_and_b32 s12, ttmp6, 15
	s_mul_i32 s3, ttmp9, s3
	s_getreg_b32 s13, hwreg(HW_REG_IB_STS2, 6, 4)
	s_add_co_i32 s12, s12, s3
	s_wait_kmcnt 0x0
	s_and_b32 s2, s2, 0xffff
	s_cmp_eq_u32 s13, 0
	s_cselect_b32 s3, ttmp9, s12
	s_delay_alu instid0(SALU_CYCLE_1) | instskip(SKIP_1) | instid1(VALU_DEP_1)
	v_mad_u32 v0, s3, s2, v0
	s_load_b32 s2, s[0:1], 0x2c
	v_mul_hi_u32 v1, v0, s6
	s_delay_alu instid0(VALU_DEP_1) | instskip(NEXT) | instid1(VALU_DEP_1)
	v_add_nc_u32_e32 v1, v0, v1
	v_lshrrev_b32_e32 v1, s7, v1
	s_delay_alu instid0(VALU_DEP_1) | instskip(NEXT) | instid1(VALU_DEP_1)
	v_mul_lo_u32 v2, v1, s8
	v_sub_nc_u32_e32 v0, v0, v2
	s_delay_alu instid0(VALU_DEP_1) | instskip(NEXT) | instid1(VALU_DEP_1)
	v_mul_hi_u32 v2, v0, s9
	v_add_nc_u32_e32 v2, v0, v2
	s_delay_alu instid0(VALU_DEP_1) | instskip(SKIP_1) | instid1(VALU_DEP_1)
	v_lshrrev_b32_e32 v2, s10, v2
	s_load_b96 s[8:10], s[0:1], 0x18
	v_mul_lo_u32 v3, v2, s11
	s_delay_alu instid0(VALU_DEP_1) | instskip(SKIP_3) | instid1(VALU_DEP_3)
	v_sub_nc_u32_e32 v0, v0, v3
	v_cmp_gt_u32_e64 s3, s4, v2
	v_cmp_gt_u32_e64 s4, s5, v1
	s_wait_kmcnt 0x0
	v_mul_hi_u32 v3, v0, s8
	s_delay_alu instid0(VALU_DEP_1) | instskip(NEXT) | instid1(VALU_DEP_1)
	v_add_nc_u32_e32 v3, v0, v3
	v_lshrrev_b32_e32 v4, s9, v3
	s_delay_alu instid0(VALU_DEP_1) | instskip(NEXT) | instid1(VALU_DEP_1)
	v_mul_lo_u32 v3, v4, s10
	v_sub_nc_u32_e32 v0, v0, v3
	v_cmp_gt_u32_e64 s2, s2, v4
	s_delay_alu instid0(VALU_DEP_2) | instskip(SKIP_1) | instid1(SALU_CYCLE_1)
	v_cmp_gt_u32_e32 vcc_lo, s10, v0
	s_and_b32 s2, vcc_lo, s2
	s_and_b32 s2, s2, s3
	s_delay_alu instid0(SALU_CYCLE_1) | instskip(NEXT) | instid1(SALU_CYCLE_1)
	s_and_b32 s2, s4, s2
	s_and_saveexec_b32 s3, s2
	s_cbranch_execz .LBB74_4
; %bb.1:
	s_clause 0x4
	s_load_b64 s[2:3], s[0:1], 0x0
	s_load_b96 s[24:26], s[0:1], 0xa8
	s_load_b256 s[4:11], s[0:1], 0x88
	s_load_b128 s[20:23], s[0:1], 0x78
	s_load_b256 s[12:19], s[0:1], 0x58
	v_dual_mov_b32 v3, 0 :: v_dual_mov_b32 v5, 0
	s_wait_kmcnt 0x0
	s_cmp_eq_u64 s[2:3], 0
	s_cbranch_scc1 .LBB74_3
; %bb.2:
	v_mul_lo_u32 v5, v1, s10
	v_mov_b32_e32 v7, 0
	s_delay_alu instid0(VALU_DEP_2) | instskip(NEXT) | instid1(VALU_DEP_1)
	v_mad_u32 v5, v2, s9, v5
	v_mad_u32 v6, v4, s8, v5
	s_delay_alu instid0(VALU_DEP_1) | instskip(SKIP_1) | instid1(VALU_DEP_1)
	v_lshl_add_u64 v[8:9], v[6:7], 1, s[2:3]
	v_mul_lo_u32 v6, v0, s7
	v_lshl_add_u64 v[6:7], v[6:7], 1, v[8:9]
	global_load_u16 v5, v[6:7], off
	s_wait_loadcnt 0x0
	v_cvt_f32_f16_e32 v5, v5
.LBB74_3:
	v_mul_hi_u32 v6, s21, v1
	v_mul_hi_u32 v7, s18, v2
	;; [unrolled: 1-line block ×4, first 2 shown]
	s_delay_alu instid0(VALU_DEP_3) | instskip(NEXT) | instid1(VALU_DEP_1)
	v_dual_add_nc_u32 v6, v1, v6 :: v_dual_add_nc_u32 v7, v2, v7
	v_dual_lshrrev_b32 v6, s22, v6 :: v_dual_lshrrev_b32 v7, s19, v7
	s_delay_alu instid0(VALU_DEP_1) | instskip(SKIP_1) | instid1(VALU_DEP_3)
	v_mul_lo_u32 v6, v6, s23
	v_add_nc_u32_e32 v8, v4, v8
	v_mul_lo_u32 v7, v7, s20
	s_delay_alu instid0(VALU_DEP_3) | instskip(NEXT) | instid1(VALU_DEP_3)
	v_dual_sub_nc_u32 v6, v1, v6 :: v_dual_add_nc_u32 v9, v0, v9
	v_lshrrev_b32_e32 v8, s16, v8
	v_mul_lo_u32 v1, v1, s6
	s_delay_alu instid0(VALU_DEP_4) | instskip(NEXT) | instid1(VALU_DEP_4)
	v_sub_nc_u32_e32 v7, v2, v7
	v_mul_lo_u32 v6, v6, s26
	v_lshrrev_b32_e32 v9, s13, v9
	v_mul_lo_u32 v8, v8, s17
	s_load_b128 s[16:19], s[0:1], 0xd8
	s_delay_alu instid0(VALU_DEP_2) | instskip(SKIP_2) | instid1(VALU_DEP_4)
	v_mul_lo_u32 v9, v9, s14
	v_mad_u32 v1, v2, s5, v1
	v_mad_u32 v7, v7, s25, v6
	v_sub_nc_u32_e32 v8, v4, v8
	s_delay_alu instid0(VALU_DEP_1) | instskip(NEXT) | instid1(VALU_DEP_1)
	v_mad_u32 v8, v8, s24, v7
	v_dual_sub_nc_u32 v6, v0, v9 :: v_dual_ashrrev_i32 v9, 31, v8
	s_delay_alu instid0(VALU_DEP_1) | instskip(SKIP_1) | instid1(VALU_DEP_1)
	v_mul_lo_u32 v6, v6, s11
	s_load_b256 s[8:15], s[0:1], 0xb8
	v_ashrrev_i32_e32 v7, 31, v6
	s_wait_xcnt 0x0
	s_load_b64 s[0:1], s[0:1], 0x10
	s_delay_alu instid0(VALU_DEP_1) | instskip(NEXT) | instid1(VALU_DEP_1)
	v_add_nc_u64_e32 v[6:7], v[6:7], v[8:9]
	v_lshlrev_b64_e32 v[6:7], 1, v[6:7]
	s_wait_kmcnt 0x0
	s_delay_alu instid0(VALU_DEP_1)
	v_add_nc_u64_e32 v[8:9], s[8:9], v[6:7]
	v_add_nc_u64_e32 v[10:11], s[10:11], v[6:7]
	global_load_u16 v12, v[8:9], off
	s_wait_xcnt 0x0
	v_add_nc_u64_e32 v[8:9], s[12:13], v[6:7]
	global_load_u16 v13, v[10:11], off
	s_wait_xcnt 0x0
	;; [unrolled: 3-line block ×3, first 2 shown]
	v_add_nc_u64_e32 v[8:9], s[16:17], v[6:7]
	global_load_u16 v10, v[10:11], off
	v_add_nc_u64_e32 v[6:7], s[18:19], v[6:7]
	global_load_u16 v11, v[8:9], off
	global_load_u16 v15, v[6:7], off
	s_wait_loadcnt 0x5
	s_wait_xcnt 0x0
	v_cvt_f32_f16_e32 v6, v12
	s_wait_loadcnt 0x4
	v_cvt_f32_f16_e32 v7, v13
	s_delay_alu instid0(VALU_DEP_2) | instskip(SKIP_2) | instid1(VALU_DEP_2)
	v_add_f32_e32 v5, v5, v6
	s_wait_loadcnt 0x3
	v_cvt_f32_f16_e32 v2, v14
	v_add_f32_e32 v5, v5, v7
	s_wait_loadcnt 0x2
	v_cvt_f32_f16_e32 v6, v10
	s_delay_alu instid0(VALU_DEP_2) | instskip(SKIP_3) | instid1(VALU_DEP_3)
	v_add_f32_e32 v5, v5, v2
	v_mad_u32 v2, v4, s4, v1
	s_wait_loadcnt 0x1
	v_cvt_f32_f16_e32 v1, v11
	v_add_f32_e32 v4, v5, v6
	s_wait_loadcnt 0x0
	v_cvt_f32_f16_e32 v5, v15
	s_delay_alu instid0(VALU_DEP_2) | instskip(SKIP_1) | instid1(VALU_DEP_2)
	v_dual_add_f32 v4, v4, v1 :: v_dual_mov_b32 v1, v3
	v_lshl_add_u64 v[2:3], v[2:3], 1, s[0:1]
	v_add_f32_e32 v4, v4, v5
	s_delay_alu instid0(VALU_DEP_2) | instskip(NEXT) | instid1(VALU_DEP_2)
	v_lshl_add_u64 v[0:1], v[0:1], 1, v[2:3]
	v_cvt_f16_f32_e32 v4, v4
	global_store_b16 v[0:1], v4, off
.LBB74_4:
	s_endpgm
	.section	.rodata,"a",@progbits
	.p2align	6, 0x0
	.amdhsa_kernel _ZL19k_bin_bcast_unravelIXadL_ZL6op_addffEE6__halfS0_S0_JPKS0_S2_S2_S2_S2_S2_EEvPKT0_PKT1_PT2_15HIP_vector_typeIjLj3EESC_SC_jSC_SC_SC_SC_SC_SC_iiiiiiiiiiiDpT3_
		.amdhsa_group_segment_fixed_size 0
		.amdhsa_private_segment_fixed_size 0
		.amdhsa_kernarg_size 488
		.amdhsa_user_sgpr_count 2
		.amdhsa_user_sgpr_dispatch_ptr 0
		.amdhsa_user_sgpr_queue_ptr 0
		.amdhsa_user_sgpr_kernarg_segment_ptr 1
		.amdhsa_user_sgpr_dispatch_id 0
		.amdhsa_user_sgpr_kernarg_preload_length 0
		.amdhsa_user_sgpr_kernarg_preload_offset 0
		.amdhsa_user_sgpr_private_segment_size 0
		.amdhsa_wavefront_size32 1
		.amdhsa_uses_dynamic_stack 0
		.amdhsa_enable_private_segment 0
		.amdhsa_system_sgpr_workgroup_id_x 1
		.amdhsa_system_sgpr_workgroup_id_y 0
		.amdhsa_system_sgpr_workgroup_id_z 0
		.amdhsa_system_sgpr_workgroup_info 0
		.amdhsa_system_vgpr_workitem_id 0
		.amdhsa_next_free_vgpr 16
		.amdhsa_next_free_sgpr 27
		.amdhsa_named_barrier_count 0
		.amdhsa_reserve_vcc 1
		.amdhsa_float_round_mode_32 0
		.amdhsa_float_round_mode_16_64 0
		.amdhsa_float_denorm_mode_32 3
		.amdhsa_float_denorm_mode_16_64 3
		.amdhsa_fp16_overflow 0
		.amdhsa_memory_ordered 1
		.amdhsa_forward_progress 1
		.amdhsa_inst_pref_size 8
		.amdhsa_round_robin_scheduling 0
		.amdhsa_exception_fp_ieee_invalid_op 0
		.amdhsa_exception_fp_denorm_src 0
		.amdhsa_exception_fp_ieee_div_zero 0
		.amdhsa_exception_fp_ieee_overflow 0
		.amdhsa_exception_fp_ieee_underflow 0
		.amdhsa_exception_fp_ieee_inexact 0
		.amdhsa_exception_int_div_zero 0
	.end_amdhsa_kernel
	.section	.text._ZL19k_bin_bcast_unravelIXadL_ZL6op_addffEE6__halfS0_S0_JPKS0_S2_S2_S2_S2_S2_EEvPKT0_PKT1_PT2_15HIP_vector_typeIjLj3EESC_SC_jSC_SC_SC_SC_SC_SC_iiiiiiiiiiiDpT3_,"axG",@progbits,_ZL19k_bin_bcast_unravelIXadL_ZL6op_addffEE6__halfS0_S0_JPKS0_S2_S2_S2_S2_S2_EEvPKT0_PKT1_PT2_15HIP_vector_typeIjLj3EESC_SC_jSC_SC_SC_SC_SC_SC_iiiiiiiiiiiDpT3_,comdat
.Lfunc_end74:
	.size	_ZL19k_bin_bcast_unravelIXadL_ZL6op_addffEE6__halfS0_S0_JPKS0_S2_S2_S2_S2_S2_EEvPKT0_PKT1_PT2_15HIP_vector_typeIjLj3EESC_SC_jSC_SC_SC_SC_SC_SC_iiiiiiiiiiiDpT3_, .Lfunc_end74-_ZL19k_bin_bcast_unravelIXadL_ZL6op_addffEE6__halfS0_S0_JPKS0_S2_S2_S2_S2_S2_EEvPKT0_PKT1_PT2_15HIP_vector_typeIjLj3EESC_SC_jSC_SC_SC_SC_SC_SC_iiiiiiiiiiiDpT3_
                                        ; -- End function
	.set _ZL19k_bin_bcast_unravelIXadL_ZL6op_addffEE6__halfS0_S0_JPKS0_S2_S2_S2_S2_S2_EEvPKT0_PKT1_PT2_15HIP_vector_typeIjLj3EESC_SC_jSC_SC_SC_SC_SC_SC_iiiiiiiiiiiDpT3_.num_vgpr, 16
	.set _ZL19k_bin_bcast_unravelIXadL_ZL6op_addffEE6__halfS0_S0_JPKS0_S2_S2_S2_S2_S2_EEvPKT0_PKT1_PT2_15HIP_vector_typeIjLj3EESC_SC_jSC_SC_SC_SC_SC_SC_iiiiiiiiiiiDpT3_.num_agpr, 0
	.set _ZL19k_bin_bcast_unravelIXadL_ZL6op_addffEE6__halfS0_S0_JPKS0_S2_S2_S2_S2_S2_EEvPKT0_PKT1_PT2_15HIP_vector_typeIjLj3EESC_SC_jSC_SC_SC_SC_SC_SC_iiiiiiiiiiiDpT3_.numbered_sgpr, 27
	.set _ZL19k_bin_bcast_unravelIXadL_ZL6op_addffEE6__halfS0_S0_JPKS0_S2_S2_S2_S2_S2_EEvPKT0_PKT1_PT2_15HIP_vector_typeIjLj3EESC_SC_jSC_SC_SC_SC_SC_SC_iiiiiiiiiiiDpT3_.num_named_barrier, 0
	.set _ZL19k_bin_bcast_unravelIXadL_ZL6op_addffEE6__halfS0_S0_JPKS0_S2_S2_S2_S2_S2_EEvPKT0_PKT1_PT2_15HIP_vector_typeIjLj3EESC_SC_jSC_SC_SC_SC_SC_SC_iiiiiiiiiiiDpT3_.private_seg_size, 0
	.set _ZL19k_bin_bcast_unravelIXadL_ZL6op_addffEE6__halfS0_S0_JPKS0_S2_S2_S2_S2_S2_EEvPKT0_PKT1_PT2_15HIP_vector_typeIjLj3EESC_SC_jSC_SC_SC_SC_SC_SC_iiiiiiiiiiiDpT3_.uses_vcc, 1
	.set _ZL19k_bin_bcast_unravelIXadL_ZL6op_addffEE6__halfS0_S0_JPKS0_S2_S2_S2_S2_S2_EEvPKT0_PKT1_PT2_15HIP_vector_typeIjLj3EESC_SC_jSC_SC_SC_SC_SC_SC_iiiiiiiiiiiDpT3_.uses_flat_scratch, 0
	.set _ZL19k_bin_bcast_unravelIXadL_ZL6op_addffEE6__halfS0_S0_JPKS0_S2_S2_S2_S2_S2_EEvPKT0_PKT1_PT2_15HIP_vector_typeIjLj3EESC_SC_jSC_SC_SC_SC_SC_SC_iiiiiiiiiiiDpT3_.has_dyn_sized_stack, 0
	.set _ZL19k_bin_bcast_unravelIXadL_ZL6op_addffEE6__halfS0_S0_JPKS0_S2_S2_S2_S2_S2_EEvPKT0_PKT1_PT2_15HIP_vector_typeIjLj3EESC_SC_jSC_SC_SC_SC_SC_SC_iiiiiiiiiiiDpT3_.has_recursion, 0
	.set _ZL19k_bin_bcast_unravelIXadL_ZL6op_addffEE6__halfS0_S0_JPKS0_S2_S2_S2_S2_S2_EEvPKT0_PKT1_PT2_15HIP_vector_typeIjLj3EESC_SC_jSC_SC_SC_SC_SC_SC_iiiiiiiiiiiDpT3_.has_indirect_call, 0
	.section	.AMDGPU.csdata,"",@progbits
; Kernel info:
; codeLenInByte = 920
; TotalNumSgprs: 29
; NumVgprs: 16
; ScratchSize: 0
; MemoryBound: 0
; FloatMode: 240
; IeeeMode: 1
; LDSByteSize: 0 bytes/workgroup (compile time only)
; SGPRBlocks: 0
; VGPRBlocks: 0
; NumSGPRsForWavesPerEU: 29
; NumVGPRsForWavesPerEU: 16
; NamedBarCnt: 0
; Occupancy: 16
; WaveLimiterHint : 1
; COMPUTE_PGM_RSRC2:SCRATCH_EN: 0
; COMPUTE_PGM_RSRC2:USER_SGPR: 2
; COMPUTE_PGM_RSRC2:TRAP_HANDLER: 0
; COMPUTE_PGM_RSRC2:TGID_X_EN: 1
; COMPUTE_PGM_RSRC2:TGID_Y_EN: 0
; COMPUTE_PGM_RSRC2:TGID_Z_EN: 0
; COMPUTE_PGM_RSRC2:TIDIG_COMP_CNT: 0
	.section	.text._ZL11k_bin_bcastIXadL_ZL6op_addffEE6__halfS0_S0_JPKS0_S2_S2_S2_S2_S2_EEvPKT0_PKT1_PT2_iii15HIP_vector_typeIjLj3EESC_SC_SC_SC_iiiiiiiiiiiDpT3_,"axG",@progbits,_ZL11k_bin_bcastIXadL_ZL6op_addffEE6__halfS0_S0_JPKS0_S2_S2_S2_S2_S2_EEvPKT0_PKT1_PT2_iii15HIP_vector_typeIjLj3EESC_SC_SC_SC_iiiiiiiiiiiDpT3_,comdat
	.globl	_ZL11k_bin_bcastIXadL_ZL6op_addffEE6__halfS0_S0_JPKS0_S2_S2_S2_S2_S2_EEvPKT0_PKT1_PT2_iii15HIP_vector_typeIjLj3EESC_SC_SC_SC_iiiiiiiiiiiDpT3_ ; -- Begin function _ZL11k_bin_bcastIXadL_ZL6op_addffEE6__halfS0_S0_JPKS0_S2_S2_S2_S2_S2_EEvPKT0_PKT1_PT2_iii15HIP_vector_typeIjLj3EESC_SC_SC_SC_iiiiiiiiiiiDpT3_
	.p2align	8
	.type	_ZL11k_bin_bcastIXadL_ZL6op_addffEE6__halfS0_S0_JPKS0_S2_S2_S2_S2_S2_EEvPKT0_PKT1_PT2_iii15HIP_vector_typeIjLj3EESC_SC_SC_SC_iiiiiiiiiiiDpT3_,@function
_ZL11k_bin_bcastIXadL_ZL6op_addffEE6__halfS0_S0_JPKS0_S2_S2_S2_S2_S2_EEvPKT0_PKT1_PT2_iii15HIP_vector_typeIjLj3EESC_SC_SC_SC_iiiiiiiiiiiDpT3_: ; @_ZL11k_bin_bcastIXadL_ZL6op_addffEE6__halfS0_S0_JPKS0_S2_S2_S2_S2_S2_EEvPKT0_PKT1_PT2_iii15HIP_vector_typeIjLj3EESC_SC_SC_SC_iiiiiiiiiiiDpT3_
; %bb.0:
	s_load_b64 s[2:3], s[0:1], 0xcc
	s_bfe_u32 s5, ttmp6, 0x40014
	s_bfe_u32 s16, ttmp6, 0x40010
	;; [unrolled: 1-line block ×3, first 2 shown]
	s_lshr_b32 s4, ttmp7, 16
	s_add_co_i32 s5, s5, 1
	s_and_b32 s7, ttmp7, 0xffff
	s_load_b256 s[8:15], s[0:1], 0x18
	s_add_co_i32 s16, s16, 1
	s_add_co_i32 s19, s19, 1
	s_bfe_u32 s6, ttmp6, 0x40008
	s_mul_i32 s5, s4, s5
	s_bfe_u32 s17, ttmp6, 0x40004
	s_and_b32 s18, ttmp6, 15
	s_mul_i32 s16, s7, s16
	s_mul_i32 s19, ttmp9, s19
	s_add_co_i32 s6, s6, s5
	s_add_co_i32 s17, s17, s16
	;; [unrolled: 1-line block ×3, first 2 shown]
	v_bfe_u32 v1, v0, 20, 10
	s_wait_kmcnt 0x0
	s_lshr_b32 s5, s2, 16
	s_and_b32 s33, s2, 0xffff
	s_getreg_b32 s2, hwreg(HW_REG_IB_STS2, 6, 4)
	s_and_b32 s3, s3, 0xffff
	s_cmp_eq_u32 s2, 0
	v_and_b32_e32 v2, 0x3ff, v0
	s_cselect_b32 s2, s4, s6
	v_bfe_u32 v4, v0, 10, 10
	v_mad_u32 v3, s2, s3, v1
	s_cselect_b32 s2, ttmp9, s18
	s_cselect_b32 s3, s7, s17
	v_mad_u32 v0, s2, s33, v2
	v_mad_u32 v2, s3, s5, v4
	s_delay_alu instid0(VALU_DEP_3) | instskip(NEXT) | instid1(VALU_DEP_3)
	v_mul_hi_u32 v1, v3, s11
	v_cmp_gt_u32_e32 vcc_lo, s8, v0
	s_delay_alu instid0(VALU_DEP_3) | instskip(SKIP_2) | instid1(VALU_DEP_1)
	v_cmp_gt_u32_e64 s2, s9, v2
	s_and_b32 s2, vcc_lo, s2
	v_add_nc_u32_e32 v1, v3, v1
	v_lshrrev_b32_e32 v1, s12, v1
	s_delay_alu instid0(VALU_DEP_1) | instskip(SKIP_3) | instid1(VALU_DEP_1)
	v_mul_lo_u32 v5, v1, s13
	v_cmp_gt_u32_e64 s3, s10, v1
	s_and_b32 s2, s2, s3
	v_sub_nc_u32_e32 v3, v3, v5
	v_cmp_gt_u32_e64 s4, s13, v3
	s_and_b32 s2, s2, s4
	s_delay_alu instid0(SALU_CYCLE_1)
	s_and_saveexec_b32 s3, s2
	s_cbranch_execz .LBB75_6
; %bb.1:
	v_cmp_gt_i32_e32 vcc_lo, s8, v0
	s_and_b32 exec_lo, exec_lo, vcc_lo
	s_cbranch_execz .LBB75_6
; %bb.2:
	s_clause 0x3
	s_load_b256 s[24:31], s[0:1], 0x3c
	s_load_b32 s2, s[0:1], 0x5c
	s_load_b256 s[16:23], s[0:1], 0x60
	s_load_b96 s[36:38], s[0:1], 0x80
	s_add_nc_u64 s[4:5], s[0:1], 0xc0
	s_load_b32 s9, s[4:5], 0x0
	s_load_b32 s12, s[0:1], 0x38
	s_wait_xcnt 0x0
	s_clause 0x1
	s_load_b128 s[4:7], s[0:1], 0xb0
	s_load_b64 s[10:11], s[0:1], 0x10
	s_wait_kmcnt 0x0
	v_mul_hi_u32 v4, s30, v3
	v_mul_hi_u32 v5, s27, v1
	;; [unrolled: 1-line block ×3, first 2 shown]
	v_mul_lo_u32 v7, v2, s20
	v_mul_lo_u32 v8, v2, s16
	s_delay_alu instid0(VALU_DEP_4) | instskip(NEXT) | instid1(VALU_DEP_3)
	v_dual_add_nc_u32 v4, v3, v4 :: v_dual_add_nc_u32 v5, v1, v5
	v_mad_u32 v7, v1, s21, v7
	s_delay_alu instid0(VALU_DEP_3) | instskip(NEXT) | instid1(VALU_DEP_3)
	v_mad_u32 v8, v1, s17, v8
	v_dual_lshrrev_b32 v4, s31, v4 :: v_dual_lshrrev_b32 v5, s28, v5
	s_delay_alu instid0(VALU_DEP_1) | instskip(SKIP_1) | instid1(VALU_DEP_3)
	v_mul_lo_u32 v4, v4, s2
	v_add_nc_u32_e32 v6, v2, v6
	v_mul_lo_u32 v5, v5, s29
	s_load_b64 s[2:3], s[0:1], 0x0
	v_mad_u32 v8, v3, s18, v8
	s_delay_alu instid0(VALU_DEP_3) | instskip(NEXT) | instid1(VALU_DEP_3)
	v_dual_sub_nc_u32 v4, v3, v4 :: v_dual_lshrrev_b32 v6, s25, v6
	v_sub_nc_u32_e32 v5, v1, v5
	s_delay_alu instid0(VALU_DEP_2) | instskip(NEXT) | instid1(VALU_DEP_3)
	v_mul_lo_u32 v9, v4, s38
	v_mul_lo_u32 v6, v6, s26
	v_mad_u32 v4, v3, s22, v7
	s_load_b256 s[24:31], s[0:1], 0x90
	v_mov_b32_e32 v1, 0
	s_wait_xcnt 0x0
	s_mov_b32 s1, 0
	s_mov_b32 s0, s14
	s_wait_kmcnt 0x0
	s_cmp_lg_u64 s[2:3], 0
	s_delay_alu instid0(VALU_DEP_4) | instskip(NEXT) | instid1(VALU_DEP_4)
	v_mad_u32 v7, v5, s37, v9
	v_sub_nc_u32_e32 v2, v2, v6
	v_mul_lo_u32 v6, s19, v0
	v_dual_mov_b32 v5, v1 :: v_dual_mov_b32 v9, v1
	v_mov_b32_e32 v3, v1
	s_delay_alu instid0(VALU_DEP_2) | instskip(NEXT) | instid1(VALU_DEP_3)
	v_lshl_add_u64 v[4:5], v[4:5], 1, s[2:3]
	v_lshl_add_u64 v[8:9], v[8:9], 1, s[10:11]
	s_mul_i32 s2, s9, s33
	v_mad_u32 v2, v2, s36, v7
	s_cselect_b32 s3, -1, 0
	s_mul_i32 s9, s2, s19
	s_sub_co_i32 s10, 0, s12
	s_mov_b32 s11, s1
	s_branch .LBB75_4
.LBB75_3:                               ;   in Loop: Header=BB75_4 Depth=1
	s_wait_xcnt 0x0
	v_mul_u64_e32 v[10:11], s[0:1], v[0:1]
	s_delay_alu instid0(VALU_DEP_1) | instskip(NEXT) | instid1(VALU_DEP_1)
	v_dual_add_nc_u32 v6, s9, v6 :: v_dual_add_nc_u32 v10, v0, v11
	v_dual_mov_b32 v11, v1 :: v_dual_lshrrev_b32 v10, s15, v10
	s_delay_alu instid0(VALU_DEP_1) | instskip(NEXT) | instid1(VALU_DEP_1)
	v_mad_u32 v10, s10, v10, v0
	v_mul_lo_u32 v10, v10, s23
	s_delay_alu instid0(VALU_DEP_1) | instskip(NEXT) | instid1(VALU_DEP_1)
	v_add_nc_u64_e32 v[10:11], v[10:11], v[2:3]
	v_lshlrev_b64_e32 v[10:11], 1, v[10:11]
	s_delay_alu instid0(VALU_DEP_1)
	v_add_nc_u64_e32 v[12:13], s[24:25], v[10:11]
	v_add_nc_u64_e32 v[14:15], s[26:27], v[10:11]
	global_load_u16 v16, v[12:13], off
	s_wait_xcnt 0x0
	v_add_nc_u64_e32 v[12:13], s[28:29], v[10:11]
	global_load_u16 v17, v[14:15], off
	s_wait_xcnt 0x0
	;; [unrolled: 3-line block ×3, first 2 shown]
	v_add_nc_u64_e32 v[12:13], s[4:5], v[10:11]
	global_load_u16 v14, v[14:15], off
	v_add_nc_u64_e32 v[10:11], s[6:7], v[10:11]
	global_load_u16 v15, v[12:13], off
	global_load_u16 v19, v[10:11], off
	s_wait_loadcnt 0x5
	s_wait_xcnt 0x0
	v_cvt_f32_f16_e32 v10, v16
	s_wait_loadcnt 0x4
	v_cvt_f32_f16_e32 v11, v17
	s_delay_alu instid0(VALU_DEP_2) | instskip(SKIP_2) | instid1(VALU_DEP_2)
	v_add_f32_e32 v7, v7, v10
	s_wait_loadcnt 0x3
	v_cvt_f32_f16_e32 v10, v18
	v_add_f32_e32 v7, v7, v11
	s_wait_loadcnt 0x2
	v_cvt_f32_f16_e32 v11, v14
	s_delay_alu instid0(VALU_DEP_2)
	v_add_f32_e32 v7, v7, v10
	s_wait_loadcnt 0x1
	v_cvt_f32_f16_e32 v10, v15
	s_wait_loadcnt 0x0
	v_cvt_f32_f16_e32 v12, v19
	v_dual_add_f32 v7, v7, v11 :: v_dual_ashrrev_i32 v11, 31, v0
	s_delay_alu instid0(VALU_DEP_1) | instskip(SKIP_1) | instid1(VALU_DEP_2)
	v_dual_add_f32 v7, v7, v10 :: v_dual_mov_b32 v10, v0
	v_add_nc_u32_e32 v0, s2, v0
	v_add_f32_e32 v7, v7, v12
	s_delay_alu instid0(VALU_DEP_3) | instskip(NEXT) | instid1(VALU_DEP_3)
	v_lshl_add_u64 v[10:11], v[10:11], 1, v[8:9]
	v_cmp_le_i32_e32 vcc_lo, s8, v0
	s_delay_alu instid0(VALU_DEP_3)
	v_cvt_f16_f32_e32 v7, v7
	s_or_b32 s11, vcc_lo, s11
	global_store_b16 v[10:11], v7, off
	s_wait_xcnt 0x0
	s_and_not1_b32 exec_lo, exec_lo, s11
	s_cbranch_execz .LBB75_6
.LBB75_4:                               ; =>This Inner Loop Header: Depth=1
	v_mov_b32_e32 v7, 0
	s_and_not1_b32 vcc_lo, exec_lo, s3
	s_cbranch_vccnz .LBB75_3
; %bb.5:                                ;   in Loop: Header=BB75_4 Depth=1
	v_ashrrev_i32_e32 v7, 31, v6
	s_delay_alu instid0(VALU_DEP_1)
	v_lshl_add_u64 v[10:11], v[6:7], 1, v[4:5]
	global_load_u16 v7, v[10:11], off
	s_wait_loadcnt 0x0
	v_cvt_f32_f16_e32 v7, v7
	s_branch .LBB75_3
.LBB75_6:
	s_endpgm
	.section	.rodata,"a",@progbits
	.p2align	6, 0x0
	.amdhsa_kernel _ZL11k_bin_bcastIXadL_ZL6op_addffEE6__halfS0_S0_JPKS0_S2_S2_S2_S2_S2_EEvPKT0_PKT1_PT2_iii15HIP_vector_typeIjLj3EESC_SC_SC_SC_iiiiiiiiiiiDpT3_
		.amdhsa_group_segment_fixed_size 0
		.amdhsa_private_segment_fixed_size 0
		.amdhsa_kernarg_size 448
		.amdhsa_user_sgpr_count 2
		.amdhsa_user_sgpr_dispatch_ptr 0
		.amdhsa_user_sgpr_queue_ptr 0
		.amdhsa_user_sgpr_kernarg_segment_ptr 1
		.amdhsa_user_sgpr_dispatch_id 0
		.amdhsa_user_sgpr_kernarg_preload_length 0
		.amdhsa_user_sgpr_kernarg_preload_offset 0
		.amdhsa_user_sgpr_private_segment_size 0
		.amdhsa_wavefront_size32 1
		.amdhsa_uses_dynamic_stack 0
		.amdhsa_enable_private_segment 0
		.amdhsa_system_sgpr_workgroup_id_x 1
		.amdhsa_system_sgpr_workgroup_id_y 1
		.amdhsa_system_sgpr_workgroup_id_z 1
		.amdhsa_system_sgpr_workgroup_info 0
		.amdhsa_system_vgpr_workitem_id 2
		.amdhsa_next_free_vgpr 20
		.amdhsa_next_free_sgpr 39
		.amdhsa_named_barrier_count 0
		.amdhsa_reserve_vcc 1
		.amdhsa_float_round_mode_32 0
		.amdhsa_float_round_mode_16_64 0
		.amdhsa_float_denorm_mode_32 3
		.amdhsa_float_denorm_mode_16_64 3
		.amdhsa_fp16_overflow 0
		.amdhsa_memory_ordered 1
		.amdhsa_forward_progress 1
		.amdhsa_inst_pref_size 9
		.amdhsa_round_robin_scheduling 0
		.amdhsa_exception_fp_ieee_invalid_op 0
		.amdhsa_exception_fp_denorm_src 0
		.amdhsa_exception_fp_ieee_div_zero 0
		.amdhsa_exception_fp_ieee_overflow 0
		.amdhsa_exception_fp_ieee_underflow 0
		.amdhsa_exception_fp_ieee_inexact 0
		.amdhsa_exception_int_div_zero 0
	.end_amdhsa_kernel
	.section	.text._ZL11k_bin_bcastIXadL_ZL6op_addffEE6__halfS0_S0_JPKS0_S2_S2_S2_S2_S2_EEvPKT0_PKT1_PT2_iii15HIP_vector_typeIjLj3EESC_SC_SC_SC_iiiiiiiiiiiDpT3_,"axG",@progbits,_ZL11k_bin_bcastIXadL_ZL6op_addffEE6__halfS0_S0_JPKS0_S2_S2_S2_S2_S2_EEvPKT0_PKT1_PT2_iii15HIP_vector_typeIjLj3EESC_SC_SC_SC_iiiiiiiiiiiDpT3_,comdat
.Lfunc_end75:
	.size	_ZL11k_bin_bcastIXadL_ZL6op_addffEE6__halfS0_S0_JPKS0_S2_S2_S2_S2_S2_EEvPKT0_PKT1_PT2_iii15HIP_vector_typeIjLj3EESC_SC_SC_SC_iiiiiiiiiiiDpT3_, .Lfunc_end75-_ZL11k_bin_bcastIXadL_ZL6op_addffEE6__halfS0_S0_JPKS0_S2_S2_S2_S2_S2_EEvPKT0_PKT1_PT2_iii15HIP_vector_typeIjLj3EESC_SC_SC_SC_iiiiiiiiiiiDpT3_
                                        ; -- End function
	.set _ZL11k_bin_bcastIXadL_ZL6op_addffEE6__halfS0_S0_JPKS0_S2_S2_S2_S2_S2_EEvPKT0_PKT1_PT2_iii15HIP_vector_typeIjLj3EESC_SC_SC_SC_iiiiiiiiiiiDpT3_.num_vgpr, 20
	.set _ZL11k_bin_bcastIXadL_ZL6op_addffEE6__halfS0_S0_JPKS0_S2_S2_S2_S2_S2_EEvPKT0_PKT1_PT2_iii15HIP_vector_typeIjLj3EESC_SC_SC_SC_iiiiiiiiiiiDpT3_.num_agpr, 0
	.set _ZL11k_bin_bcastIXadL_ZL6op_addffEE6__halfS0_S0_JPKS0_S2_S2_S2_S2_S2_EEvPKT0_PKT1_PT2_iii15HIP_vector_typeIjLj3EESC_SC_SC_SC_iiiiiiiiiiiDpT3_.numbered_sgpr, 39
	.set _ZL11k_bin_bcastIXadL_ZL6op_addffEE6__halfS0_S0_JPKS0_S2_S2_S2_S2_S2_EEvPKT0_PKT1_PT2_iii15HIP_vector_typeIjLj3EESC_SC_SC_SC_iiiiiiiiiiiDpT3_.num_named_barrier, 0
	.set _ZL11k_bin_bcastIXadL_ZL6op_addffEE6__halfS0_S0_JPKS0_S2_S2_S2_S2_S2_EEvPKT0_PKT1_PT2_iii15HIP_vector_typeIjLj3EESC_SC_SC_SC_iiiiiiiiiiiDpT3_.private_seg_size, 0
	.set _ZL11k_bin_bcastIXadL_ZL6op_addffEE6__halfS0_S0_JPKS0_S2_S2_S2_S2_S2_EEvPKT0_PKT1_PT2_iii15HIP_vector_typeIjLj3EESC_SC_SC_SC_iiiiiiiiiiiDpT3_.uses_vcc, 1
	.set _ZL11k_bin_bcastIXadL_ZL6op_addffEE6__halfS0_S0_JPKS0_S2_S2_S2_S2_S2_EEvPKT0_PKT1_PT2_iii15HIP_vector_typeIjLj3EESC_SC_SC_SC_iiiiiiiiiiiDpT3_.uses_flat_scratch, 0
	.set _ZL11k_bin_bcastIXadL_ZL6op_addffEE6__halfS0_S0_JPKS0_S2_S2_S2_S2_S2_EEvPKT0_PKT1_PT2_iii15HIP_vector_typeIjLj3EESC_SC_SC_SC_iiiiiiiiiiiDpT3_.has_dyn_sized_stack, 0
	.set _ZL11k_bin_bcastIXadL_ZL6op_addffEE6__halfS0_S0_JPKS0_S2_S2_S2_S2_S2_EEvPKT0_PKT1_PT2_iii15HIP_vector_typeIjLj3EESC_SC_SC_SC_iiiiiiiiiiiDpT3_.has_recursion, 0
	.set _ZL11k_bin_bcastIXadL_ZL6op_addffEE6__halfS0_S0_JPKS0_S2_S2_S2_S2_S2_EEvPKT0_PKT1_PT2_iii15HIP_vector_typeIjLj3EESC_SC_SC_SC_iiiiiiiiiiiDpT3_.has_indirect_call, 0
	.section	.AMDGPU.csdata,"",@progbits
; Kernel info:
; codeLenInByte = 1080
; TotalNumSgprs: 41
; NumVgprs: 20
; ScratchSize: 0
; MemoryBound: 0
; FloatMode: 240
; IeeeMode: 1
; LDSByteSize: 0 bytes/workgroup (compile time only)
; SGPRBlocks: 0
; VGPRBlocks: 1
; NumSGPRsForWavesPerEU: 41
; NumVGPRsForWavesPerEU: 20
; NamedBarCnt: 0
; Occupancy: 16
; WaveLimiterHint : 1
; COMPUTE_PGM_RSRC2:SCRATCH_EN: 0
; COMPUTE_PGM_RSRC2:USER_SGPR: 2
; COMPUTE_PGM_RSRC2:TRAP_HANDLER: 0
; COMPUTE_PGM_RSRC2:TGID_X_EN: 1
; COMPUTE_PGM_RSRC2:TGID_Y_EN: 1
; COMPUTE_PGM_RSRC2:TGID_Z_EN: 1
; COMPUTE_PGM_RSRC2:TIDIG_COMP_CNT: 2
	.section	.text._ZL19k_bin_bcast_unravelIXadL_ZL6op_addffEE6__halffS0_JPKfS2_S2_S2_S2_S2_EEvPKT0_PKT1_PT2_15HIP_vector_typeIjLj3EESC_SC_jSC_SC_SC_SC_SC_SC_iiiiiiiiiiiDpT3_,"axG",@progbits,_ZL19k_bin_bcast_unravelIXadL_ZL6op_addffEE6__halffS0_JPKfS2_S2_S2_S2_S2_EEvPKT0_PKT1_PT2_15HIP_vector_typeIjLj3EESC_SC_jSC_SC_SC_SC_SC_SC_iiiiiiiiiiiDpT3_,comdat
	.globl	_ZL19k_bin_bcast_unravelIXadL_ZL6op_addffEE6__halffS0_JPKfS2_S2_S2_S2_S2_EEvPKT0_PKT1_PT2_15HIP_vector_typeIjLj3EESC_SC_jSC_SC_SC_SC_SC_SC_iiiiiiiiiiiDpT3_ ; -- Begin function _ZL19k_bin_bcast_unravelIXadL_ZL6op_addffEE6__halffS0_JPKfS2_S2_S2_S2_S2_EEvPKT0_PKT1_PT2_15HIP_vector_typeIjLj3EESC_SC_jSC_SC_SC_SC_SC_SC_iiiiiiiiiiiDpT3_
	.p2align	8
	.type	_ZL19k_bin_bcast_unravelIXadL_ZL6op_addffEE6__halffS0_JPKfS2_S2_S2_S2_S2_EEvPKT0_PKT1_PT2_15HIP_vector_typeIjLj3EESC_SC_jSC_SC_SC_SC_SC_SC_iiiiiiiiiiiDpT3_,@function
_ZL19k_bin_bcast_unravelIXadL_ZL6op_addffEE6__halffS0_JPKfS2_S2_S2_S2_S2_EEvPKT0_PKT1_PT2_15HIP_vector_typeIjLj3EESC_SC_jSC_SC_SC_SC_SC_SC_iiiiiiiiiiiDpT3_: ; @_ZL19k_bin_bcast_unravelIXadL_ZL6op_addffEE6__halffS0_JPKfS2_S2_S2_S2_S2_EEvPKT0_PKT1_PT2_15HIP_vector_typeIjLj3EESC_SC_jSC_SC_SC_SC_SC_SC_iiiiiiiiiiiDpT3_
; %bb.0:
	s_load_b32 s2, s[0:1], 0xf4
	s_bfe_u32 s3, ttmp6, 0x4000c
	s_load_b256 s[4:11], s[0:1], 0x38
	s_add_co_i32 s3, s3, 1
	s_and_b32 s12, ttmp6, 15
	s_mul_i32 s3, ttmp9, s3
	s_getreg_b32 s13, hwreg(HW_REG_IB_STS2, 6, 4)
	s_add_co_i32 s12, s12, s3
	s_wait_kmcnt 0x0
	s_and_b32 s2, s2, 0xffff
	s_cmp_eq_u32 s13, 0
	s_cselect_b32 s3, ttmp9, s12
	s_delay_alu instid0(SALU_CYCLE_1) | instskip(SKIP_1) | instid1(VALU_DEP_1)
	v_mad_u32 v0, s3, s2, v0
	s_load_b32 s2, s[0:1], 0x2c
	v_mul_hi_u32 v1, v0, s6
	s_delay_alu instid0(VALU_DEP_1) | instskip(NEXT) | instid1(VALU_DEP_1)
	v_add_nc_u32_e32 v1, v0, v1
	v_lshrrev_b32_e32 v1, s7, v1
	s_delay_alu instid0(VALU_DEP_1) | instskip(NEXT) | instid1(VALU_DEP_1)
	v_mul_lo_u32 v2, v1, s8
	v_sub_nc_u32_e32 v0, v0, v2
	s_delay_alu instid0(VALU_DEP_1) | instskip(NEXT) | instid1(VALU_DEP_1)
	v_mul_hi_u32 v2, v0, s9
	v_add_nc_u32_e32 v2, v0, v2
	s_delay_alu instid0(VALU_DEP_1) | instskip(SKIP_1) | instid1(VALU_DEP_1)
	v_lshrrev_b32_e32 v2, s10, v2
	s_load_b96 s[8:10], s[0:1], 0x18
	v_mul_lo_u32 v3, v2, s11
	s_delay_alu instid0(VALU_DEP_1) | instskip(SKIP_3) | instid1(VALU_DEP_3)
	v_sub_nc_u32_e32 v0, v0, v3
	v_cmp_gt_u32_e64 s3, s4, v2
	v_cmp_gt_u32_e64 s4, s5, v1
	s_wait_kmcnt 0x0
	v_mul_hi_u32 v3, v0, s8
	s_delay_alu instid0(VALU_DEP_1) | instskip(NEXT) | instid1(VALU_DEP_1)
	v_add_nc_u32_e32 v3, v0, v3
	v_lshrrev_b32_e32 v4, s9, v3
	s_delay_alu instid0(VALU_DEP_1) | instskip(NEXT) | instid1(VALU_DEP_1)
	v_mul_lo_u32 v3, v4, s10
	v_sub_nc_u32_e32 v0, v0, v3
	v_cmp_gt_u32_e64 s2, s2, v4
	s_delay_alu instid0(VALU_DEP_2) | instskip(SKIP_1) | instid1(SALU_CYCLE_1)
	v_cmp_gt_u32_e32 vcc_lo, s10, v0
	s_and_b32 s2, vcc_lo, s2
	s_and_b32 s2, s2, s3
	s_delay_alu instid0(SALU_CYCLE_1) | instskip(NEXT) | instid1(SALU_CYCLE_1)
	s_and_b32 s2, s4, s2
	s_and_saveexec_b32 s3, s2
	s_cbranch_execz .LBB76_4
; %bb.1:
	s_clause 0x4
	s_load_b64 s[2:3], s[0:1], 0x0
	s_load_b96 s[24:26], s[0:1], 0xa8
	s_load_b256 s[4:11], s[0:1], 0x88
	s_load_b128 s[20:23], s[0:1], 0x78
	s_load_b256 s[12:19], s[0:1], 0x58
	v_dual_mov_b32 v3, 0 :: v_dual_mov_b32 v5, 0
	s_wait_kmcnt 0x0
	s_cmp_eq_u64 s[2:3], 0
	s_cbranch_scc1 .LBB76_3
; %bb.2:
	v_mul_lo_u32 v5, v1, s10
	v_mov_b32_e32 v7, 0
	s_delay_alu instid0(VALU_DEP_2) | instskip(NEXT) | instid1(VALU_DEP_1)
	v_mad_u32 v5, v2, s9, v5
	v_mad_u32 v6, v4, s8, v5
	s_delay_alu instid0(VALU_DEP_1) | instskip(SKIP_1) | instid1(VALU_DEP_1)
	v_lshl_add_u64 v[8:9], v[6:7], 1, s[2:3]
	v_mul_lo_u32 v6, v0, s7
	v_lshl_add_u64 v[6:7], v[6:7], 1, v[8:9]
	global_load_u16 v5, v[6:7], off
	s_wait_loadcnt 0x0
	v_cvt_f32_f16_e32 v5, v5
.LBB76_3:
	v_mul_hi_u32 v6, s21, v1
	v_mul_hi_u32 v7, s18, v2
	;; [unrolled: 1-line block ×4, first 2 shown]
	s_delay_alu instid0(VALU_DEP_3) | instskip(NEXT) | instid1(VALU_DEP_1)
	v_dual_add_nc_u32 v6, v1, v6 :: v_dual_add_nc_u32 v7, v2, v7
	v_dual_lshrrev_b32 v6, s22, v6 :: v_dual_lshrrev_b32 v7, s19, v7
	s_delay_alu instid0(VALU_DEP_1) | instskip(SKIP_1) | instid1(VALU_DEP_3)
	v_mul_lo_u32 v6, v6, s23
	v_add_nc_u32_e32 v8, v4, v8
	v_mul_lo_u32 v7, v7, s20
	s_delay_alu instid0(VALU_DEP_3) | instskip(NEXT) | instid1(VALU_DEP_3)
	v_dual_sub_nc_u32 v6, v1, v6 :: v_dual_add_nc_u32 v9, v0, v9
	v_lshrrev_b32_e32 v8, s16, v8
	v_mul_lo_u32 v1, v1, s6
	s_delay_alu instid0(VALU_DEP_4) | instskip(NEXT) | instid1(VALU_DEP_4)
	v_sub_nc_u32_e32 v7, v2, v7
	v_mul_lo_u32 v6, v6, s26
	v_lshrrev_b32_e32 v9, s13, v9
	v_mul_lo_u32 v8, v8, s17
	s_load_b128 s[16:19], s[0:1], 0xd8
	s_delay_alu instid0(VALU_DEP_2) | instskip(SKIP_2) | instid1(VALU_DEP_4)
	v_mul_lo_u32 v9, v9, s14
	v_mad_u32 v1, v2, s5, v1
	v_mad_u32 v7, v7, s25, v6
	v_sub_nc_u32_e32 v8, v4, v8
	s_delay_alu instid0(VALU_DEP_1) | instskip(NEXT) | instid1(VALU_DEP_1)
	v_mad_u32 v8, v8, s24, v7
	v_dual_sub_nc_u32 v6, v0, v9 :: v_dual_ashrrev_i32 v9, 31, v8
	s_delay_alu instid0(VALU_DEP_1) | instskip(SKIP_1) | instid1(VALU_DEP_1)
	v_mul_lo_u32 v6, v6, s11
	s_load_b256 s[8:15], s[0:1], 0xb8
	v_ashrrev_i32_e32 v7, 31, v6
	s_wait_xcnt 0x0
	s_load_b64 s[0:1], s[0:1], 0x10
	s_delay_alu instid0(VALU_DEP_1) | instskip(NEXT) | instid1(VALU_DEP_1)
	v_add_nc_u64_e32 v[6:7], v[6:7], v[8:9]
	v_lshlrev_b64_e32 v[6:7], 2, v[6:7]
	s_wait_kmcnt 0x0
	s_delay_alu instid0(VALU_DEP_1)
	v_add_nc_u64_e32 v[8:9], s[8:9], v[6:7]
	v_add_nc_u64_e32 v[10:11], s[10:11], v[6:7]
	global_load_b32 v12, v[8:9], off
	s_wait_xcnt 0x0
	v_add_nc_u64_e32 v[8:9], s[12:13], v[6:7]
	global_load_b32 v13, v[10:11], off
	s_wait_xcnt 0x0
	;; [unrolled: 3-line block ×3, first 2 shown]
	v_add_nc_u64_e32 v[8:9], s[16:17], v[6:7]
	global_load_b32 v10, v[10:11], off
	v_add_nc_u64_e32 v[6:7], s[18:19], v[6:7]
	global_load_b32 v11, v[8:9], off
	global_load_b32 v15, v[6:7], off
	s_wait_loadcnt 0x5
	v_add_f32_e32 v5, v5, v12
	s_wait_loadcnt 0x4
	s_delay_alu instid0(VALU_DEP_1) | instskip(SKIP_1) | instid1(VALU_DEP_1)
	v_add_f32_e32 v2, v5, v13
	s_wait_loadcnt 0x3
	v_add_f32_e32 v5, v2, v14
	v_mad_u32 v2, v4, s4, v1
	s_wait_loadcnt 0x2
	s_delay_alu instid0(VALU_DEP_2) | instskip(SKIP_1) | instid1(VALU_DEP_1)
	v_add_f32_e32 v1, v5, v10
	s_wait_loadcnt 0x1
	v_dual_add_f32 v4, v1, v11 :: v_dual_mov_b32 v1, v3
	s_delay_alu instid0(VALU_DEP_3) | instskip(SKIP_1) | instid1(VALU_DEP_2)
	v_lshl_add_u64 v[2:3], v[2:3], 1, s[0:1]
	s_wait_loadcnt 0x0
	v_add_f32_e32 v4, v4, v15
	s_delay_alu instid0(VALU_DEP_2) | instskip(NEXT) | instid1(VALU_DEP_2)
	v_lshl_add_u64 v[0:1], v[0:1], 1, v[2:3]
	v_cvt_f16_f32_e32 v4, v4
	global_store_b16 v[0:1], v4, off
.LBB76_4:
	s_endpgm
	.section	.rodata,"a",@progbits
	.p2align	6, 0x0
	.amdhsa_kernel _ZL19k_bin_bcast_unravelIXadL_ZL6op_addffEE6__halffS0_JPKfS2_S2_S2_S2_S2_EEvPKT0_PKT1_PT2_15HIP_vector_typeIjLj3EESC_SC_jSC_SC_SC_SC_SC_SC_iiiiiiiiiiiDpT3_
		.amdhsa_group_segment_fixed_size 0
		.amdhsa_private_segment_fixed_size 0
		.amdhsa_kernarg_size 488
		.amdhsa_user_sgpr_count 2
		.amdhsa_user_sgpr_dispatch_ptr 0
		.amdhsa_user_sgpr_queue_ptr 0
		.amdhsa_user_sgpr_kernarg_segment_ptr 1
		.amdhsa_user_sgpr_dispatch_id 0
		.amdhsa_user_sgpr_kernarg_preload_length 0
		.amdhsa_user_sgpr_kernarg_preload_offset 0
		.amdhsa_user_sgpr_private_segment_size 0
		.amdhsa_wavefront_size32 1
		.amdhsa_uses_dynamic_stack 0
		.amdhsa_enable_private_segment 0
		.amdhsa_system_sgpr_workgroup_id_x 1
		.amdhsa_system_sgpr_workgroup_id_y 0
		.amdhsa_system_sgpr_workgroup_id_z 0
		.amdhsa_system_sgpr_workgroup_info 0
		.amdhsa_system_vgpr_workitem_id 0
		.amdhsa_next_free_vgpr 16
		.amdhsa_next_free_sgpr 27
		.amdhsa_named_barrier_count 0
		.amdhsa_reserve_vcc 1
		.amdhsa_float_round_mode_32 0
		.amdhsa_float_round_mode_16_64 0
		.amdhsa_float_denorm_mode_32 3
		.amdhsa_float_denorm_mode_16_64 3
		.amdhsa_fp16_overflow 0
		.amdhsa_memory_ordered 1
		.amdhsa_forward_progress 1
		.amdhsa_inst_pref_size 7
		.amdhsa_round_robin_scheduling 0
		.amdhsa_exception_fp_ieee_invalid_op 0
		.amdhsa_exception_fp_denorm_src 0
		.amdhsa_exception_fp_ieee_div_zero 0
		.amdhsa_exception_fp_ieee_overflow 0
		.amdhsa_exception_fp_ieee_underflow 0
		.amdhsa_exception_fp_ieee_inexact 0
		.amdhsa_exception_int_div_zero 0
	.end_amdhsa_kernel
	.section	.text._ZL19k_bin_bcast_unravelIXadL_ZL6op_addffEE6__halffS0_JPKfS2_S2_S2_S2_S2_EEvPKT0_PKT1_PT2_15HIP_vector_typeIjLj3EESC_SC_jSC_SC_SC_SC_SC_SC_iiiiiiiiiiiDpT3_,"axG",@progbits,_ZL19k_bin_bcast_unravelIXadL_ZL6op_addffEE6__halffS0_JPKfS2_S2_S2_S2_S2_EEvPKT0_PKT1_PT2_15HIP_vector_typeIjLj3EESC_SC_jSC_SC_SC_SC_SC_SC_iiiiiiiiiiiDpT3_,comdat
.Lfunc_end76:
	.size	_ZL19k_bin_bcast_unravelIXadL_ZL6op_addffEE6__halffS0_JPKfS2_S2_S2_S2_S2_EEvPKT0_PKT1_PT2_15HIP_vector_typeIjLj3EESC_SC_jSC_SC_SC_SC_SC_SC_iiiiiiiiiiiDpT3_, .Lfunc_end76-_ZL19k_bin_bcast_unravelIXadL_ZL6op_addffEE6__halffS0_JPKfS2_S2_S2_S2_S2_EEvPKT0_PKT1_PT2_15HIP_vector_typeIjLj3EESC_SC_jSC_SC_SC_SC_SC_SC_iiiiiiiiiiiDpT3_
                                        ; -- End function
	.set _ZL19k_bin_bcast_unravelIXadL_ZL6op_addffEE6__halffS0_JPKfS2_S2_S2_S2_S2_EEvPKT0_PKT1_PT2_15HIP_vector_typeIjLj3EESC_SC_jSC_SC_SC_SC_SC_SC_iiiiiiiiiiiDpT3_.num_vgpr, 16
	.set _ZL19k_bin_bcast_unravelIXadL_ZL6op_addffEE6__halffS0_JPKfS2_S2_S2_S2_S2_EEvPKT0_PKT1_PT2_15HIP_vector_typeIjLj3EESC_SC_jSC_SC_SC_SC_SC_SC_iiiiiiiiiiiDpT3_.num_agpr, 0
	.set _ZL19k_bin_bcast_unravelIXadL_ZL6op_addffEE6__halffS0_JPKfS2_S2_S2_S2_S2_EEvPKT0_PKT1_PT2_15HIP_vector_typeIjLj3EESC_SC_jSC_SC_SC_SC_SC_SC_iiiiiiiiiiiDpT3_.numbered_sgpr, 27
	.set _ZL19k_bin_bcast_unravelIXadL_ZL6op_addffEE6__halffS0_JPKfS2_S2_S2_S2_S2_EEvPKT0_PKT1_PT2_15HIP_vector_typeIjLj3EESC_SC_jSC_SC_SC_SC_SC_SC_iiiiiiiiiiiDpT3_.num_named_barrier, 0
	.set _ZL19k_bin_bcast_unravelIXadL_ZL6op_addffEE6__halffS0_JPKfS2_S2_S2_S2_S2_EEvPKT0_PKT1_PT2_15HIP_vector_typeIjLj3EESC_SC_jSC_SC_SC_SC_SC_SC_iiiiiiiiiiiDpT3_.private_seg_size, 0
	.set _ZL19k_bin_bcast_unravelIXadL_ZL6op_addffEE6__halffS0_JPKfS2_S2_S2_S2_S2_EEvPKT0_PKT1_PT2_15HIP_vector_typeIjLj3EESC_SC_jSC_SC_SC_SC_SC_SC_iiiiiiiiiiiDpT3_.uses_vcc, 1
	.set _ZL19k_bin_bcast_unravelIXadL_ZL6op_addffEE6__halffS0_JPKfS2_S2_S2_S2_S2_EEvPKT0_PKT1_PT2_15HIP_vector_typeIjLj3EESC_SC_jSC_SC_SC_SC_SC_SC_iiiiiiiiiiiDpT3_.uses_flat_scratch, 0
	.set _ZL19k_bin_bcast_unravelIXadL_ZL6op_addffEE6__halffS0_JPKfS2_S2_S2_S2_S2_EEvPKT0_PKT1_PT2_15HIP_vector_typeIjLj3EESC_SC_jSC_SC_SC_SC_SC_SC_iiiiiiiiiiiDpT3_.has_dyn_sized_stack, 0
	.set _ZL19k_bin_bcast_unravelIXadL_ZL6op_addffEE6__halffS0_JPKfS2_S2_S2_S2_S2_EEvPKT0_PKT1_PT2_15HIP_vector_typeIjLj3EESC_SC_jSC_SC_SC_SC_SC_SC_iiiiiiiiiiiDpT3_.has_recursion, 0
	.set _ZL19k_bin_bcast_unravelIXadL_ZL6op_addffEE6__halffS0_JPKfS2_S2_S2_S2_S2_EEvPKT0_PKT1_PT2_15HIP_vector_typeIjLj3EESC_SC_jSC_SC_SC_SC_SC_SC_iiiiiiiiiiiDpT3_.has_indirect_call, 0
	.section	.AMDGPU.csdata,"",@progbits
; Kernel info:
; codeLenInByte = 892
; TotalNumSgprs: 29
; NumVgprs: 16
; ScratchSize: 0
; MemoryBound: 0
; FloatMode: 240
; IeeeMode: 1
; LDSByteSize: 0 bytes/workgroup (compile time only)
; SGPRBlocks: 0
; VGPRBlocks: 0
; NumSGPRsForWavesPerEU: 29
; NumVGPRsForWavesPerEU: 16
; NamedBarCnt: 0
; Occupancy: 16
; WaveLimiterHint : 1
; COMPUTE_PGM_RSRC2:SCRATCH_EN: 0
; COMPUTE_PGM_RSRC2:USER_SGPR: 2
; COMPUTE_PGM_RSRC2:TRAP_HANDLER: 0
; COMPUTE_PGM_RSRC2:TGID_X_EN: 1
; COMPUTE_PGM_RSRC2:TGID_Y_EN: 0
; COMPUTE_PGM_RSRC2:TGID_Z_EN: 0
; COMPUTE_PGM_RSRC2:TIDIG_COMP_CNT: 0
	.section	.text._ZL11k_bin_bcastIXadL_ZL6op_addffEE6__halffS0_JPKfS2_S2_S2_S2_S2_EEvPKT0_PKT1_PT2_iii15HIP_vector_typeIjLj3EESC_SC_SC_SC_iiiiiiiiiiiDpT3_,"axG",@progbits,_ZL11k_bin_bcastIXadL_ZL6op_addffEE6__halffS0_JPKfS2_S2_S2_S2_S2_EEvPKT0_PKT1_PT2_iii15HIP_vector_typeIjLj3EESC_SC_SC_SC_iiiiiiiiiiiDpT3_,comdat
	.globl	_ZL11k_bin_bcastIXadL_ZL6op_addffEE6__halffS0_JPKfS2_S2_S2_S2_S2_EEvPKT0_PKT1_PT2_iii15HIP_vector_typeIjLj3EESC_SC_SC_SC_iiiiiiiiiiiDpT3_ ; -- Begin function _ZL11k_bin_bcastIXadL_ZL6op_addffEE6__halffS0_JPKfS2_S2_S2_S2_S2_EEvPKT0_PKT1_PT2_iii15HIP_vector_typeIjLj3EESC_SC_SC_SC_iiiiiiiiiiiDpT3_
	.p2align	8
	.type	_ZL11k_bin_bcastIXadL_ZL6op_addffEE6__halffS0_JPKfS2_S2_S2_S2_S2_EEvPKT0_PKT1_PT2_iii15HIP_vector_typeIjLj3EESC_SC_SC_SC_iiiiiiiiiiiDpT3_,@function
_ZL11k_bin_bcastIXadL_ZL6op_addffEE6__halffS0_JPKfS2_S2_S2_S2_S2_EEvPKT0_PKT1_PT2_iii15HIP_vector_typeIjLj3EESC_SC_SC_SC_iiiiiiiiiiiDpT3_: ; @_ZL11k_bin_bcastIXadL_ZL6op_addffEE6__halffS0_JPKfS2_S2_S2_S2_S2_EEvPKT0_PKT1_PT2_iii15HIP_vector_typeIjLj3EESC_SC_SC_SC_iiiiiiiiiiiDpT3_
; %bb.0:
	s_load_b64 s[2:3], s[0:1], 0xcc
	s_bfe_u32 s5, ttmp6, 0x40014
	s_bfe_u32 s16, ttmp6, 0x40010
	;; [unrolled: 1-line block ×3, first 2 shown]
	s_lshr_b32 s4, ttmp7, 16
	s_add_co_i32 s5, s5, 1
	s_and_b32 s7, ttmp7, 0xffff
	s_load_b256 s[8:15], s[0:1], 0x18
	s_add_co_i32 s16, s16, 1
	s_add_co_i32 s19, s19, 1
	s_bfe_u32 s6, ttmp6, 0x40008
	s_mul_i32 s5, s4, s5
	s_bfe_u32 s17, ttmp6, 0x40004
	s_and_b32 s18, ttmp6, 15
	s_mul_i32 s16, s7, s16
	s_mul_i32 s19, ttmp9, s19
	s_add_co_i32 s6, s6, s5
	s_add_co_i32 s17, s17, s16
	;; [unrolled: 1-line block ×3, first 2 shown]
	v_bfe_u32 v1, v0, 20, 10
	s_wait_kmcnt 0x0
	s_lshr_b32 s5, s2, 16
	s_and_b32 s33, s2, 0xffff
	s_getreg_b32 s2, hwreg(HW_REG_IB_STS2, 6, 4)
	s_and_b32 s3, s3, 0xffff
	s_cmp_eq_u32 s2, 0
	v_and_b32_e32 v2, 0x3ff, v0
	s_cselect_b32 s2, s4, s6
	v_bfe_u32 v4, v0, 10, 10
	v_mad_u32 v3, s2, s3, v1
	s_cselect_b32 s2, ttmp9, s18
	s_cselect_b32 s3, s7, s17
	v_mad_u32 v0, s2, s33, v2
	v_mad_u32 v2, s3, s5, v4
	s_delay_alu instid0(VALU_DEP_3) | instskip(NEXT) | instid1(VALU_DEP_3)
	v_mul_hi_u32 v1, v3, s11
	v_cmp_gt_u32_e32 vcc_lo, s8, v0
	s_delay_alu instid0(VALU_DEP_3) | instskip(SKIP_2) | instid1(VALU_DEP_1)
	v_cmp_gt_u32_e64 s2, s9, v2
	s_and_b32 s2, vcc_lo, s2
	v_add_nc_u32_e32 v1, v3, v1
	v_lshrrev_b32_e32 v1, s12, v1
	s_delay_alu instid0(VALU_DEP_1) | instskip(SKIP_3) | instid1(VALU_DEP_1)
	v_mul_lo_u32 v5, v1, s13
	v_cmp_gt_u32_e64 s3, s10, v1
	s_and_b32 s2, s2, s3
	v_sub_nc_u32_e32 v3, v3, v5
	v_cmp_gt_u32_e64 s4, s13, v3
	s_and_b32 s2, s2, s4
	s_delay_alu instid0(SALU_CYCLE_1)
	s_and_saveexec_b32 s3, s2
	s_cbranch_execz .LBB77_6
; %bb.1:
	v_cmp_gt_i32_e32 vcc_lo, s8, v0
	s_and_b32 exec_lo, exec_lo, vcc_lo
	s_cbranch_execz .LBB77_6
; %bb.2:
	s_clause 0x3
	s_load_b256 s[24:31], s[0:1], 0x3c
	s_load_b32 s2, s[0:1], 0x5c
	s_load_b256 s[16:23], s[0:1], 0x60
	s_load_b96 s[36:38], s[0:1], 0x80
	s_add_nc_u64 s[4:5], s[0:1], 0xc0
	s_load_b32 s9, s[4:5], 0x0
	s_load_b32 s12, s[0:1], 0x38
	s_wait_xcnt 0x0
	s_clause 0x1
	s_load_b128 s[4:7], s[0:1], 0xb0
	s_load_b64 s[10:11], s[0:1], 0x10
	s_wait_kmcnt 0x0
	v_mul_hi_u32 v4, s30, v3
	v_mul_hi_u32 v5, s27, v1
	;; [unrolled: 1-line block ×3, first 2 shown]
	v_mul_lo_u32 v7, v2, s20
	v_mul_lo_u32 v8, v2, s16
	s_delay_alu instid0(VALU_DEP_4) | instskip(NEXT) | instid1(VALU_DEP_3)
	v_dual_add_nc_u32 v4, v3, v4 :: v_dual_add_nc_u32 v5, v1, v5
	v_mad_u32 v7, v1, s21, v7
	s_delay_alu instid0(VALU_DEP_3) | instskip(NEXT) | instid1(VALU_DEP_3)
	v_mad_u32 v8, v1, s17, v8
	v_dual_lshrrev_b32 v4, s31, v4 :: v_dual_lshrrev_b32 v5, s28, v5
	s_delay_alu instid0(VALU_DEP_1) | instskip(SKIP_1) | instid1(VALU_DEP_3)
	v_mul_lo_u32 v4, v4, s2
	v_add_nc_u32_e32 v6, v2, v6
	v_mul_lo_u32 v5, v5, s29
	s_load_b64 s[2:3], s[0:1], 0x0
	v_mad_u32 v8, v3, s18, v8
	s_delay_alu instid0(VALU_DEP_3) | instskip(NEXT) | instid1(VALU_DEP_3)
	v_dual_sub_nc_u32 v4, v3, v4 :: v_dual_lshrrev_b32 v6, s25, v6
	v_sub_nc_u32_e32 v5, v1, v5
	s_delay_alu instid0(VALU_DEP_2) | instskip(NEXT) | instid1(VALU_DEP_3)
	v_mul_lo_u32 v9, v4, s38
	v_mul_lo_u32 v6, v6, s26
	v_mad_u32 v4, v3, s22, v7
	s_load_b256 s[24:31], s[0:1], 0x90
	v_mov_b32_e32 v1, 0
	s_wait_xcnt 0x0
	s_mov_b32 s1, 0
	s_mov_b32 s0, s14
	s_wait_kmcnt 0x0
	s_cmp_lg_u64 s[2:3], 0
	s_delay_alu instid0(VALU_DEP_4) | instskip(NEXT) | instid1(VALU_DEP_4)
	v_mad_u32 v7, v5, s37, v9
	v_sub_nc_u32_e32 v2, v2, v6
	v_mul_lo_u32 v6, s19, v0
	v_dual_mov_b32 v5, v1 :: v_dual_mov_b32 v9, v1
	v_mov_b32_e32 v3, v1
	s_delay_alu instid0(VALU_DEP_2) | instskip(NEXT) | instid1(VALU_DEP_3)
	v_lshl_add_u64 v[4:5], v[4:5], 1, s[2:3]
	v_lshl_add_u64 v[8:9], v[8:9], 1, s[10:11]
	s_mul_i32 s2, s9, s33
	v_mad_u32 v2, v2, s36, v7
	s_cselect_b32 s3, -1, 0
	s_mul_i32 s9, s2, s19
	s_sub_co_i32 s10, 0, s12
	s_mov_b32 s11, s1
	s_branch .LBB77_4
.LBB77_3:                               ;   in Loop: Header=BB77_4 Depth=1
	s_wait_xcnt 0x0
	v_mul_u64_e32 v[10:11], s[0:1], v[0:1]
	s_delay_alu instid0(VALU_DEP_1) | instskip(NEXT) | instid1(VALU_DEP_1)
	v_dual_add_nc_u32 v6, s9, v6 :: v_dual_add_nc_u32 v10, v0, v11
	v_dual_mov_b32 v11, v1 :: v_dual_lshrrev_b32 v10, s15, v10
	s_delay_alu instid0(VALU_DEP_1) | instskip(NEXT) | instid1(VALU_DEP_1)
	v_mad_u32 v10, s10, v10, v0
	v_mul_lo_u32 v10, v10, s23
	s_delay_alu instid0(VALU_DEP_1) | instskip(NEXT) | instid1(VALU_DEP_1)
	v_add_nc_u64_e32 v[10:11], v[10:11], v[2:3]
	v_lshlrev_b64_e32 v[10:11], 2, v[10:11]
	s_delay_alu instid0(VALU_DEP_1)
	v_add_nc_u64_e32 v[12:13], s[24:25], v[10:11]
	v_add_nc_u64_e32 v[14:15], s[26:27], v[10:11]
	global_load_b32 v16, v[12:13], off
	s_wait_xcnt 0x0
	v_add_nc_u64_e32 v[12:13], s[28:29], v[10:11]
	global_load_b32 v17, v[14:15], off
	s_wait_xcnt 0x0
	;; [unrolled: 3-line block ×3, first 2 shown]
	v_add_nc_u64_e32 v[12:13], s[4:5], v[10:11]
	global_load_b32 v14, v[14:15], off
	v_add_nc_u64_e32 v[10:11], s[6:7], v[10:11]
	global_load_b32 v15, v[12:13], off
	global_load_b32 v19, v[10:11], off
	s_wait_xcnt 0x0
	v_dual_mov_b32 v10, v0 :: v_dual_ashrrev_i32 v11, 31, v0
	v_add_nc_u32_e32 v0, s2, v0
	s_delay_alu instid0(VALU_DEP_2) | instskip(NEXT) | instid1(VALU_DEP_2)
	v_lshl_add_u64 v[10:11], v[10:11], 1, v[8:9]
	v_cmp_le_i32_e32 vcc_lo, s8, v0
	s_or_b32 s11, vcc_lo, s11
	s_wait_loadcnt 0x5
	v_add_f32_e32 v7, v7, v16
	s_wait_loadcnt 0x4
	s_delay_alu instid0(VALU_DEP_1) | instskip(SKIP_1) | instid1(VALU_DEP_1)
	v_add_f32_e32 v7, v7, v17
	s_wait_loadcnt 0x3
	v_add_f32_e32 v7, v7, v18
	s_wait_loadcnt 0x2
	s_delay_alu instid0(VALU_DEP_1) | instskip(SKIP_1) | instid1(VALU_DEP_1)
	v_add_f32_e32 v7, v7, v14
	s_wait_loadcnt 0x1
	v_add_f32_e32 v7, v7, v15
	s_wait_loadcnt 0x0
	s_delay_alu instid0(VALU_DEP_1) | instskip(NEXT) | instid1(VALU_DEP_1)
	v_add_f32_e32 v7, v7, v19
	v_cvt_f16_f32_e32 v7, v7
	global_store_b16 v[10:11], v7, off
	s_wait_xcnt 0x0
	s_and_not1_b32 exec_lo, exec_lo, s11
	s_cbranch_execz .LBB77_6
.LBB77_4:                               ; =>This Inner Loop Header: Depth=1
	v_mov_b32_e32 v7, 0
	s_and_not1_b32 vcc_lo, exec_lo, s3
	s_cbranch_vccnz .LBB77_3
; %bb.5:                                ;   in Loop: Header=BB77_4 Depth=1
	v_ashrrev_i32_e32 v7, 31, v6
	s_delay_alu instid0(VALU_DEP_1)
	v_lshl_add_u64 v[10:11], v[6:7], 1, v[4:5]
	global_load_u16 v7, v[10:11], off
	s_wait_loadcnt 0x0
	v_cvt_f32_f16_e32 v7, v7
	s_branch .LBB77_3
.LBB77_6:
	s_endpgm
	.section	.rodata,"a",@progbits
	.p2align	6, 0x0
	.amdhsa_kernel _ZL11k_bin_bcastIXadL_ZL6op_addffEE6__halffS0_JPKfS2_S2_S2_S2_S2_EEvPKT0_PKT1_PT2_iii15HIP_vector_typeIjLj3EESC_SC_SC_SC_iiiiiiiiiiiDpT3_
		.amdhsa_group_segment_fixed_size 0
		.amdhsa_private_segment_fixed_size 0
		.amdhsa_kernarg_size 448
		.amdhsa_user_sgpr_count 2
		.amdhsa_user_sgpr_dispatch_ptr 0
		.amdhsa_user_sgpr_queue_ptr 0
		.amdhsa_user_sgpr_kernarg_segment_ptr 1
		.amdhsa_user_sgpr_dispatch_id 0
		.amdhsa_user_sgpr_kernarg_preload_length 0
		.amdhsa_user_sgpr_kernarg_preload_offset 0
		.amdhsa_user_sgpr_private_segment_size 0
		.amdhsa_wavefront_size32 1
		.amdhsa_uses_dynamic_stack 0
		.amdhsa_enable_private_segment 0
		.amdhsa_system_sgpr_workgroup_id_x 1
		.amdhsa_system_sgpr_workgroup_id_y 1
		.amdhsa_system_sgpr_workgroup_id_z 1
		.amdhsa_system_sgpr_workgroup_info 0
		.amdhsa_system_vgpr_workitem_id 2
		.amdhsa_next_free_vgpr 20
		.amdhsa_next_free_sgpr 39
		.amdhsa_named_barrier_count 0
		.amdhsa_reserve_vcc 1
		.amdhsa_float_round_mode_32 0
		.amdhsa_float_round_mode_16_64 0
		.amdhsa_float_denorm_mode_32 3
		.amdhsa_float_denorm_mode_16_64 3
		.amdhsa_fp16_overflow 0
		.amdhsa_memory_ordered 1
		.amdhsa_forward_progress 1
		.amdhsa_inst_pref_size 9
		.amdhsa_round_robin_scheduling 0
		.amdhsa_exception_fp_ieee_invalid_op 0
		.amdhsa_exception_fp_denorm_src 0
		.amdhsa_exception_fp_ieee_div_zero 0
		.amdhsa_exception_fp_ieee_overflow 0
		.amdhsa_exception_fp_ieee_underflow 0
		.amdhsa_exception_fp_ieee_inexact 0
		.amdhsa_exception_int_div_zero 0
	.end_amdhsa_kernel
	.section	.text._ZL11k_bin_bcastIXadL_ZL6op_addffEE6__halffS0_JPKfS2_S2_S2_S2_S2_EEvPKT0_PKT1_PT2_iii15HIP_vector_typeIjLj3EESC_SC_SC_SC_iiiiiiiiiiiDpT3_,"axG",@progbits,_ZL11k_bin_bcastIXadL_ZL6op_addffEE6__halffS0_JPKfS2_S2_S2_S2_S2_EEvPKT0_PKT1_PT2_iii15HIP_vector_typeIjLj3EESC_SC_SC_SC_iiiiiiiiiiiDpT3_,comdat
.Lfunc_end77:
	.size	_ZL11k_bin_bcastIXadL_ZL6op_addffEE6__halffS0_JPKfS2_S2_S2_S2_S2_EEvPKT0_PKT1_PT2_iii15HIP_vector_typeIjLj3EESC_SC_SC_SC_iiiiiiiiiiiDpT3_, .Lfunc_end77-_ZL11k_bin_bcastIXadL_ZL6op_addffEE6__halffS0_JPKfS2_S2_S2_S2_S2_EEvPKT0_PKT1_PT2_iii15HIP_vector_typeIjLj3EESC_SC_SC_SC_iiiiiiiiiiiDpT3_
                                        ; -- End function
	.set _ZL11k_bin_bcastIXadL_ZL6op_addffEE6__halffS0_JPKfS2_S2_S2_S2_S2_EEvPKT0_PKT1_PT2_iii15HIP_vector_typeIjLj3EESC_SC_SC_SC_iiiiiiiiiiiDpT3_.num_vgpr, 20
	.set _ZL11k_bin_bcastIXadL_ZL6op_addffEE6__halffS0_JPKfS2_S2_S2_S2_S2_EEvPKT0_PKT1_PT2_iii15HIP_vector_typeIjLj3EESC_SC_SC_SC_iiiiiiiiiiiDpT3_.num_agpr, 0
	.set _ZL11k_bin_bcastIXadL_ZL6op_addffEE6__halffS0_JPKfS2_S2_S2_S2_S2_EEvPKT0_PKT1_PT2_iii15HIP_vector_typeIjLj3EESC_SC_SC_SC_iiiiiiiiiiiDpT3_.numbered_sgpr, 39
	.set _ZL11k_bin_bcastIXadL_ZL6op_addffEE6__halffS0_JPKfS2_S2_S2_S2_S2_EEvPKT0_PKT1_PT2_iii15HIP_vector_typeIjLj3EESC_SC_SC_SC_iiiiiiiiiiiDpT3_.num_named_barrier, 0
	.set _ZL11k_bin_bcastIXadL_ZL6op_addffEE6__halffS0_JPKfS2_S2_S2_S2_S2_EEvPKT0_PKT1_PT2_iii15HIP_vector_typeIjLj3EESC_SC_SC_SC_iiiiiiiiiiiDpT3_.private_seg_size, 0
	.set _ZL11k_bin_bcastIXadL_ZL6op_addffEE6__halffS0_JPKfS2_S2_S2_S2_S2_EEvPKT0_PKT1_PT2_iii15HIP_vector_typeIjLj3EESC_SC_SC_SC_iiiiiiiiiiiDpT3_.uses_vcc, 1
	.set _ZL11k_bin_bcastIXadL_ZL6op_addffEE6__halffS0_JPKfS2_S2_S2_S2_S2_EEvPKT0_PKT1_PT2_iii15HIP_vector_typeIjLj3EESC_SC_SC_SC_iiiiiiiiiiiDpT3_.uses_flat_scratch, 0
	.set _ZL11k_bin_bcastIXadL_ZL6op_addffEE6__halffS0_JPKfS2_S2_S2_S2_S2_EEvPKT0_PKT1_PT2_iii15HIP_vector_typeIjLj3EESC_SC_SC_SC_iiiiiiiiiiiDpT3_.has_dyn_sized_stack, 0
	.set _ZL11k_bin_bcastIXadL_ZL6op_addffEE6__halffS0_JPKfS2_S2_S2_S2_S2_EEvPKT0_PKT1_PT2_iii15HIP_vector_typeIjLj3EESC_SC_SC_SC_iiiiiiiiiiiDpT3_.has_recursion, 0
	.set _ZL11k_bin_bcastIXadL_ZL6op_addffEE6__halffS0_JPKfS2_S2_S2_S2_S2_EEvPKT0_PKT1_PT2_iii15HIP_vector_typeIjLj3EESC_SC_SC_SC_iiiiiiiiiiiDpT3_.has_indirect_call, 0
	.section	.AMDGPU.csdata,"",@progbits
; Kernel info:
; codeLenInByte = 1048
; TotalNumSgprs: 41
; NumVgprs: 20
; ScratchSize: 0
; MemoryBound: 0
; FloatMode: 240
; IeeeMode: 1
; LDSByteSize: 0 bytes/workgroup (compile time only)
; SGPRBlocks: 0
; VGPRBlocks: 1
; NumSGPRsForWavesPerEU: 41
; NumVGPRsForWavesPerEU: 20
; NamedBarCnt: 0
; Occupancy: 16
; WaveLimiterHint : 1
; COMPUTE_PGM_RSRC2:SCRATCH_EN: 0
; COMPUTE_PGM_RSRC2:USER_SGPR: 2
; COMPUTE_PGM_RSRC2:TRAP_HANDLER: 0
; COMPUTE_PGM_RSRC2:TGID_X_EN: 1
; COMPUTE_PGM_RSRC2:TGID_Y_EN: 1
; COMPUTE_PGM_RSRC2:TGID_Z_EN: 1
; COMPUTE_PGM_RSRC2:TIDIG_COMP_CNT: 2
	.section	.text._ZL19k_bin_bcast_unravelIXadL_ZL6op_addffEE6__halfffJPKfS2_S2_S2_S2_S2_EEvPKT0_PKT1_PT2_15HIP_vector_typeIjLj3EESC_SC_jSC_SC_SC_SC_SC_SC_iiiiiiiiiiiDpT3_,"axG",@progbits,_ZL19k_bin_bcast_unravelIXadL_ZL6op_addffEE6__halfffJPKfS2_S2_S2_S2_S2_EEvPKT0_PKT1_PT2_15HIP_vector_typeIjLj3EESC_SC_jSC_SC_SC_SC_SC_SC_iiiiiiiiiiiDpT3_,comdat
	.globl	_ZL19k_bin_bcast_unravelIXadL_ZL6op_addffEE6__halfffJPKfS2_S2_S2_S2_S2_EEvPKT0_PKT1_PT2_15HIP_vector_typeIjLj3EESC_SC_jSC_SC_SC_SC_SC_SC_iiiiiiiiiiiDpT3_ ; -- Begin function _ZL19k_bin_bcast_unravelIXadL_ZL6op_addffEE6__halfffJPKfS2_S2_S2_S2_S2_EEvPKT0_PKT1_PT2_15HIP_vector_typeIjLj3EESC_SC_jSC_SC_SC_SC_SC_SC_iiiiiiiiiiiDpT3_
	.p2align	8
	.type	_ZL19k_bin_bcast_unravelIXadL_ZL6op_addffEE6__halfffJPKfS2_S2_S2_S2_S2_EEvPKT0_PKT1_PT2_15HIP_vector_typeIjLj3EESC_SC_jSC_SC_SC_SC_SC_SC_iiiiiiiiiiiDpT3_,@function
_ZL19k_bin_bcast_unravelIXadL_ZL6op_addffEE6__halfffJPKfS2_S2_S2_S2_S2_EEvPKT0_PKT1_PT2_15HIP_vector_typeIjLj3EESC_SC_jSC_SC_SC_SC_SC_SC_iiiiiiiiiiiDpT3_: ; @_ZL19k_bin_bcast_unravelIXadL_ZL6op_addffEE6__halfffJPKfS2_S2_S2_S2_S2_EEvPKT0_PKT1_PT2_15HIP_vector_typeIjLj3EESC_SC_jSC_SC_SC_SC_SC_SC_iiiiiiiiiiiDpT3_
; %bb.0:
	s_load_b32 s2, s[0:1], 0xf4
	s_bfe_u32 s3, ttmp6, 0x4000c
	s_load_b256 s[4:11], s[0:1], 0x38
	s_add_co_i32 s3, s3, 1
	s_and_b32 s12, ttmp6, 15
	s_mul_i32 s3, ttmp9, s3
	s_getreg_b32 s13, hwreg(HW_REG_IB_STS2, 6, 4)
	s_add_co_i32 s12, s12, s3
	s_wait_kmcnt 0x0
	s_and_b32 s2, s2, 0xffff
	s_cmp_eq_u32 s13, 0
	s_cselect_b32 s3, ttmp9, s12
	s_delay_alu instid0(SALU_CYCLE_1) | instskip(SKIP_1) | instid1(VALU_DEP_1)
	v_mad_u32 v0, s3, s2, v0
	s_load_b32 s2, s[0:1], 0x2c
	v_mul_hi_u32 v1, v0, s6
	s_delay_alu instid0(VALU_DEP_1) | instskip(NEXT) | instid1(VALU_DEP_1)
	v_add_nc_u32_e32 v1, v0, v1
	v_lshrrev_b32_e32 v1, s7, v1
	s_delay_alu instid0(VALU_DEP_1) | instskip(NEXT) | instid1(VALU_DEP_1)
	v_mul_lo_u32 v2, v1, s8
	v_sub_nc_u32_e32 v0, v0, v2
	s_delay_alu instid0(VALU_DEP_1) | instskip(NEXT) | instid1(VALU_DEP_1)
	v_mul_hi_u32 v2, v0, s9
	v_add_nc_u32_e32 v2, v0, v2
	s_delay_alu instid0(VALU_DEP_1) | instskip(SKIP_1) | instid1(VALU_DEP_1)
	v_lshrrev_b32_e32 v2, s10, v2
	s_load_b96 s[8:10], s[0:1], 0x18
	v_mul_lo_u32 v3, v2, s11
	s_delay_alu instid0(VALU_DEP_1) | instskip(SKIP_3) | instid1(VALU_DEP_3)
	v_sub_nc_u32_e32 v0, v0, v3
	v_cmp_gt_u32_e64 s3, s4, v2
	v_cmp_gt_u32_e64 s4, s5, v1
	s_wait_kmcnt 0x0
	v_mul_hi_u32 v3, v0, s8
	s_delay_alu instid0(VALU_DEP_1) | instskip(NEXT) | instid1(VALU_DEP_1)
	v_add_nc_u32_e32 v3, v0, v3
	v_lshrrev_b32_e32 v4, s9, v3
	s_delay_alu instid0(VALU_DEP_1) | instskip(NEXT) | instid1(VALU_DEP_1)
	v_mul_lo_u32 v3, v4, s10
	v_sub_nc_u32_e32 v0, v0, v3
	v_cmp_gt_u32_e64 s2, s2, v4
	s_delay_alu instid0(VALU_DEP_2) | instskip(SKIP_1) | instid1(SALU_CYCLE_1)
	v_cmp_gt_u32_e32 vcc_lo, s10, v0
	s_and_b32 s2, vcc_lo, s2
	s_and_b32 s2, s2, s3
	s_delay_alu instid0(SALU_CYCLE_1) | instskip(NEXT) | instid1(SALU_CYCLE_1)
	s_and_b32 s2, s4, s2
	s_and_saveexec_b32 s3, s2
	s_cbranch_execz .LBB78_4
; %bb.1:
	s_clause 0x4
	s_load_b64 s[2:3], s[0:1], 0x0
	s_load_b96 s[24:26], s[0:1], 0xa8
	s_load_b256 s[4:11], s[0:1], 0x88
	s_load_b128 s[20:23], s[0:1], 0x78
	s_load_b256 s[12:19], s[0:1], 0x58
	v_dual_mov_b32 v3, 0 :: v_dual_mov_b32 v5, 0
	s_wait_kmcnt 0x0
	s_cmp_eq_u64 s[2:3], 0
	s_cbranch_scc1 .LBB78_3
; %bb.2:
	v_mul_lo_u32 v5, v1, s10
	v_mov_b32_e32 v7, 0
	s_delay_alu instid0(VALU_DEP_2) | instskip(NEXT) | instid1(VALU_DEP_1)
	v_mad_u32 v5, v2, s9, v5
	v_mad_u32 v6, v4, s8, v5
	s_delay_alu instid0(VALU_DEP_1) | instskip(SKIP_1) | instid1(VALU_DEP_1)
	v_lshl_add_u64 v[8:9], v[6:7], 1, s[2:3]
	v_mul_lo_u32 v6, v0, s7
	v_lshl_add_u64 v[6:7], v[6:7], 1, v[8:9]
	global_load_u16 v5, v[6:7], off
	s_wait_loadcnt 0x0
	v_cvt_f32_f16_e32 v5, v5
.LBB78_3:
	v_mul_hi_u32 v6, s21, v1
	v_mul_hi_u32 v7, s18, v2
	;; [unrolled: 1-line block ×4, first 2 shown]
	s_delay_alu instid0(VALU_DEP_3) | instskip(NEXT) | instid1(VALU_DEP_1)
	v_dual_add_nc_u32 v6, v1, v6 :: v_dual_add_nc_u32 v7, v2, v7
	v_dual_lshrrev_b32 v6, s22, v6 :: v_dual_lshrrev_b32 v7, s19, v7
	s_delay_alu instid0(VALU_DEP_1) | instskip(SKIP_1) | instid1(VALU_DEP_3)
	v_mul_lo_u32 v6, v6, s23
	v_add_nc_u32_e32 v8, v4, v8
	v_mul_lo_u32 v7, v7, s20
	s_delay_alu instid0(VALU_DEP_3) | instskip(NEXT) | instid1(VALU_DEP_3)
	v_dual_sub_nc_u32 v6, v1, v6 :: v_dual_add_nc_u32 v9, v0, v9
	v_lshrrev_b32_e32 v8, s16, v8
	v_mul_lo_u32 v1, v1, s6
	s_delay_alu instid0(VALU_DEP_4) | instskip(NEXT) | instid1(VALU_DEP_4)
	v_sub_nc_u32_e32 v7, v2, v7
	v_mul_lo_u32 v6, v6, s26
	v_lshrrev_b32_e32 v9, s13, v9
	v_mul_lo_u32 v8, v8, s17
	s_load_b128 s[16:19], s[0:1], 0xd8
	s_delay_alu instid0(VALU_DEP_2) | instskip(SKIP_2) | instid1(VALU_DEP_4)
	v_mul_lo_u32 v9, v9, s14
	v_mad_u32 v1, v2, s5, v1
	v_mad_u32 v7, v7, s25, v6
	v_sub_nc_u32_e32 v8, v4, v8
	s_delay_alu instid0(VALU_DEP_1) | instskip(NEXT) | instid1(VALU_DEP_1)
	v_mad_u32 v8, v8, s24, v7
	v_dual_sub_nc_u32 v6, v0, v9 :: v_dual_ashrrev_i32 v9, 31, v8
	s_delay_alu instid0(VALU_DEP_1) | instskip(SKIP_1) | instid1(VALU_DEP_1)
	v_mul_lo_u32 v6, v6, s11
	s_load_b256 s[8:15], s[0:1], 0xb8
	v_ashrrev_i32_e32 v7, 31, v6
	s_wait_xcnt 0x0
	s_load_b64 s[0:1], s[0:1], 0x10
	s_delay_alu instid0(VALU_DEP_1) | instskip(NEXT) | instid1(VALU_DEP_1)
	v_add_nc_u64_e32 v[6:7], v[6:7], v[8:9]
	v_lshlrev_b64_e32 v[6:7], 2, v[6:7]
	s_wait_kmcnt 0x0
	s_delay_alu instid0(VALU_DEP_1)
	v_add_nc_u64_e32 v[8:9], s[8:9], v[6:7]
	v_add_nc_u64_e32 v[10:11], s[10:11], v[6:7]
	global_load_b32 v12, v[8:9], off
	s_wait_xcnt 0x0
	v_add_nc_u64_e32 v[8:9], s[12:13], v[6:7]
	global_load_b32 v13, v[10:11], off
	s_wait_xcnt 0x0
	;; [unrolled: 3-line block ×3, first 2 shown]
	v_add_nc_u64_e32 v[8:9], s[16:17], v[6:7]
	global_load_b32 v10, v[10:11], off
	v_add_nc_u64_e32 v[6:7], s[18:19], v[6:7]
	global_load_b32 v11, v[8:9], off
	global_load_b32 v15, v[6:7], off
	s_wait_loadcnt 0x5
	v_add_f32_e32 v2, v5, v12
	s_wait_loadcnt 0x4
	s_delay_alu instid0(VALU_DEP_1) | instskip(SKIP_2) | instid1(VALU_DEP_2)
	v_add_f32_e32 v5, v2, v13
	v_mad_u32 v2, v4, s4, v1
	s_wait_loadcnt 0x3
	v_add_f32_e32 v1, v5, v14
	s_wait_loadcnt 0x2
	s_delay_alu instid0(VALU_DEP_1) | instskip(NEXT) | instid1(VALU_DEP_3)
	v_dual_add_f32 v4, v1, v10 :: v_dual_mov_b32 v1, v3
	v_lshl_add_u64 v[2:3], v[2:3], 2, s[0:1]
	s_wait_loadcnt 0x1
	s_delay_alu instid0(VALU_DEP_2) | instskip(NEXT) | instid1(VALU_DEP_2)
	v_add_f32_e32 v4, v4, v11
	v_lshl_add_u64 v[0:1], v[0:1], 2, v[2:3]
	s_wait_loadcnt 0x0
	s_delay_alu instid0(VALU_DEP_2)
	v_add_f32_e32 v4, v4, v15
	global_store_b32 v[0:1], v4, off
.LBB78_4:
	s_endpgm
	.section	.rodata,"a",@progbits
	.p2align	6, 0x0
	.amdhsa_kernel _ZL19k_bin_bcast_unravelIXadL_ZL6op_addffEE6__halfffJPKfS2_S2_S2_S2_S2_EEvPKT0_PKT1_PT2_15HIP_vector_typeIjLj3EESC_SC_jSC_SC_SC_SC_SC_SC_iiiiiiiiiiiDpT3_
		.amdhsa_group_segment_fixed_size 0
		.amdhsa_private_segment_fixed_size 0
		.amdhsa_kernarg_size 488
		.amdhsa_user_sgpr_count 2
		.amdhsa_user_sgpr_dispatch_ptr 0
		.amdhsa_user_sgpr_queue_ptr 0
		.amdhsa_user_sgpr_kernarg_segment_ptr 1
		.amdhsa_user_sgpr_dispatch_id 0
		.amdhsa_user_sgpr_kernarg_preload_length 0
		.amdhsa_user_sgpr_kernarg_preload_offset 0
		.amdhsa_user_sgpr_private_segment_size 0
		.amdhsa_wavefront_size32 1
		.amdhsa_uses_dynamic_stack 0
		.amdhsa_enable_private_segment 0
		.amdhsa_system_sgpr_workgroup_id_x 1
		.amdhsa_system_sgpr_workgroup_id_y 0
		.amdhsa_system_sgpr_workgroup_id_z 0
		.amdhsa_system_sgpr_workgroup_info 0
		.amdhsa_system_vgpr_workitem_id 0
		.amdhsa_next_free_vgpr 16
		.amdhsa_next_free_sgpr 27
		.amdhsa_named_barrier_count 0
		.amdhsa_reserve_vcc 1
		.amdhsa_float_round_mode_32 0
		.amdhsa_float_round_mode_16_64 0
		.amdhsa_float_denorm_mode_32 3
		.amdhsa_float_denorm_mode_16_64 3
		.amdhsa_fp16_overflow 0
		.amdhsa_memory_ordered 1
		.amdhsa_forward_progress 1
		.amdhsa_inst_pref_size 7
		.amdhsa_round_robin_scheduling 0
		.amdhsa_exception_fp_ieee_invalid_op 0
		.amdhsa_exception_fp_denorm_src 0
		.amdhsa_exception_fp_ieee_div_zero 0
		.amdhsa_exception_fp_ieee_overflow 0
		.amdhsa_exception_fp_ieee_underflow 0
		.amdhsa_exception_fp_ieee_inexact 0
		.amdhsa_exception_int_div_zero 0
	.end_amdhsa_kernel
	.section	.text._ZL19k_bin_bcast_unravelIXadL_ZL6op_addffEE6__halfffJPKfS2_S2_S2_S2_S2_EEvPKT0_PKT1_PT2_15HIP_vector_typeIjLj3EESC_SC_jSC_SC_SC_SC_SC_SC_iiiiiiiiiiiDpT3_,"axG",@progbits,_ZL19k_bin_bcast_unravelIXadL_ZL6op_addffEE6__halfffJPKfS2_S2_S2_S2_S2_EEvPKT0_PKT1_PT2_15HIP_vector_typeIjLj3EESC_SC_jSC_SC_SC_SC_SC_SC_iiiiiiiiiiiDpT3_,comdat
.Lfunc_end78:
	.size	_ZL19k_bin_bcast_unravelIXadL_ZL6op_addffEE6__halfffJPKfS2_S2_S2_S2_S2_EEvPKT0_PKT1_PT2_15HIP_vector_typeIjLj3EESC_SC_jSC_SC_SC_SC_SC_SC_iiiiiiiiiiiDpT3_, .Lfunc_end78-_ZL19k_bin_bcast_unravelIXadL_ZL6op_addffEE6__halfffJPKfS2_S2_S2_S2_S2_EEvPKT0_PKT1_PT2_15HIP_vector_typeIjLj3EESC_SC_jSC_SC_SC_SC_SC_SC_iiiiiiiiiiiDpT3_
                                        ; -- End function
	.set _ZL19k_bin_bcast_unravelIXadL_ZL6op_addffEE6__halfffJPKfS2_S2_S2_S2_S2_EEvPKT0_PKT1_PT2_15HIP_vector_typeIjLj3EESC_SC_jSC_SC_SC_SC_SC_SC_iiiiiiiiiiiDpT3_.num_vgpr, 16
	.set _ZL19k_bin_bcast_unravelIXadL_ZL6op_addffEE6__halfffJPKfS2_S2_S2_S2_S2_EEvPKT0_PKT1_PT2_15HIP_vector_typeIjLj3EESC_SC_jSC_SC_SC_SC_SC_SC_iiiiiiiiiiiDpT3_.num_agpr, 0
	.set _ZL19k_bin_bcast_unravelIXadL_ZL6op_addffEE6__halfffJPKfS2_S2_S2_S2_S2_EEvPKT0_PKT1_PT2_15HIP_vector_typeIjLj3EESC_SC_jSC_SC_SC_SC_SC_SC_iiiiiiiiiiiDpT3_.numbered_sgpr, 27
	.set _ZL19k_bin_bcast_unravelIXadL_ZL6op_addffEE6__halfffJPKfS2_S2_S2_S2_S2_EEvPKT0_PKT1_PT2_15HIP_vector_typeIjLj3EESC_SC_jSC_SC_SC_SC_SC_SC_iiiiiiiiiiiDpT3_.num_named_barrier, 0
	.set _ZL19k_bin_bcast_unravelIXadL_ZL6op_addffEE6__halfffJPKfS2_S2_S2_S2_S2_EEvPKT0_PKT1_PT2_15HIP_vector_typeIjLj3EESC_SC_jSC_SC_SC_SC_SC_SC_iiiiiiiiiiiDpT3_.private_seg_size, 0
	.set _ZL19k_bin_bcast_unravelIXadL_ZL6op_addffEE6__halfffJPKfS2_S2_S2_S2_S2_EEvPKT0_PKT1_PT2_15HIP_vector_typeIjLj3EESC_SC_jSC_SC_SC_SC_SC_SC_iiiiiiiiiiiDpT3_.uses_vcc, 1
	.set _ZL19k_bin_bcast_unravelIXadL_ZL6op_addffEE6__halfffJPKfS2_S2_S2_S2_S2_EEvPKT0_PKT1_PT2_15HIP_vector_typeIjLj3EESC_SC_jSC_SC_SC_SC_SC_SC_iiiiiiiiiiiDpT3_.uses_flat_scratch, 0
	.set _ZL19k_bin_bcast_unravelIXadL_ZL6op_addffEE6__halfffJPKfS2_S2_S2_S2_S2_EEvPKT0_PKT1_PT2_15HIP_vector_typeIjLj3EESC_SC_jSC_SC_SC_SC_SC_SC_iiiiiiiiiiiDpT3_.has_dyn_sized_stack, 0
	.set _ZL19k_bin_bcast_unravelIXadL_ZL6op_addffEE6__halfffJPKfS2_S2_S2_S2_S2_EEvPKT0_PKT1_PT2_15HIP_vector_typeIjLj3EESC_SC_jSC_SC_SC_SC_SC_SC_iiiiiiiiiiiDpT3_.has_recursion, 0
	.set _ZL19k_bin_bcast_unravelIXadL_ZL6op_addffEE6__halfffJPKfS2_S2_S2_S2_S2_EEvPKT0_PKT1_PT2_15HIP_vector_typeIjLj3EESC_SC_jSC_SC_SC_SC_SC_SC_iiiiiiiiiiiDpT3_.has_indirect_call, 0
	.section	.AMDGPU.csdata,"",@progbits
; Kernel info:
; codeLenInByte = 888
; TotalNumSgprs: 29
; NumVgprs: 16
; ScratchSize: 0
; MemoryBound: 0
; FloatMode: 240
; IeeeMode: 1
; LDSByteSize: 0 bytes/workgroup (compile time only)
; SGPRBlocks: 0
; VGPRBlocks: 0
; NumSGPRsForWavesPerEU: 29
; NumVGPRsForWavesPerEU: 16
; NamedBarCnt: 0
; Occupancy: 16
; WaveLimiterHint : 1
; COMPUTE_PGM_RSRC2:SCRATCH_EN: 0
; COMPUTE_PGM_RSRC2:USER_SGPR: 2
; COMPUTE_PGM_RSRC2:TRAP_HANDLER: 0
; COMPUTE_PGM_RSRC2:TGID_X_EN: 1
; COMPUTE_PGM_RSRC2:TGID_Y_EN: 0
; COMPUTE_PGM_RSRC2:TGID_Z_EN: 0
; COMPUTE_PGM_RSRC2:TIDIG_COMP_CNT: 0
	.section	.text._ZL11k_bin_bcastIXadL_ZL6op_addffEE6__halfffJPKfS2_S2_S2_S2_S2_EEvPKT0_PKT1_PT2_iii15HIP_vector_typeIjLj3EESC_SC_SC_SC_iiiiiiiiiiiDpT3_,"axG",@progbits,_ZL11k_bin_bcastIXadL_ZL6op_addffEE6__halfffJPKfS2_S2_S2_S2_S2_EEvPKT0_PKT1_PT2_iii15HIP_vector_typeIjLj3EESC_SC_SC_SC_iiiiiiiiiiiDpT3_,comdat
	.globl	_ZL11k_bin_bcastIXadL_ZL6op_addffEE6__halfffJPKfS2_S2_S2_S2_S2_EEvPKT0_PKT1_PT2_iii15HIP_vector_typeIjLj3EESC_SC_SC_SC_iiiiiiiiiiiDpT3_ ; -- Begin function _ZL11k_bin_bcastIXadL_ZL6op_addffEE6__halfffJPKfS2_S2_S2_S2_S2_EEvPKT0_PKT1_PT2_iii15HIP_vector_typeIjLj3EESC_SC_SC_SC_iiiiiiiiiiiDpT3_
	.p2align	8
	.type	_ZL11k_bin_bcastIXadL_ZL6op_addffEE6__halfffJPKfS2_S2_S2_S2_S2_EEvPKT0_PKT1_PT2_iii15HIP_vector_typeIjLj3EESC_SC_SC_SC_iiiiiiiiiiiDpT3_,@function
_ZL11k_bin_bcastIXadL_ZL6op_addffEE6__halfffJPKfS2_S2_S2_S2_S2_EEvPKT0_PKT1_PT2_iii15HIP_vector_typeIjLj3EESC_SC_SC_SC_iiiiiiiiiiiDpT3_: ; @_ZL11k_bin_bcastIXadL_ZL6op_addffEE6__halfffJPKfS2_S2_S2_S2_S2_EEvPKT0_PKT1_PT2_iii15HIP_vector_typeIjLj3EESC_SC_SC_SC_iiiiiiiiiiiDpT3_
; %bb.0:
	s_load_b64 s[2:3], s[0:1], 0xcc
	s_bfe_u32 s5, ttmp6, 0x40014
	s_bfe_u32 s16, ttmp6, 0x40010
	;; [unrolled: 1-line block ×3, first 2 shown]
	s_lshr_b32 s4, ttmp7, 16
	s_add_co_i32 s5, s5, 1
	s_and_b32 s7, ttmp7, 0xffff
	s_load_b256 s[8:15], s[0:1], 0x18
	s_add_co_i32 s16, s16, 1
	s_add_co_i32 s19, s19, 1
	s_bfe_u32 s6, ttmp6, 0x40008
	s_mul_i32 s5, s4, s5
	s_bfe_u32 s17, ttmp6, 0x40004
	s_and_b32 s18, ttmp6, 15
	s_mul_i32 s16, s7, s16
	s_mul_i32 s19, ttmp9, s19
	s_add_co_i32 s6, s6, s5
	s_add_co_i32 s17, s17, s16
	s_add_co_i32 s18, s18, s19
	v_bfe_u32 v1, v0, 20, 10
	s_wait_kmcnt 0x0
	s_lshr_b32 s5, s2, 16
	s_and_b32 s33, s2, 0xffff
	s_getreg_b32 s2, hwreg(HW_REG_IB_STS2, 6, 4)
	s_and_b32 s3, s3, 0xffff
	s_cmp_eq_u32 s2, 0
	v_and_b32_e32 v2, 0x3ff, v0
	s_cselect_b32 s2, s4, s6
	v_bfe_u32 v4, v0, 10, 10
	v_mad_u32 v3, s2, s3, v1
	s_cselect_b32 s2, ttmp9, s18
	s_cselect_b32 s3, s7, s17
	v_mad_u32 v0, s2, s33, v2
	v_mad_u32 v2, s3, s5, v4
	s_delay_alu instid0(VALU_DEP_3) | instskip(NEXT) | instid1(VALU_DEP_3)
	v_mul_hi_u32 v1, v3, s11
	v_cmp_gt_u32_e32 vcc_lo, s8, v0
	s_delay_alu instid0(VALU_DEP_3) | instskip(SKIP_2) | instid1(VALU_DEP_1)
	v_cmp_gt_u32_e64 s2, s9, v2
	s_and_b32 s2, vcc_lo, s2
	v_add_nc_u32_e32 v1, v3, v1
	v_lshrrev_b32_e32 v1, s12, v1
	s_delay_alu instid0(VALU_DEP_1) | instskip(SKIP_3) | instid1(VALU_DEP_1)
	v_mul_lo_u32 v5, v1, s13
	v_cmp_gt_u32_e64 s3, s10, v1
	s_and_b32 s2, s2, s3
	v_sub_nc_u32_e32 v3, v3, v5
	v_cmp_gt_u32_e64 s4, s13, v3
	s_and_b32 s2, s2, s4
	s_delay_alu instid0(SALU_CYCLE_1)
	s_and_saveexec_b32 s3, s2
	s_cbranch_execz .LBB79_6
; %bb.1:
	v_cmp_gt_i32_e32 vcc_lo, s8, v0
	s_and_b32 exec_lo, exec_lo, vcc_lo
	s_cbranch_execz .LBB79_6
; %bb.2:
	s_clause 0x3
	s_load_b256 s[24:31], s[0:1], 0x3c
	s_load_b32 s2, s[0:1], 0x5c
	s_load_b256 s[16:23], s[0:1], 0x60
	s_load_b96 s[36:38], s[0:1], 0x80
	s_add_nc_u64 s[4:5], s[0:1], 0xc0
	s_load_b32 s9, s[4:5], 0x0
	s_load_b32 s12, s[0:1], 0x38
	s_wait_xcnt 0x0
	s_clause 0x1
	s_load_b128 s[4:7], s[0:1], 0xb0
	s_load_b64 s[10:11], s[0:1], 0x10
	s_wait_kmcnt 0x0
	v_mul_hi_u32 v4, s30, v3
	v_mul_hi_u32 v5, s27, v1
	;; [unrolled: 1-line block ×3, first 2 shown]
	v_mul_lo_u32 v7, v2, s20
	v_mul_lo_u32 v8, v2, s16
	s_delay_alu instid0(VALU_DEP_4) | instskip(NEXT) | instid1(VALU_DEP_3)
	v_dual_add_nc_u32 v4, v3, v4 :: v_dual_add_nc_u32 v5, v1, v5
	v_mad_u32 v7, v1, s21, v7
	s_delay_alu instid0(VALU_DEP_3) | instskip(NEXT) | instid1(VALU_DEP_3)
	v_mad_u32 v8, v1, s17, v8
	v_dual_lshrrev_b32 v4, s31, v4 :: v_dual_lshrrev_b32 v5, s28, v5
	s_delay_alu instid0(VALU_DEP_1) | instskip(SKIP_1) | instid1(VALU_DEP_3)
	v_mul_lo_u32 v4, v4, s2
	v_add_nc_u32_e32 v6, v2, v6
	v_mul_lo_u32 v5, v5, s29
	s_load_b64 s[2:3], s[0:1], 0x0
	v_mad_u32 v8, v3, s18, v8
	s_delay_alu instid0(VALU_DEP_3) | instskip(NEXT) | instid1(VALU_DEP_3)
	v_dual_sub_nc_u32 v4, v3, v4 :: v_dual_lshrrev_b32 v6, s25, v6
	v_sub_nc_u32_e32 v5, v1, v5
	s_delay_alu instid0(VALU_DEP_2) | instskip(NEXT) | instid1(VALU_DEP_3)
	v_mul_lo_u32 v9, v4, s38
	v_mul_lo_u32 v6, v6, s26
	v_mad_u32 v4, v3, s22, v7
	s_load_b256 s[24:31], s[0:1], 0x90
	v_mov_b32_e32 v1, 0
	s_wait_xcnt 0x0
	s_mov_b32 s1, 0
	s_mov_b32 s0, s14
	s_wait_kmcnt 0x0
	s_cmp_lg_u64 s[2:3], 0
	s_delay_alu instid0(VALU_DEP_4) | instskip(NEXT) | instid1(VALU_DEP_4)
	v_mad_u32 v7, v5, s37, v9
	v_sub_nc_u32_e32 v2, v2, v6
	v_mul_lo_u32 v6, s19, v0
	v_dual_mov_b32 v5, v1 :: v_dual_mov_b32 v9, v1
	v_mov_b32_e32 v3, v1
	s_delay_alu instid0(VALU_DEP_2) | instskip(NEXT) | instid1(VALU_DEP_3)
	v_lshl_add_u64 v[4:5], v[4:5], 1, s[2:3]
	v_lshl_add_u64 v[8:9], v[8:9], 2, s[10:11]
	s_mul_i32 s2, s9, s33
	v_mad_u32 v2, v2, s36, v7
	s_cselect_b32 s3, -1, 0
	s_mul_i32 s9, s2, s19
	s_sub_co_i32 s10, 0, s12
	s_mov_b32 s11, s1
	s_branch .LBB79_4
.LBB79_3:                               ;   in Loop: Header=BB79_4 Depth=1
	s_wait_xcnt 0x0
	v_mul_u64_e32 v[10:11], s[0:1], v[0:1]
	s_delay_alu instid0(VALU_DEP_1) | instskip(NEXT) | instid1(VALU_DEP_1)
	v_dual_add_nc_u32 v6, s9, v6 :: v_dual_add_nc_u32 v10, v0, v11
	v_dual_mov_b32 v11, v1 :: v_dual_lshrrev_b32 v10, s15, v10
	s_delay_alu instid0(VALU_DEP_1) | instskip(NEXT) | instid1(VALU_DEP_1)
	v_mad_u32 v10, s10, v10, v0
	v_mul_lo_u32 v10, v10, s23
	s_delay_alu instid0(VALU_DEP_1) | instskip(NEXT) | instid1(VALU_DEP_1)
	v_add_nc_u64_e32 v[10:11], v[10:11], v[2:3]
	v_lshlrev_b64_e32 v[10:11], 2, v[10:11]
	s_delay_alu instid0(VALU_DEP_1)
	v_add_nc_u64_e32 v[12:13], s[24:25], v[10:11]
	v_add_nc_u64_e32 v[14:15], s[26:27], v[10:11]
	global_load_b32 v16, v[12:13], off
	s_wait_xcnt 0x0
	v_add_nc_u64_e32 v[12:13], s[28:29], v[10:11]
	global_load_b32 v17, v[14:15], off
	s_wait_xcnt 0x0
	;; [unrolled: 3-line block ×3, first 2 shown]
	v_add_nc_u64_e32 v[12:13], s[4:5], v[10:11]
	global_load_b32 v14, v[14:15], off
	v_add_nc_u64_e32 v[10:11], s[6:7], v[10:11]
	global_load_b32 v15, v[12:13], off
	global_load_b32 v19, v[10:11], off
	s_wait_xcnt 0x0
	v_dual_mov_b32 v10, v0 :: v_dual_ashrrev_i32 v11, 31, v0
	v_add_nc_u32_e32 v0, s2, v0
	s_delay_alu instid0(VALU_DEP_2) | instskip(NEXT) | instid1(VALU_DEP_2)
	v_lshl_add_u64 v[10:11], v[10:11], 2, v[8:9]
	v_cmp_le_i32_e32 vcc_lo, s8, v0
	s_or_b32 s11, vcc_lo, s11
	s_wait_loadcnt 0x5
	v_add_f32_e32 v7, v7, v16
	s_wait_loadcnt 0x4
	s_delay_alu instid0(VALU_DEP_1) | instskip(SKIP_1) | instid1(VALU_DEP_1)
	v_add_f32_e32 v7, v7, v17
	s_wait_loadcnt 0x3
	v_add_f32_e32 v7, v7, v18
	s_wait_loadcnt 0x2
	s_delay_alu instid0(VALU_DEP_1) | instskip(SKIP_1) | instid1(VALU_DEP_1)
	v_add_f32_e32 v7, v7, v14
	s_wait_loadcnt 0x1
	v_add_f32_e32 v7, v7, v15
	s_wait_loadcnt 0x0
	s_delay_alu instid0(VALU_DEP_1)
	v_add_f32_e32 v7, v7, v19
	global_store_b32 v[10:11], v7, off
	s_wait_xcnt 0x0
	s_and_not1_b32 exec_lo, exec_lo, s11
	s_cbranch_execz .LBB79_6
.LBB79_4:                               ; =>This Inner Loop Header: Depth=1
	v_mov_b32_e32 v7, 0
	s_and_not1_b32 vcc_lo, exec_lo, s3
	s_cbranch_vccnz .LBB79_3
; %bb.5:                                ;   in Loop: Header=BB79_4 Depth=1
	v_ashrrev_i32_e32 v7, 31, v6
	s_delay_alu instid0(VALU_DEP_1)
	v_lshl_add_u64 v[10:11], v[6:7], 1, v[4:5]
	global_load_u16 v7, v[10:11], off
	s_wait_loadcnt 0x0
	v_cvt_f32_f16_e32 v7, v7
	s_branch .LBB79_3
.LBB79_6:
	s_endpgm
	.section	.rodata,"a",@progbits
	.p2align	6, 0x0
	.amdhsa_kernel _ZL11k_bin_bcastIXadL_ZL6op_addffEE6__halfffJPKfS2_S2_S2_S2_S2_EEvPKT0_PKT1_PT2_iii15HIP_vector_typeIjLj3EESC_SC_SC_SC_iiiiiiiiiiiDpT3_
		.amdhsa_group_segment_fixed_size 0
		.amdhsa_private_segment_fixed_size 0
		.amdhsa_kernarg_size 448
		.amdhsa_user_sgpr_count 2
		.amdhsa_user_sgpr_dispatch_ptr 0
		.amdhsa_user_sgpr_queue_ptr 0
		.amdhsa_user_sgpr_kernarg_segment_ptr 1
		.amdhsa_user_sgpr_dispatch_id 0
		.amdhsa_user_sgpr_kernarg_preload_length 0
		.amdhsa_user_sgpr_kernarg_preload_offset 0
		.amdhsa_user_sgpr_private_segment_size 0
		.amdhsa_wavefront_size32 1
		.amdhsa_uses_dynamic_stack 0
		.amdhsa_enable_private_segment 0
		.amdhsa_system_sgpr_workgroup_id_x 1
		.amdhsa_system_sgpr_workgroup_id_y 1
		.amdhsa_system_sgpr_workgroup_id_z 1
		.amdhsa_system_sgpr_workgroup_info 0
		.amdhsa_system_vgpr_workitem_id 2
		.amdhsa_next_free_vgpr 20
		.amdhsa_next_free_sgpr 39
		.amdhsa_named_barrier_count 0
		.amdhsa_reserve_vcc 1
		.amdhsa_float_round_mode_32 0
		.amdhsa_float_round_mode_16_64 0
		.amdhsa_float_denorm_mode_32 3
		.amdhsa_float_denorm_mode_16_64 3
		.amdhsa_fp16_overflow 0
		.amdhsa_memory_ordered 1
		.amdhsa_forward_progress 1
		.amdhsa_inst_pref_size 9
		.amdhsa_round_robin_scheduling 0
		.amdhsa_exception_fp_ieee_invalid_op 0
		.amdhsa_exception_fp_denorm_src 0
		.amdhsa_exception_fp_ieee_div_zero 0
		.amdhsa_exception_fp_ieee_overflow 0
		.amdhsa_exception_fp_ieee_underflow 0
		.amdhsa_exception_fp_ieee_inexact 0
		.amdhsa_exception_int_div_zero 0
	.end_amdhsa_kernel
	.section	.text._ZL11k_bin_bcastIXadL_ZL6op_addffEE6__halfffJPKfS2_S2_S2_S2_S2_EEvPKT0_PKT1_PT2_iii15HIP_vector_typeIjLj3EESC_SC_SC_SC_iiiiiiiiiiiDpT3_,"axG",@progbits,_ZL11k_bin_bcastIXadL_ZL6op_addffEE6__halfffJPKfS2_S2_S2_S2_S2_EEvPKT0_PKT1_PT2_iii15HIP_vector_typeIjLj3EESC_SC_SC_SC_iiiiiiiiiiiDpT3_,comdat
.Lfunc_end79:
	.size	_ZL11k_bin_bcastIXadL_ZL6op_addffEE6__halfffJPKfS2_S2_S2_S2_S2_EEvPKT0_PKT1_PT2_iii15HIP_vector_typeIjLj3EESC_SC_SC_SC_iiiiiiiiiiiDpT3_, .Lfunc_end79-_ZL11k_bin_bcastIXadL_ZL6op_addffEE6__halfffJPKfS2_S2_S2_S2_S2_EEvPKT0_PKT1_PT2_iii15HIP_vector_typeIjLj3EESC_SC_SC_SC_iiiiiiiiiiiDpT3_
                                        ; -- End function
	.set _ZL11k_bin_bcastIXadL_ZL6op_addffEE6__halfffJPKfS2_S2_S2_S2_S2_EEvPKT0_PKT1_PT2_iii15HIP_vector_typeIjLj3EESC_SC_SC_SC_iiiiiiiiiiiDpT3_.num_vgpr, 20
	.set _ZL11k_bin_bcastIXadL_ZL6op_addffEE6__halfffJPKfS2_S2_S2_S2_S2_EEvPKT0_PKT1_PT2_iii15HIP_vector_typeIjLj3EESC_SC_SC_SC_iiiiiiiiiiiDpT3_.num_agpr, 0
	.set _ZL11k_bin_bcastIXadL_ZL6op_addffEE6__halfffJPKfS2_S2_S2_S2_S2_EEvPKT0_PKT1_PT2_iii15HIP_vector_typeIjLj3EESC_SC_SC_SC_iiiiiiiiiiiDpT3_.numbered_sgpr, 39
	.set _ZL11k_bin_bcastIXadL_ZL6op_addffEE6__halfffJPKfS2_S2_S2_S2_S2_EEvPKT0_PKT1_PT2_iii15HIP_vector_typeIjLj3EESC_SC_SC_SC_iiiiiiiiiiiDpT3_.num_named_barrier, 0
	.set _ZL11k_bin_bcastIXadL_ZL6op_addffEE6__halfffJPKfS2_S2_S2_S2_S2_EEvPKT0_PKT1_PT2_iii15HIP_vector_typeIjLj3EESC_SC_SC_SC_iiiiiiiiiiiDpT3_.private_seg_size, 0
	.set _ZL11k_bin_bcastIXadL_ZL6op_addffEE6__halfffJPKfS2_S2_S2_S2_S2_EEvPKT0_PKT1_PT2_iii15HIP_vector_typeIjLj3EESC_SC_SC_SC_iiiiiiiiiiiDpT3_.uses_vcc, 1
	.set _ZL11k_bin_bcastIXadL_ZL6op_addffEE6__halfffJPKfS2_S2_S2_S2_S2_EEvPKT0_PKT1_PT2_iii15HIP_vector_typeIjLj3EESC_SC_SC_SC_iiiiiiiiiiiDpT3_.uses_flat_scratch, 0
	.set _ZL11k_bin_bcastIXadL_ZL6op_addffEE6__halfffJPKfS2_S2_S2_S2_S2_EEvPKT0_PKT1_PT2_iii15HIP_vector_typeIjLj3EESC_SC_SC_SC_iiiiiiiiiiiDpT3_.has_dyn_sized_stack, 0
	.set _ZL11k_bin_bcastIXadL_ZL6op_addffEE6__halfffJPKfS2_S2_S2_S2_S2_EEvPKT0_PKT1_PT2_iii15HIP_vector_typeIjLj3EESC_SC_SC_SC_iiiiiiiiiiiDpT3_.has_recursion, 0
	.set _ZL11k_bin_bcastIXadL_ZL6op_addffEE6__halfffJPKfS2_S2_S2_S2_S2_EEvPKT0_PKT1_PT2_iii15HIP_vector_typeIjLj3EESC_SC_SC_SC_iiiiiiiiiiiDpT3_.has_indirect_call, 0
	.section	.AMDGPU.csdata,"",@progbits
; Kernel info:
; codeLenInByte = 1044
; TotalNumSgprs: 41
; NumVgprs: 20
; ScratchSize: 0
; MemoryBound: 0
; FloatMode: 240
; IeeeMode: 1
; LDSByteSize: 0 bytes/workgroup (compile time only)
; SGPRBlocks: 0
; VGPRBlocks: 1
; NumSGPRsForWavesPerEU: 41
; NumVGPRsForWavesPerEU: 20
; NamedBarCnt: 0
; Occupancy: 16
; WaveLimiterHint : 1
; COMPUTE_PGM_RSRC2:SCRATCH_EN: 0
; COMPUTE_PGM_RSRC2:USER_SGPR: 2
; COMPUTE_PGM_RSRC2:TRAP_HANDLER: 0
; COMPUTE_PGM_RSRC2:TGID_X_EN: 1
; COMPUTE_PGM_RSRC2:TGID_Y_EN: 1
; COMPUTE_PGM_RSRC2:TGID_Z_EN: 1
; COMPUTE_PGM_RSRC2:TIDIG_COMP_CNT: 2
	.section	.text._ZL19k_bin_bcast_unravelIXadL_ZL6op_addffEEfffJPKfS1_S1_S1_S1_S1_S1_EEvPKT0_PKT1_PT2_15HIP_vector_typeIjLj3EESB_SB_jSB_SB_SB_SB_SB_SB_iiiiiiiiiiiDpT3_,"axG",@progbits,_ZL19k_bin_bcast_unravelIXadL_ZL6op_addffEEfffJPKfS1_S1_S1_S1_S1_S1_EEvPKT0_PKT1_PT2_15HIP_vector_typeIjLj3EESB_SB_jSB_SB_SB_SB_SB_SB_iiiiiiiiiiiDpT3_,comdat
	.globl	_ZL19k_bin_bcast_unravelIXadL_ZL6op_addffEEfffJPKfS1_S1_S1_S1_S1_S1_EEvPKT0_PKT1_PT2_15HIP_vector_typeIjLj3EESB_SB_jSB_SB_SB_SB_SB_SB_iiiiiiiiiiiDpT3_ ; -- Begin function _ZL19k_bin_bcast_unravelIXadL_ZL6op_addffEEfffJPKfS1_S1_S1_S1_S1_S1_EEvPKT0_PKT1_PT2_15HIP_vector_typeIjLj3EESB_SB_jSB_SB_SB_SB_SB_SB_iiiiiiiiiiiDpT3_
	.p2align	8
	.type	_ZL19k_bin_bcast_unravelIXadL_ZL6op_addffEEfffJPKfS1_S1_S1_S1_S1_S1_EEvPKT0_PKT1_PT2_15HIP_vector_typeIjLj3EESB_SB_jSB_SB_SB_SB_SB_SB_iiiiiiiiiiiDpT3_,@function
_ZL19k_bin_bcast_unravelIXadL_ZL6op_addffEEfffJPKfS1_S1_S1_S1_S1_S1_EEvPKT0_PKT1_PT2_15HIP_vector_typeIjLj3EESB_SB_jSB_SB_SB_SB_SB_SB_iiiiiiiiiiiDpT3_: ; @_ZL19k_bin_bcast_unravelIXadL_ZL6op_addffEEfffJPKfS1_S1_S1_S1_S1_S1_EEvPKT0_PKT1_PT2_15HIP_vector_typeIjLj3EESB_SB_jSB_SB_SB_SB_SB_SB_iiiiiiiiiiiDpT3_
; %bb.0:
	s_load_b32 s2, s[0:1], 0xfc
	s_bfe_u32 s3, ttmp6, 0x4000c
	s_load_b256 s[4:11], s[0:1], 0x38
	s_add_co_i32 s3, s3, 1
	s_and_b32 s12, ttmp6, 15
	s_mul_i32 s3, ttmp9, s3
	s_getreg_b32 s13, hwreg(HW_REG_IB_STS2, 6, 4)
	s_add_co_i32 s12, s12, s3
	s_wait_kmcnt 0x0
	s_and_b32 s2, s2, 0xffff
	s_cmp_eq_u32 s13, 0
	s_cselect_b32 s3, ttmp9, s12
	s_delay_alu instid0(SALU_CYCLE_1) | instskip(SKIP_1) | instid1(VALU_DEP_1)
	v_mad_u32 v0, s3, s2, v0
	s_load_b32 s2, s[0:1], 0x2c
	v_mul_hi_u32 v1, v0, s6
	s_delay_alu instid0(VALU_DEP_1) | instskip(NEXT) | instid1(VALU_DEP_1)
	v_add_nc_u32_e32 v1, v0, v1
	v_lshrrev_b32_e32 v1, s7, v1
	s_delay_alu instid0(VALU_DEP_1) | instskip(NEXT) | instid1(VALU_DEP_1)
	v_mul_lo_u32 v2, v1, s8
	v_sub_nc_u32_e32 v0, v0, v2
	s_delay_alu instid0(VALU_DEP_1) | instskip(NEXT) | instid1(VALU_DEP_1)
	v_mul_hi_u32 v2, v0, s9
	v_add_nc_u32_e32 v2, v0, v2
	s_delay_alu instid0(VALU_DEP_1) | instskip(SKIP_1) | instid1(VALU_DEP_1)
	v_lshrrev_b32_e32 v2, s10, v2
	s_load_b96 s[8:10], s[0:1], 0x18
	v_mul_lo_u32 v3, v2, s11
	s_delay_alu instid0(VALU_DEP_1) | instskip(SKIP_3) | instid1(VALU_DEP_3)
	v_sub_nc_u32_e32 v0, v0, v3
	v_cmp_gt_u32_e64 s3, s4, v2
	v_cmp_gt_u32_e64 s4, s5, v1
	s_wait_kmcnt 0x0
	v_mul_hi_u32 v3, v0, s8
	s_delay_alu instid0(VALU_DEP_1) | instskip(NEXT) | instid1(VALU_DEP_1)
	v_add_nc_u32_e32 v3, v0, v3
	v_lshrrev_b32_e32 v4, s9, v3
	s_delay_alu instid0(VALU_DEP_1) | instskip(NEXT) | instid1(VALU_DEP_1)
	v_mul_lo_u32 v3, v4, s10
	v_sub_nc_u32_e32 v0, v0, v3
	v_cmp_gt_u32_e64 s2, s2, v4
	s_delay_alu instid0(VALU_DEP_2) | instskip(SKIP_1) | instid1(SALU_CYCLE_1)
	v_cmp_gt_u32_e32 vcc_lo, s10, v0
	s_and_b32 s2, vcc_lo, s2
	s_and_b32 s2, s2, s3
	s_delay_alu instid0(SALU_CYCLE_1) | instskip(NEXT) | instid1(SALU_CYCLE_1)
	s_and_b32 s2, s4, s2
	s_and_saveexec_b32 s3, s2
	s_cbranch_execz .LBB80_4
; %bb.1:
	s_clause 0x4
	s_load_b64 s[2:3], s[0:1], 0x0
	s_load_b96 s[24:26], s[0:1], 0xa8
	s_load_b256 s[4:11], s[0:1], 0x88
	s_load_b128 s[20:23], s[0:1], 0x78
	s_load_b256 s[12:19], s[0:1], 0x58
	v_dual_mov_b32 v3, 0 :: v_dual_mov_b32 v5, 0
	s_wait_kmcnt 0x0
	s_cmp_eq_u64 s[2:3], 0
	s_cbranch_scc1 .LBB80_3
; %bb.2:
	v_mul_lo_u32 v5, v1, s10
	v_mov_b32_e32 v7, 0
	s_delay_alu instid0(VALU_DEP_2) | instskip(NEXT) | instid1(VALU_DEP_1)
	v_mad_u32 v5, v2, s9, v5
	v_mad_u32 v6, v4, s8, v5
	s_delay_alu instid0(VALU_DEP_1) | instskip(SKIP_1) | instid1(VALU_DEP_1)
	v_lshl_add_u64 v[8:9], v[6:7], 2, s[2:3]
	v_mul_lo_u32 v6, v0, s7
	v_lshl_add_u64 v[6:7], v[6:7], 2, v[8:9]
	global_load_b32 v5, v[6:7], off
.LBB80_3:
	s_wait_xcnt 0x0
	v_mul_hi_u32 v6, s21, v1
	v_mul_hi_u32 v7, s18, v2
	;; [unrolled: 1-line block ×4, first 2 shown]
	s_load_b64 s[2:3], s[0:1], 0xe8
	s_delay_alu instid0(VALU_DEP_3) | instskip(NEXT) | instid1(VALU_DEP_1)
	v_dual_add_nc_u32 v6, v1, v6 :: v_dual_add_nc_u32 v7, v2, v7
	v_dual_lshrrev_b32 v6, s22, v6 :: v_dual_lshrrev_b32 v7, s19, v7
	s_delay_alu instid0(VALU_DEP_1) | instskip(SKIP_1) | instid1(VALU_DEP_3)
	v_mul_lo_u32 v6, v6, s23
	v_add_nc_u32_e32 v8, v4, v8
	v_mul_lo_u32 v7, v7, s20
	s_delay_alu instid0(VALU_DEP_3) | instskip(NEXT) | instid1(VALU_DEP_2)
	v_dual_sub_nc_u32 v6, v1, v6 :: v_dual_add_nc_u32 v9, v0, v9
	v_dual_lshrrev_b32 v8, s16, v8 :: v_dual_sub_nc_u32 v7, v2, v7
	v_mul_lo_u32 v1, v1, s6
	s_delay_alu instid0(VALU_DEP_3) | instskip(NEXT) | instid1(VALU_DEP_4)
	v_mul_lo_u32 v6, v6, s26
	v_lshrrev_b32_e32 v9, s13, v9
	s_delay_alu instid0(VALU_DEP_4) | instskip(SKIP_1) | instid1(VALU_DEP_2)
	v_mul_lo_u32 v8, v8, s17
	s_load_b128 s[16:19], s[0:1], 0xd8
	v_mul_lo_u32 v9, v9, s14
	v_mad_u32 v1, v2, s5, v1
	v_mad_u32 v7, v7, s25, v6
	s_delay_alu instid0(VALU_DEP_4) | instskip(NEXT) | instid1(VALU_DEP_1)
	v_sub_nc_u32_e32 v8, v4, v8
	v_mad_u32 v8, v8, s24, v7
	s_delay_alu instid0(VALU_DEP_1) | instskip(NEXT) | instid1(VALU_DEP_1)
	v_dual_sub_nc_u32 v6, v0, v9 :: v_dual_ashrrev_i32 v9, 31, v8
	v_mul_lo_u32 v6, v6, s11
	s_load_b256 s[8:15], s[0:1], 0xb8
	s_delay_alu instid0(VALU_DEP_1) | instskip(SKIP_2) | instid1(VALU_DEP_1)
	v_ashrrev_i32_e32 v7, 31, v6
	s_wait_xcnt 0x0
	s_load_b64 s[0:1], s[0:1], 0x10
	v_add_nc_u64_e32 v[6:7], v[6:7], v[8:9]
	s_delay_alu instid0(VALU_DEP_1) | instskip(SKIP_1) | instid1(VALU_DEP_1)
	v_lshlrev_b64_e32 v[6:7], 2, v[6:7]
	s_wait_kmcnt 0x0
	v_add_nc_u64_e32 v[8:9], s[8:9], v[6:7]
	v_add_nc_u64_e32 v[10:11], s[10:11], v[6:7]
	global_load_b32 v12, v[8:9], off
	s_wait_xcnt 0x0
	v_add_nc_u64_e32 v[8:9], s[12:13], v[6:7]
	global_load_b32 v13, v[10:11], off
	s_wait_xcnt 0x0
	;; [unrolled: 3-line block ×4, first 2 shown]
	v_add_nc_u64_e32 v[10:11], s[18:19], v[6:7]
	v_add_nc_u64_e32 v[6:7], s[2:3], v[6:7]
	global_load_b32 v8, v[8:9], off
	global_load_b32 v9, v[10:11], off
	;; [unrolled: 1-line block ×3, first 2 shown]
	s_wait_loadcnt 0x6
	v_add_f32_e32 v5, v5, v12
	s_wait_loadcnt 0x5
	s_delay_alu instid0(VALU_DEP_1) | instskip(SKIP_1) | instid1(VALU_DEP_1)
	v_add_f32_e32 v2, v5, v13
	s_wait_loadcnt 0x4
	v_add_f32_e32 v5, v2, v14
	v_mad_u32 v2, v4, s4, v1
	s_wait_loadcnt 0x3
	s_delay_alu instid0(VALU_DEP_2) | instskip(SKIP_1) | instid1(VALU_DEP_1)
	v_add_f32_e32 v1, v5, v15
	s_wait_loadcnt 0x2
	v_dual_add_f32 v4, v1, v8 :: v_dual_mov_b32 v1, v3
	s_delay_alu instid0(VALU_DEP_3) | instskip(SKIP_1) | instid1(VALU_DEP_2)
	v_lshl_add_u64 v[2:3], v[2:3], 2, s[0:1]
	s_wait_loadcnt 0x1
	v_add_f32_e32 v4, v4, v9
	s_delay_alu instid0(VALU_DEP_2) | instskip(SKIP_1) | instid1(VALU_DEP_2)
	v_lshl_add_u64 v[0:1], v[0:1], 2, v[2:3]
	s_wait_loadcnt 0x0
	v_add_f32_e32 v4, v4, v16
	global_store_b32 v[0:1], v4, off
.LBB80_4:
	s_endpgm
	.section	.rodata,"a",@progbits
	.p2align	6, 0x0
	.amdhsa_kernel _ZL19k_bin_bcast_unravelIXadL_ZL6op_addffEEfffJPKfS1_S1_S1_S1_S1_S1_EEvPKT0_PKT1_PT2_15HIP_vector_typeIjLj3EESB_SB_jSB_SB_SB_SB_SB_SB_iiiiiiiiiiiDpT3_
		.amdhsa_group_segment_fixed_size 0
		.amdhsa_private_segment_fixed_size 0
		.amdhsa_kernarg_size 496
		.amdhsa_user_sgpr_count 2
		.amdhsa_user_sgpr_dispatch_ptr 0
		.amdhsa_user_sgpr_queue_ptr 0
		.amdhsa_user_sgpr_kernarg_segment_ptr 1
		.amdhsa_user_sgpr_dispatch_id 0
		.amdhsa_user_sgpr_kernarg_preload_length 0
		.amdhsa_user_sgpr_kernarg_preload_offset 0
		.amdhsa_user_sgpr_private_segment_size 0
		.amdhsa_wavefront_size32 1
		.amdhsa_uses_dynamic_stack 0
		.amdhsa_enable_private_segment 0
		.amdhsa_system_sgpr_workgroup_id_x 1
		.amdhsa_system_sgpr_workgroup_id_y 0
		.amdhsa_system_sgpr_workgroup_id_z 0
		.amdhsa_system_sgpr_workgroup_info 0
		.amdhsa_system_vgpr_workitem_id 0
		.amdhsa_next_free_vgpr 17
		.amdhsa_next_free_sgpr 27
		.amdhsa_named_barrier_count 0
		.amdhsa_reserve_vcc 1
		.amdhsa_float_round_mode_32 0
		.amdhsa_float_round_mode_16_64 0
		.amdhsa_float_denorm_mode_32 3
		.amdhsa_float_denorm_mode_16_64 3
		.amdhsa_fp16_overflow 0
		.amdhsa_memory_ordered 1
		.amdhsa_forward_progress 1
		.amdhsa_inst_pref_size 8
		.amdhsa_round_robin_scheduling 0
		.amdhsa_exception_fp_ieee_invalid_op 0
		.amdhsa_exception_fp_denorm_src 0
		.amdhsa_exception_fp_ieee_div_zero 0
		.amdhsa_exception_fp_ieee_overflow 0
		.amdhsa_exception_fp_ieee_underflow 0
		.amdhsa_exception_fp_ieee_inexact 0
		.amdhsa_exception_int_div_zero 0
	.end_amdhsa_kernel
	.section	.text._ZL19k_bin_bcast_unravelIXadL_ZL6op_addffEEfffJPKfS1_S1_S1_S1_S1_S1_EEvPKT0_PKT1_PT2_15HIP_vector_typeIjLj3EESB_SB_jSB_SB_SB_SB_SB_SB_iiiiiiiiiiiDpT3_,"axG",@progbits,_ZL19k_bin_bcast_unravelIXadL_ZL6op_addffEEfffJPKfS1_S1_S1_S1_S1_S1_EEvPKT0_PKT1_PT2_15HIP_vector_typeIjLj3EESB_SB_jSB_SB_SB_SB_SB_SB_iiiiiiiiiiiDpT3_,comdat
.Lfunc_end80:
	.size	_ZL19k_bin_bcast_unravelIXadL_ZL6op_addffEEfffJPKfS1_S1_S1_S1_S1_S1_EEvPKT0_PKT1_PT2_15HIP_vector_typeIjLj3EESB_SB_jSB_SB_SB_SB_SB_SB_iiiiiiiiiiiDpT3_, .Lfunc_end80-_ZL19k_bin_bcast_unravelIXadL_ZL6op_addffEEfffJPKfS1_S1_S1_S1_S1_S1_EEvPKT0_PKT1_PT2_15HIP_vector_typeIjLj3EESB_SB_jSB_SB_SB_SB_SB_SB_iiiiiiiiiiiDpT3_
                                        ; -- End function
	.set _ZL19k_bin_bcast_unravelIXadL_ZL6op_addffEEfffJPKfS1_S1_S1_S1_S1_S1_EEvPKT0_PKT1_PT2_15HIP_vector_typeIjLj3EESB_SB_jSB_SB_SB_SB_SB_SB_iiiiiiiiiiiDpT3_.num_vgpr, 17
	.set _ZL19k_bin_bcast_unravelIXadL_ZL6op_addffEEfffJPKfS1_S1_S1_S1_S1_S1_EEvPKT0_PKT1_PT2_15HIP_vector_typeIjLj3EESB_SB_jSB_SB_SB_SB_SB_SB_iiiiiiiiiiiDpT3_.num_agpr, 0
	.set _ZL19k_bin_bcast_unravelIXadL_ZL6op_addffEEfffJPKfS1_S1_S1_S1_S1_S1_EEvPKT0_PKT1_PT2_15HIP_vector_typeIjLj3EESB_SB_jSB_SB_SB_SB_SB_SB_iiiiiiiiiiiDpT3_.numbered_sgpr, 27
	.set _ZL19k_bin_bcast_unravelIXadL_ZL6op_addffEEfffJPKfS1_S1_S1_S1_S1_S1_EEvPKT0_PKT1_PT2_15HIP_vector_typeIjLj3EESB_SB_jSB_SB_SB_SB_SB_SB_iiiiiiiiiiiDpT3_.num_named_barrier, 0
	.set _ZL19k_bin_bcast_unravelIXadL_ZL6op_addffEEfffJPKfS1_S1_S1_S1_S1_S1_EEvPKT0_PKT1_PT2_15HIP_vector_typeIjLj3EESB_SB_jSB_SB_SB_SB_SB_SB_iiiiiiiiiiiDpT3_.private_seg_size, 0
	.set _ZL19k_bin_bcast_unravelIXadL_ZL6op_addffEEfffJPKfS1_S1_S1_S1_S1_S1_EEvPKT0_PKT1_PT2_15HIP_vector_typeIjLj3EESB_SB_jSB_SB_SB_SB_SB_SB_iiiiiiiiiiiDpT3_.uses_vcc, 1
	.set _ZL19k_bin_bcast_unravelIXadL_ZL6op_addffEEfffJPKfS1_S1_S1_S1_S1_S1_EEvPKT0_PKT1_PT2_15HIP_vector_typeIjLj3EESB_SB_jSB_SB_SB_SB_SB_SB_iiiiiiiiiiiDpT3_.uses_flat_scratch, 0
	.set _ZL19k_bin_bcast_unravelIXadL_ZL6op_addffEEfffJPKfS1_S1_S1_S1_S1_S1_EEvPKT0_PKT1_PT2_15HIP_vector_typeIjLj3EESB_SB_jSB_SB_SB_SB_SB_SB_iiiiiiiiiiiDpT3_.has_dyn_sized_stack, 0
	.set _ZL19k_bin_bcast_unravelIXadL_ZL6op_addffEEfffJPKfS1_S1_S1_S1_S1_S1_EEvPKT0_PKT1_PT2_15HIP_vector_typeIjLj3EESB_SB_jSB_SB_SB_SB_SB_SB_iiiiiiiiiiiDpT3_.has_recursion, 0
	.set _ZL19k_bin_bcast_unravelIXadL_ZL6op_addffEEfffJPKfS1_S1_S1_S1_S1_S1_EEvPKT0_PKT1_PT2_15HIP_vector_typeIjLj3EESB_SB_jSB_SB_SB_SB_SB_SB_iiiiiiiiiiiDpT3_.has_indirect_call, 0
	.section	.AMDGPU.csdata,"",@progbits
; Kernel info:
; codeLenInByte = 924
; TotalNumSgprs: 29
; NumVgprs: 17
; ScratchSize: 0
; MemoryBound: 0
; FloatMode: 240
; IeeeMode: 1
; LDSByteSize: 0 bytes/workgroup (compile time only)
; SGPRBlocks: 0
; VGPRBlocks: 1
; NumSGPRsForWavesPerEU: 29
; NumVGPRsForWavesPerEU: 17
; NamedBarCnt: 0
; Occupancy: 16
; WaveLimiterHint : 1
; COMPUTE_PGM_RSRC2:SCRATCH_EN: 0
; COMPUTE_PGM_RSRC2:USER_SGPR: 2
; COMPUTE_PGM_RSRC2:TRAP_HANDLER: 0
; COMPUTE_PGM_RSRC2:TGID_X_EN: 1
; COMPUTE_PGM_RSRC2:TGID_Y_EN: 0
; COMPUTE_PGM_RSRC2:TGID_Z_EN: 0
; COMPUTE_PGM_RSRC2:TIDIG_COMP_CNT: 0
	.section	.text._ZL11k_bin_bcastIXadL_ZL6op_addffEEfffJPKfS1_S1_S1_S1_S1_S1_EEvPKT0_PKT1_PT2_iii15HIP_vector_typeIjLj3EESB_SB_SB_SB_iiiiiiiiiiiDpT3_,"axG",@progbits,_ZL11k_bin_bcastIXadL_ZL6op_addffEEfffJPKfS1_S1_S1_S1_S1_S1_EEvPKT0_PKT1_PT2_iii15HIP_vector_typeIjLj3EESB_SB_SB_SB_iiiiiiiiiiiDpT3_,comdat
	.globl	_ZL11k_bin_bcastIXadL_ZL6op_addffEEfffJPKfS1_S1_S1_S1_S1_S1_EEvPKT0_PKT1_PT2_iii15HIP_vector_typeIjLj3EESB_SB_SB_SB_iiiiiiiiiiiDpT3_ ; -- Begin function _ZL11k_bin_bcastIXadL_ZL6op_addffEEfffJPKfS1_S1_S1_S1_S1_S1_EEvPKT0_PKT1_PT2_iii15HIP_vector_typeIjLj3EESB_SB_SB_SB_iiiiiiiiiiiDpT3_
	.p2align	8
	.type	_ZL11k_bin_bcastIXadL_ZL6op_addffEEfffJPKfS1_S1_S1_S1_S1_S1_EEvPKT0_PKT1_PT2_iii15HIP_vector_typeIjLj3EESB_SB_SB_SB_iiiiiiiiiiiDpT3_,@function
_ZL11k_bin_bcastIXadL_ZL6op_addffEEfffJPKfS1_S1_S1_S1_S1_S1_EEvPKT0_PKT1_PT2_iii15HIP_vector_typeIjLj3EESB_SB_SB_SB_iiiiiiiiiiiDpT3_: ; @_ZL11k_bin_bcastIXadL_ZL6op_addffEEfffJPKfS1_S1_S1_S1_S1_S1_EEvPKT0_PKT1_PT2_iii15HIP_vector_typeIjLj3EESB_SB_SB_SB_iiiiiiiiiiiDpT3_
; %bb.0:
	s_load_b64 s[2:3], s[0:1], 0xd4
	s_bfe_u32 s5, ttmp6, 0x40014
	s_bfe_u32 s7, ttmp6, 0x40010
	;; [unrolled: 1-line block ×3, first 2 shown]
	s_lshr_b32 s4, ttmp7, 16
	s_and_b32 s16, ttmp7, 0xffff
	s_add_co_i32 s5, s5, 1
	s_add_co_i32 s7, s7, 1
	s_load_b256 s[8:15], s[0:1], 0x18
	s_add_co_i32 s19, s19, 1
	s_bfe_u32 s6, ttmp6, 0x40008
	s_bfe_u32 s17, ttmp6, 0x40004
	s_mul_i32 s5, s4, s5
	s_mul_i32 s7, s16, s7
	s_and_b32 s18, ttmp6, 15
	s_mul_i32 s19, ttmp9, s19
	s_add_co_i32 s6, s6, s5
	s_add_co_i32 s17, s17, s7
	;; [unrolled: 1-line block ×3, first 2 shown]
	v_bfe_u32 v1, v0, 20, 10
	s_wait_kmcnt 0x0
	s_lshr_b32 s5, s2, 16
	s_and_b32 s7, s2, 0xffff
	s_getreg_b32 s2, hwreg(HW_REG_IB_STS2, 6, 4)
	s_and_b32 s3, s3, 0xffff
	s_cmp_eq_u32 s2, 0
	v_and_b32_e32 v2, 0x3ff, v0
	s_cselect_b32 s2, s4, s6
	v_bfe_u32 v4, v0, 10, 10
	v_mad_u32 v3, s2, s3, v1
	s_cselect_b32 s2, ttmp9, s18
	s_cselect_b32 s3, s16, s17
	v_mad_u32 v0, s2, s7, v2
	v_mad_u32 v2, s3, s5, v4
	s_delay_alu instid0(VALU_DEP_3) | instskip(NEXT) | instid1(VALU_DEP_3)
	v_mul_hi_u32 v1, v3, s11
	v_cmp_gt_u32_e32 vcc_lo, s8, v0
	s_delay_alu instid0(VALU_DEP_3) | instskip(SKIP_2) | instid1(VALU_DEP_1)
	v_cmp_gt_u32_e64 s2, s9, v2
	s_and_b32 s2, vcc_lo, s2
	v_add_nc_u32_e32 v1, v3, v1
	v_lshrrev_b32_e32 v1, s12, v1
	s_delay_alu instid0(VALU_DEP_1) | instskip(SKIP_3) | instid1(VALU_DEP_1)
	v_mul_lo_u32 v5, v1, s13
	v_cmp_gt_u32_e64 s3, s10, v1
	s_and_b32 s2, s2, s3
	v_sub_nc_u32_e32 v3, v3, v5
	v_cmp_gt_u32_e64 s4, s13, v3
	s_and_b32 s2, s2, s4
	s_delay_alu instid0(SALU_CYCLE_1)
	s_and_saveexec_b32 s3, s2
	s_cbranch_execz .LBB81_6
; %bb.1:
	v_cmp_gt_i32_e32 vcc_lo, s8, v0
	s_and_b32 exec_lo, exec_lo, vcc_lo
	s_cbranch_execz .LBB81_6
; %bb.2:
	s_clause 0x3
	s_load_b256 s[24:31], s[0:1], 0x3c
	s_load_b32 s2, s[0:1], 0x5c
	s_load_b256 s[16:23], s[0:1], 0x60
	s_load_b96 s[4:6], s[0:1], 0x80
	s_add_nc_u64 s[10:11], s[0:1], 0xc8
	s_clause 0x1
	s_load_b256 s[36:43], s[0:1], 0x90
	s_load_b64 s[12:13], s[0:1], 0x10
	s_wait_kmcnt 0x0
	v_mul_hi_u32 v4, s30, v3
	v_mul_hi_u32 v5, s27, v1
	;; [unrolled: 1-line block ×3, first 2 shown]
	v_mul_lo_u32 v7, v2, s20
	v_mul_lo_u32 v8, v2, s16
	s_delay_alu instid0(VALU_DEP_4) | instskip(NEXT) | instid1(VALU_DEP_3)
	v_dual_add_nc_u32 v4, v3, v4 :: v_dual_add_nc_u32 v5, v1, v5
	v_mad_u32 v7, v1, s21, v7
	s_delay_alu instid0(VALU_DEP_3) | instskip(NEXT) | instid1(VALU_DEP_3)
	v_mad_u32 v8, v1, s17, v8
	v_dual_lshrrev_b32 v4, s31, v4 :: v_dual_lshrrev_b32 v5, s28, v5
	s_delay_alu instid0(VALU_DEP_1) | instskip(SKIP_1) | instid1(VALU_DEP_3)
	v_mul_lo_u32 v4, v4, s2
	v_add_nc_u32_e32 v6, v2, v6
	v_mul_lo_u32 v5, v5, s29
	s_load_b64 s[2:3], s[0:1], 0x0
	v_mad_u32 v8, v3, s18, v8
	s_delay_alu instid0(VALU_DEP_3) | instskip(NEXT) | instid1(VALU_DEP_3)
	v_dual_sub_nc_u32 v4, v3, v4 :: v_dual_lshrrev_b32 v6, s25, v6
	v_sub_nc_u32_e32 v5, v1, v5
	s_delay_alu instid0(VALU_DEP_2) | instskip(NEXT) | instid1(VALU_DEP_3)
	v_mul_lo_u32 v9, v4, s6
	v_mul_lo_u32 v6, v6, s26
	s_load_b32 s6, s[10:11], 0x0
	s_load_b32 s9, s[0:1], 0x38
	v_mad_u32 v4, v3, s22, v7
	s_load_b256 s[24:31], s[0:1], 0xb0
	v_mov_b32_e32 v1, 0
	s_wait_xcnt 0x0
	s_mov_b32 s1, 0
	s_wait_kmcnt 0x0
	s_cmp_lg_u64 s[2:3], 0
	s_mov_b32 s0, s14
	v_mad_u32 v7, v5, s5, v9
	v_sub_nc_u32_e32 v2, v2, v6
	v_mul_lo_u32 v6, s19, v0
	v_dual_mov_b32 v5, v1 :: v_dual_mov_b32 v9, v1
	v_mov_b32_e32 v3, v1
	s_delay_alu instid0(VALU_DEP_2) | instskip(NEXT) | instid1(VALU_DEP_3)
	v_lshl_add_u64 v[4:5], v[4:5], 2, s[2:3]
	v_lshl_add_u64 v[8:9], v[8:9], 2, s[12:13]
	s_mul_i32 s2, s6, s7
	v_mad_u32 v2, v2, s4, v7
	s_cselect_b32 s3, -1, 0
	s_mul_i32 s4, s2, s19
	s_sub_co_i32 s5, 0, s9
	s_mov_b32 s6, s1
	s_branch .LBB81_4
.LBB81_3:                               ;   in Loop: Header=BB81_4 Depth=1
	s_wait_xcnt 0x0
	v_mul_u64_e32 v[10:11], s[0:1], v[0:1]
	s_delay_alu instid0(VALU_DEP_1) | instskip(NEXT) | instid1(VALU_DEP_1)
	v_dual_add_nc_u32 v6, s4, v6 :: v_dual_add_nc_u32 v10, v0, v11
	v_dual_mov_b32 v11, v1 :: v_dual_lshrrev_b32 v10, s15, v10
	s_delay_alu instid0(VALU_DEP_1) | instskip(NEXT) | instid1(VALU_DEP_1)
	v_mad_u32 v10, s5, v10, v0
	v_mul_lo_u32 v10, v10, s23
	s_delay_alu instid0(VALU_DEP_1) | instskip(NEXT) | instid1(VALU_DEP_1)
	v_add_nc_u64_e32 v[10:11], v[10:11], v[2:3]
	v_lshlrev_b64_e32 v[10:11], 2, v[10:11]
	s_delay_alu instid0(VALU_DEP_1)
	v_add_nc_u64_e32 v[12:13], s[36:37], v[10:11]
	v_add_nc_u64_e32 v[14:15], s[38:39], v[10:11]
	global_load_b32 v16, v[12:13], off
	s_wait_xcnt 0x0
	v_add_nc_u64_e32 v[12:13], s[40:41], v[10:11]
	global_load_b32 v17, v[14:15], off
	s_wait_xcnt 0x0
	;; [unrolled: 3-line block ×4, first 2 shown]
	v_add_nc_u64_e32 v[14:15], s[26:27], v[10:11]
	v_add_nc_u64_e32 v[10:11], s[28:29], v[10:11]
	global_load_b32 v12, v[12:13], off
	global_load_b32 v13, v[14:15], off
	;; [unrolled: 1-line block ×3, first 2 shown]
	s_wait_xcnt 0x0
	v_dual_mov_b32 v10, v0 :: v_dual_ashrrev_i32 v11, 31, v0
	v_add_nc_u32_e32 v0, s2, v0
	s_delay_alu instid0(VALU_DEP_2) | instskip(NEXT) | instid1(VALU_DEP_2)
	v_lshl_add_u64 v[10:11], v[10:11], 2, v[8:9]
	v_cmp_le_i32_e32 vcc_lo, s8, v0
	s_or_b32 s6, vcc_lo, s6
	s_wait_loadcnt 0x6
	v_add_f32_e32 v7, v7, v16
	s_wait_loadcnt 0x5
	s_delay_alu instid0(VALU_DEP_1) | instskip(SKIP_1) | instid1(VALU_DEP_1)
	v_add_f32_e32 v7, v7, v17
	s_wait_loadcnt 0x4
	v_add_f32_e32 v7, v7, v18
	s_wait_loadcnt 0x3
	s_delay_alu instid0(VALU_DEP_1) | instskip(SKIP_1) | instid1(VALU_DEP_1)
	v_add_f32_e32 v7, v7, v19
	;; [unrolled: 5-line block ×3, first 2 shown]
	s_wait_loadcnt 0x0
	v_add_f32_e32 v7, v7, v20
	global_store_b32 v[10:11], v7, off
	s_wait_xcnt 0x0
	s_and_not1_b32 exec_lo, exec_lo, s6
	s_cbranch_execz .LBB81_6
.LBB81_4:                               ; =>This Inner Loop Header: Depth=1
	v_mov_b32_e32 v7, 0
	s_and_not1_b32 vcc_lo, exec_lo, s3
	s_cbranch_vccnz .LBB81_3
; %bb.5:                                ;   in Loop: Header=BB81_4 Depth=1
	v_ashrrev_i32_e32 v7, 31, v6
	s_delay_alu instid0(VALU_DEP_1)
	v_lshl_add_u64 v[10:11], v[6:7], 2, v[4:5]
	global_load_b32 v7, v[10:11], off
	s_branch .LBB81_3
.LBB81_6:
	s_endpgm
	.section	.rodata,"a",@progbits
	.p2align	6, 0x0
	.amdhsa_kernel _ZL11k_bin_bcastIXadL_ZL6op_addffEEfffJPKfS1_S1_S1_S1_S1_S1_EEvPKT0_PKT1_PT2_iii15HIP_vector_typeIjLj3EESB_SB_SB_SB_iiiiiiiiiiiDpT3_
		.amdhsa_group_segment_fixed_size 0
		.amdhsa_private_segment_fixed_size 0
		.amdhsa_kernarg_size 456
		.amdhsa_user_sgpr_count 2
		.amdhsa_user_sgpr_dispatch_ptr 0
		.amdhsa_user_sgpr_queue_ptr 0
		.amdhsa_user_sgpr_kernarg_segment_ptr 1
		.amdhsa_user_sgpr_dispatch_id 0
		.amdhsa_user_sgpr_kernarg_preload_length 0
		.amdhsa_user_sgpr_kernarg_preload_offset 0
		.amdhsa_user_sgpr_private_segment_size 0
		.amdhsa_wavefront_size32 1
		.amdhsa_uses_dynamic_stack 0
		.amdhsa_enable_private_segment 0
		.amdhsa_system_sgpr_workgroup_id_x 1
		.amdhsa_system_sgpr_workgroup_id_y 1
		.amdhsa_system_sgpr_workgroup_id_z 1
		.amdhsa_system_sgpr_workgroup_info 0
		.amdhsa_system_vgpr_workitem_id 2
		.amdhsa_next_free_vgpr 21
		.amdhsa_next_free_sgpr 44
		.amdhsa_named_barrier_count 0
		.amdhsa_reserve_vcc 1
		.amdhsa_float_round_mode_32 0
		.amdhsa_float_round_mode_16_64 0
		.amdhsa_float_denorm_mode_32 3
		.amdhsa_float_denorm_mode_16_64 3
		.amdhsa_fp16_overflow 0
		.amdhsa_memory_ordered 1
		.amdhsa_forward_progress 1
		.amdhsa_inst_pref_size 9
		.amdhsa_round_robin_scheduling 0
		.amdhsa_exception_fp_ieee_invalid_op 0
		.amdhsa_exception_fp_denorm_src 0
		.amdhsa_exception_fp_ieee_div_zero 0
		.amdhsa_exception_fp_ieee_overflow 0
		.amdhsa_exception_fp_ieee_underflow 0
		.amdhsa_exception_fp_ieee_inexact 0
		.amdhsa_exception_int_div_zero 0
	.end_amdhsa_kernel
	.section	.text._ZL11k_bin_bcastIXadL_ZL6op_addffEEfffJPKfS1_S1_S1_S1_S1_S1_EEvPKT0_PKT1_PT2_iii15HIP_vector_typeIjLj3EESB_SB_SB_SB_iiiiiiiiiiiDpT3_,"axG",@progbits,_ZL11k_bin_bcastIXadL_ZL6op_addffEEfffJPKfS1_S1_S1_S1_S1_S1_EEvPKT0_PKT1_PT2_iii15HIP_vector_typeIjLj3EESB_SB_SB_SB_iiiiiiiiiiiDpT3_,comdat
.Lfunc_end81:
	.size	_ZL11k_bin_bcastIXadL_ZL6op_addffEEfffJPKfS1_S1_S1_S1_S1_S1_EEvPKT0_PKT1_PT2_iii15HIP_vector_typeIjLj3EESB_SB_SB_SB_iiiiiiiiiiiDpT3_, .Lfunc_end81-_ZL11k_bin_bcastIXadL_ZL6op_addffEEfffJPKfS1_S1_S1_S1_S1_S1_EEvPKT0_PKT1_PT2_iii15HIP_vector_typeIjLj3EESB_SB_SB_SB_iiiiiiiiiiiDpT3_
                                        ; -- End function
	.set _ZL11k_bin_bcastIXadL_ZL6op_addffEEfffJPKfS1_S1_S1_S1_S1_S1_EEvPKT0_PKT1_PT2_iii15HIP_vector_typeIjLj3EESB_SB_SB_SB_iiiiiiiiiiiDpT3_.num_vgpr, 21
	.set _ZL11k_bin_bcastIXadL_ZL6op_addffEEfffJPKfS1_S1_S1_S1_S1_S1_EEvPKT0_PKT1_PT2_iii15HIP_vector_typeIjLj3EESB_SB_SB_SB_iiiiiiiiiiiDpT3_.num_agpr, 0
	.set _ZL11k_bin_bcastIXadL_ZL6op_addffEEfffJPKfS1_S1_S1_S1_S1_S1_EEvPKT0_PKT1_PT2_iii15HIP_vector_typeIjLj3EESB_SB_SB_SB_iiiiiiiiiiiDpT3_.numbered_sgpr, 44
	.set _ZL11k_bin_bcastIXadL_ZL6op_addffEEfffJPKfS1_S1_S1_S1_S1_S1_EEvPKT0_PKT1_PT2_iii15HIP_vector_typeIjLj3EESB_SB_SB_SB_iiiiiiiiiiiDpT3_.num_named_barrier, 0
	.set _ZL11k_bin_bcastIXadL_ZL6op_addffEEfffJPKfS1_S1_S1_S1_S1_S1_EEvPKT0_PKT1_PT2_iii15HIP_vector_typeIjLj3EESB_SB_SB_SB_iiiiiiiiiiiDpT3_.private_seg_size, 0
	.set _ZL11k_bin_bcastIXadL_ZL6op_addffEEfffJPKfS1_S1_S1_S1_S1_S1_EEvPKT0_PKT1_PT2_iii15HIP_vector_typeIjLj3EESB_SB_SB_SB_iiiiiiiiiiiDpT3_.uses_vcc, 1
	.set _ZL11k_bin_bcastIXadL_ZL6op_addffEEfffJPKfS1_S1_S1_S1_S1_S1_EEvPKT0_PKT1_PT2_iii15HIP_vector_typeIjLj3EESB_SB_SB_SB_iiiiiiiiiiiDpT3_.uses_flat_scratch, 0
	.set _ZL11k_bin_bcastIXadL_ZL6op_addffEEfffJPKfS1_S1_S1_S1_S1_S1_EEvPKT0_PKT1_PT2_iii15HIP_vector_typeIjLj3EESB_SB_SB_SB_iiiiiiiiiiiDpT3_.has_dyn_sized_stack, 0
	.set _ZL11k_bin_bcastIXadL_ZL6op_addffEEfffJPKfS1_S1_S1_S1_S1_S1_EEvPKT0_PKT1_PT2_iii15HIP_vector_typeIjLj3EESB_SB_SB_SB_iiiiiiiiiiiDpT3_.has_recursion, 0
	.set _ZL11k_bin_bcastIXadL_ZL6op_addffEEfffJPKfS1_S1_S1_S1_S1_S1_EEvPKT0_PKT1_PT2_iii15HIP_vector_typeIjLj3EESB_SB_SB_SB_iiiiiiiiiiiDpT3_.has_indirect_call, 0
	.section	.AMDGPU.csdata,"",@progbits
; Kernel info:
; codeLenInByte = 1056
; TotalNumSgprs: 46
; NumVgprs: 21
; ScratchSize: 0
; MemoryBound: 0
; FloatMode: 240
; IeeeMode: 1
; LDSByteSize: 0 bytes/workgroup (compile time only)
; SGPRBlocks: 0
; VGPRBlocks: 1
; NumSGPRsForWavesPerEU: 46
; NumVGPRsForWavesPerEU: 21
; NamedBarCnt: 0
; Occupancy: 16
; WaveLimiterHint : 1
; COMPUTE_PGM_RSRC2:SCRATCH_EN: 0
; COMPUTE_PGM_RSRC2:USER_SGPR: 2
; COMPUTE_PGM_RSRC2:TRAP_HANDLER: 0
; COMPUTE_PGM_RSRC2:TGID_X_EN: 1
; COMPUTE_PGM_RSRC2:TGID_Y_EN: 1
; COMPUTE_PGM_RSRC2:TGID_Z_EN: 1
; COMPUTE_PGM_RSRC2:TIDIG_COMP_CNT: 2
	.section	.text._ZL19k_bin_bcast_unravelIXadL_ZL6op_addffEE6__halfS0_S0_JPKS0_S2_S2_S2_S2_S2_S2_EEvPKT0_PKT1_PT2_15HIP_vector_typeIjLj3EESC_SC_jSC_SC_SC_SC_SC_SC_iiiiiiiiiiiDpT3_,"axG",@progbits,_ZL19k_bin_bcast_unravelIXadL_ZL6op_addffEE6__halfS0_S0_JPKS0_S2_S2_S2_S2_S2_S2_EEvPKT0_PKT1_PT2_15HIP_vector_typeIjLj3EESC_SC_jSC_SC_SC_SC_SC_SC_iiiiiiiiiiiDpT3_,comdat
	.globl	_ZL19k_bin_bcast_unravelIXadL_ZL6op_addffEE6__halfS0_S0_JPKS0_S2_S2_S2_S2_S2_S2_EEvPKT0_PKT1_PT2_15HIP_vector_typeIjLj3EESC_SC_jSC_SC_SC_SC_SC_SC_iiiiiiiiiiiDpT3_ ; -- Begin function _ZL19k_bin_bcast_unravelIXadL_ZL6op_addffEE6__halfS0_S0_JPKS0_S2_S2_S2_S2_S2_S2_EEvPKT0_PKT1_PT2_15HIP_vector_typeIjLj3EESC_SC_jSC_SC_SC_SC_SC_SC_iiiiiiiiiiiDpT3_
	.p2align	8
	.type	_ZL19k_bin_bcast_unravelIXadL_ZL6op_addffEE6__halfS0_S0_JPKS0_S2_S2_S2_S2_S2_S2_EEvPKT0_PKT1_PT2_15HIP_vector_typeIjLj3EESC_SC_jSC_SC_SC_SC_SC_SC_iiiiiiiiiiiDpT3_,@function
_ZL19k_bin_bcast_unravelIXadL_ZL6op_addffEE6__halfS0_S0_JPKS0_S2_S2_S2_S2_S2_S2_EEvPKT0_PKT1_PT2_15HIP_vector_typeIjLj3EESC_SC_jSC_SC_SC_SC_SC_SC_iiiiiiiiiiiDpT3_: ; @_ZL19k_bin_bcast_unravelIXadL_ZL6op_addffEE6__halfS0_S0_JPKS0_S2_S2_S2_S2_S2_S2_EEvPKT0_PKT1_PT2_15HIP_vector_typeIjLj3EESC_SC_jSC_SC_SC_SC_SC_SC_iiiiiiiiiiiDpT3_
; %bb.0:
	s_load_b32 s2, s[0:1], 0xfc
	s_bfe_u32 s3, ttmp6, 0x4000c
	s_load_b256 s[4:11], s[0:1], 0x38
	s_add_co_i32 s3, s3, 1
	s_and_b32 s12, ttmp6, 15
	s_mul_i32 s3, ttmp9, s3
	s_getreg_b32 s13, hwreg(HW_REG_IB_STS2, 6, 4)
	s_add_co_i32 s12, s12, s3
	s_wait_kmcnt 0x0
	s_and_b32 s2, s2, 0xffff
	s_cmp_eq_u32 s13, 0
	s_cselect_b32 s3, ttmp9, s12
	s_delay_alu instid0(SALU_CYCLE_1) | instskip(SKIP_1) | instid1(VALU_DEP_1)
	v_mad_u32 v0, s3, s2, v0
	s_load_b32 s2, s[0:1], 0x2c
	v_mul_hi_u32 v1, v0, s6
	s_delay_alu instid0(VALU_DEP_1) | instskip(NEXT) | instid1(VALU_DEP_1)
	v_add_nc_u32_e32 v1, v0, v1
	v_lshrrev_b32_e32 v1, s7, v1
	s_delay_alu instid0(VALU_DEP_1) | instskip(NEXT) | instid1(VALU_DEP_1)
	v_mul_lo_u32 v2, v1, s8
	v_sub_nc_u32_e32 v0, v0, v2
	s_delay_alu instid0(VALU_DEP_1) | instskip(NEXT) | instid1(VALU_DEP_1)
	v_mul_hi_u32 v2, v0, s9
	v_add_nc_u32_e32 v2, v0, v2
	s_delay_alu instid0(VALU_DEP_1) | instskip(SKIP_1) | instid1(VALU_DEP_1)
	v_lshrrev_b32_e32 v2, s10, v2
	s_load_b96 s[8:10], s[0:1], 0x18
	v_mul_lo_u32 v3, v2, s11
	s_delay_alu instid0(VALU_DEP_1) | instskip(SKIP_3) | instid1(VALU_DEP_3)
	v_sub_nc_u32_e32 v0, v0, v3
	v_cmp_gt_u32_e64 s3, s4, v2
	v_cmp_gt_u32_e64 s4, s5, v1
	s_wait_kmcnt 0x0
	v_mul_hi_u32 v3, v0, s8
	s_delay_alu instid0(VALU_DEP_1) | instskip(NEXT) | instid1(VALU_DEP_1)
	v_add_nc_u32_e32 v3, v0, v3
	v_lshrrev_b32_e32 v4, s9, v3
	s_delay_alu instid0(VALU_DEP_1) | instskip(NEXT) | instid1(VALU_DEP_1)
	v_mul_lo_u32 v3, v4, s10
	v_sub_nc_u32_e32 v0, v0, v3
	v_cmp_gt_u32_e64 s2, s2, v4
	s_delay_alu instid0(VALU_DEP_2) | instskip(SKIP_1) | instid1(SALU_CYCLE_1)
	v_cmp_gt_u32_e32 vcc_lo, s10, v0
	s_and_b32 s2, vcc_lo, s2
	s_and_b32 s2, s2, s3
	s_delay_alu instid0(SALU_CYCLE_1) | instskip(NEXT) | instid1(SALU_CYCLE_1)
	s_and_b32 s2, s4, s2
	s_and_saveexec_b32 s3, s2
	s_cbranch_execz .LBB82_4
; %bb.1:
	s_clause 0x4
	s_load_b64 s[2:3], s[0:1], 0x0
	s_load_b96 s[24:26], s[0:1], 0xa8
	s_load_b256 s[4:11], s[0:1], 0x88
	s_load_b128 s[20:23], s[0:1], 0x78
	s_load_b256 s[12:19], s[0:1], 0x58
	v_dual_mov_b32 v3, 0 :: v_dual_mov_b32 v5, 0
	s_wait_kmcnt 0x0
	s_cmp_eq_u64 s[2:3], 0
	s_cbranch_scc1 .LBB82_3
; %bb.2:
	v_mul_lo_u32 v5, v1, s10
	v_mov_b32_e32 v7, 0
	s_delay_alu instid0(VALU_DEP_2) | instskip(NEXT) | instid1(VALU_DEP_1)
	v_mad_u32 v5, v2, s9, v5
	v_mad_u32 v6, v4, s8, v5
	s_delay_alu instid0(VALU_DEP_1) | instskip(SKIP_1) | instid1(VALU_DEP_1)
	v_lshl_add_u64 v[8:9], v[6:7], 1, s[2:3]
	v_mul_lo_u32 v6, v0, s7
	v_lshl_add_u64 v[6:7], v[6:7], 1, v[8:9]
	global_load_u16 v5, v[6:7], off
	s_wait_loadcnt 0x0
	v_cvt_f32_f16_e32 v5, v5
.LBB82_3:
	v_mul_hi_u32 v6, s21, v1
	v_mul_hi_u32 v7, s18, v2
	;; [unrolled: 1-line block ×4, first 2 shown]
	s_load_b64 s[2:3], s[0:1], 0xe8
	s_delay_alu instid0(VALU_DEP_3) | instskip(NEXT) | instid1(VALU_DEP_1)
	v_dual_add_nc_u32 v6, v1, v6 :: v_dual_add_nc_u32 v7, v2, v7
	v_dual_lshrrev_b32 v6, s22, v6 :: v_dual_lshrrev_b32 v7, s19, v7
	s_delay_alu instid0(VALU_DEP_1) | instskip(SKIP_1) | instid1(VALU_DEP_3)
	v_mul_lo_u32 v6, v6, s23
	v_add_nc_u32_e32 v8, v4, v8
	v_mul_lo_u32 v7, v7, s20
	s_delay_alu instid0(VALU_DEP_3) | instskip(NEXT) | instid1(VALU_DEP_2)
	v_dual_sub_nc_u32 v6, v1, v6 :: v_dual_add_nc_u32 v9, v0, v9
	v_dual_lshrrev_b32 v8, s16, v8 :: v_dual_sub_nc_u32 v7, v2, v7
	v_mul_lo_u32 v1, v1, s6
	s_delay_alu instid0(VALU_DEP_3) | instskip(NEXT) | instid1(VALU_DEP_4)
	v_mul_lo_u32 v6, v6, s26
	v_lshrrev_b32_e32 v9, s13, v9
	s_delay_alu instid0(VALU_DEP_4) | instskip(SKIP_1) | instid1(VALU_DEP_2)
	v_mul_lo_u32 v8, v8, s17
	s_load_b128 s[16:19], s[0:1], 0xd8
	v_mul_lo_u32 v9, v9, s14
	v_mad_u32 v1, v2, s5, v1
	v_mad_u32 v7, v7, s25, v6
	s_delay_alu instid0(VALU_DEP_4) | instskip(NEXT) | instid1(VALU_DEP_1)
	v_sub_nc_u32_e32 v8, v4, v8
	v_mad_u32 v8, v8, s24, v7
	s_delay_alu instid0(VALU_DEP_1) | instskip(NEXT) | instid1(VALU_DEP_1)
	v_dual_sub_nc_u32 v6, v0, v9 :: v_dual_ashrrev_i32 v9, 31, v8
	v_mul_lo_u32 v6, v6, s11
	s_load_b256 s[8:15], s[0:1], 0xb8
	s_delay_alu instid0(VALU_DEP_1) | instskip(SKIP_2) | instid1(VALU_DEP_1)
	v_ashrrev_i32_e32 v7, 31, v6
	s_wait_xcnt 0x0
	s_load_b64 s[0:1], s[0:1], 0x10
	v_add_nc_u64_e32 v[6:7], v[6:7], v[8:9]
	s_delay_alu instid0(VALU_DEP_1) | instskip(SKIP_1) | instid1(VALU_DEP_1)
	v_lshlrev_b64_e32 v[6:7], 1, v[6:7]
	s_wait_kmcnt 0x0
	v_add_nc_u64_e32 v[8:9], s[8:9], v[6:7]
	v_add_nc_u64_e32 v[10:11], s[10:11], v[6:7]
	global_load_u16 v12, v[8:9], off
	s_wait_xcnt 0x0
	v_add_nc_u64_e32 v[8:9], s[12:13], v[6:7]
	global_load_u16 v13, v[10:11], off
	s_wait_xcnt 0x0
	;; [unrolled: 3-line block ×4, first 2 shown]
	v_add_nc_u64_e32 v[10:11], s[18:19], v[6:7]
	v_add_nc_u64_e32 v[6:7], s[2:3], v[6:7]
	global_load_u16 v8, v[8:9], off
	global_load_u16 v9, v[10:11], off
	;; [unrolled: 1-line block ×3, first 2 shown]
	s_wait_loadcnt 0x6
	s_wait_xcnt 0x0
	v_cvt_f32_f16_e32 v6, v12
	s_wait_loadcnt 0x5
	v_cvt_f32_f16_e32 v7, v13
	s_delay_alu instid0(VALU_DEP_2) | instskip(SKIP_2) | instid1(VALU_DEP_2)
	v_add_f32_e32 v5, v5, v6
	s_wait_loadcnt 0x4
	v_cvt_f32_f16_e32 v6, v14
	v_add_f32_e32 v5, v5, v7
	s_wait_loadcnt 0x3
	v_cvt_f32_f16_e32 v2, v15
	s_delay_alu instid0(VALU_DEP_2) | instskip(SKIP_2) | instid1(VALU_DEP_2)
	v_add_f32_e32 v5, v5, v6
	s_wait_loadcnt 0x2
	v_cvt_f32_f16_e32 v6, v8
	v_add_f32_e32 v5, v5, v2
	v_mad_u32 v2, v4, s4, v1
	s_wait_loadcnt 0x1
	v_cvt_f32_f16_e32 v1, v9
	s_delay_alu instid0(VALU_DEP_3) | instskip(SKIP_2) | instid1(VALU_DEP_2)
	v_add_f32_e32 v4, v5, v6
	s_wait_loadcnt 0x0
	v_cvt_f32_f16_e32 v5, v16
	v_dual_add_f32 v4, v4, v1 :: v_dual_mov_b32 v1, v3
	v_lshl_add_u64 v[2:3], v[2:3], 1, s[0:1]
	s_delay_alu instid0(VALU_DEP_2) | instskip(NEXT) | instid1(VALU_DEP_2)
	v_add_f32_e32 v4, v4, v5
	v_lshl_add_u64 v[0:1], v[0:1], 1, v[2:3]
	s_delay_alu instid0(VALU_DEP_2)
	v_cvt_f16_f32_e32 v4, v4
	global_store_b16 v[0:1], v4, off
.LBB82_4:
	s_endpgm
	.section	.rodata,"a",@progbits
	.p2align	6, 0x0
	.amdhsa_kernel _ZL19k_bin_bcast_unravelIXadL_ZL6op_addffEE6__halfS0_S0_JPKS0_S2_S2_S2_S2_S2_S2_EEvPKT0_PKT1_PT2_15HIP_vector_typeIjLj3EESC_SC_jSC_SC_SC_SC_SC_SC_iiiiiiiiiiiDpT3_
		.amdhsa_group_segment_fixed_size 0
		.amdhsa_private_segment_fixed_size 0
		.amdhsa_kernarg_size 496
		.amdhsa_user_sgpr_count 2
		.amdhsa_user_sgpr_dispatch_ptr 0
		.amdhsa_user_sgpr_queue_ptr 0
		.amdhsa_user_sgpr_kernarg_segment_ptr 1
		.amdhsa_user_sgpr_dispatch_id 0
		.amdhsa_user_sgpr_kernarg_preload_length 0
		.amdhsa_user_sgpr_kernarg_preload_offset 0
		.amdhsa_user_sgpr_private_segment_size 0
		.amdhsa_wavefront_size32 1
		.amdhsa_uses_dynamic_stack 0
		.amdhsa_enable_private_segment 0
		.amdhsa_system_sgpr_workgroup_id_x 1
		.amdhsa_system_sgpr_workgroup_id_y 0
		.amdhsa_system_sgpr_workgroup_id_z 0
		.amdhsa_system_sgpr_workgroup_info 0
		.amdhsa_system_vgpr_workitem_id 0
		.amdhsa_next_free_vgpr 17
		.amdhsa_next_free_sgpr 27
		.amdhsa_named_barrier_count 0
		.amdhsa_reserve_vcc 1
		.amdhsa_float_round_mode_32 0
		.amdhsa_float_round_mode_16_64 0
		.amdhsa_float_denorm_mode_32 3
		.amdhsa_float_denorm_mode_16_64 3
		.amdhsa_fp16_overflow 0
		.amdhsa_memory_ordered 1
		.amdhsa_forward_progress 1
		.amdhsa_inst_pref_size 8
		.amdhsa_round_robin_scheduling 0
		.amdhsa_exception_fp_ieee_invalid_op 0
		.amdhsa_exception_fp_denorm_src 0
		.amdhsa_exception_fp_ieee_div_zero 0
		.amdhsa_exception_fp_ieee_overflow 0
		.amdhsa_exception_fp_ieee_underflow 0
		.amdhsa_exception_fp_ieee_inexact 0
		.amdhsa_exception_int_div_zero 0
	.end_amdhsa_kernel
	.section	.text._ZL19k_bin_bcast_unravelIXadL_ZL6op_addffEE6__halfS0_S0_JPKS0_S2_S2_S2_S2_S2_S2_EEvPKT0_PKT1_PT2_15HIP_vector_typeIjLj3EESC_SC_jSC_SC_SC_SC_SC_SC_iiiiiiiiiiiDpT3_,"axG",@progbits,_ZL19k_bin_bcast_unravelIXadL_ZL6op_addffEE6__halfS0_S0_JPKS0_S2_S2_S2_S2_S2_S2_EEvPKT0_PKT1_PT2_15HIP_vector_typeIjLj3EESC_SC_jSC_SC_SC_SC_SC_SC_iiiiiiiiiiiDpT3_,comdat
.Lfunc_end82:
	.size	_ZL19k_bin_bcast_unravelIXadL_ZL6op_addffEE6__halfS0_S0_JPKS0_S2_S2_S2_S2_S2_S2_EEvPKT0_PKT1_PT2_15HIP_vector_typeIjLj3EESC_SC_jSC_SC_SC_SC_SC_SC_iiiiiiiiiiiDpT3_, .Lfunc_end82-_ZL19k_bin_bcast_unravelIXadL_ZL6op_addffEE6__halfS0_S0_JPKS0_S2_S2_S2_S2_S2_S2_EEvPKT0_PKT1_PT2_15HIP_vector_typeIjLj3EESC_SC_jSC_SC_SC_SC_SC_SC_iiiiiiiiiiiDpT3_
                                        ; -- End function
	.set _ZL19k_bin_bcast_unravelIXadL_ZL6op_addffEE6__halfS0_S0_JPKS0_S2_S2_S2_S2_S2_S2_EEvPKT0_PKT1_PT2_15HIP_vector_typeIjLj3EESC_SC_jSC_SC_SC_SC_SC_SC_iiiiiiiiiiiDpT3_.num_vgpr, 17
	.set _ZL19k_bin_bcast_unravelIXadL_ZL6op_addffEE6__halfS0_S0_JPKS0_S2_S2_S2_S2_S2_S2_EEvPKT0_PKT1_PT2_15HIP_vector_typeIjLj3EESC_SC_jSC_SC_SC_SC_SC_SC_iiiiiiiiiiiDpT3_.num_agpr, 0
	.set _ZL19k_bin_bcast_unravelIXadL_ZL6op_addffEE6__halfS0_S0_JPKS0_S2_S2_S2_S2_S2_S2_EEvPKT0_PKT1_PT2_15HIP_vector_typeIjLj3EESC_SC_jSC_SC_SC_SC_SC_SC_iiiiiiiiiiiDpT3_.numbered_sgpr, 27
	.set _ZL19k_bin_bcast_unravelIXadL_ZL6op_addffEE6__halfS0_S0_JPKS0_S2_S2_S2_S2_S2_S2_EEvPKT0_PKT1_PT2_15HIP_vector_typeIjLj3EESC_SC_jSC_SC_SC_SC_SC_SC_iiiiiiiiiiiDpT3_.num_named_barrier, 0
	.set _ZL19k_bin_bcast_unravelIXadL_ZL6op_addffEE6__halfS0_S0_JPKS0_S2_S2_S2_S2_S2_S2_EEvPKT0_PKT1_PT2_15HIP_vector_typeIjLj3EESC_SC_jSC_SC_SC_SC_SC_SC_iiiiiiiiiiiDpT3_.private_seg_size, 0
	.set _ZL19k_bin_bcast_unravelIXadL_ZL6op_addffEE6__halfS0_S0_JPKS0_S2_S2_S2_S2_S2_S2_EEvPKT0_PKT1_PT2_15HIP_vector_typeIjLj3EESC_SC_jSC_SC_SC_SC_SC_SC_iiiiiiiiiiiDpT3_.uses_vcc, 1
	.set _ZL19k_bin_bcast_unravelIXadL_ZL6op_addffEE6__halfS0_S0_JPKS0_S2_S2_S2_S2_S2_S2_EEvPKT0_PKT1_PT2_15HIP_vector_typeIjLj3EESC_SC_jSC_SC_SC_SC_SC_SC_iiiiiiiiiiiDpT3_.uses_flat_scratch, 0
	.set _ZL19k_bin_bcast_unravelIXadL_ZL6op_addffEE6__halfS0_S0_JPKS0_S2_S2_S2_S2_S2_S2_EEvPKT0_PKT1_PT2_15HIP_vector_typeIjLj3EESC_SC_jSC_SC_SC_SC_SC_SC_iiiiiiiiiiiDpT3_.has_dyn_sized_stack, 0
	.set _ZL19k_bin_bcast_unravelIXadL_ZL6op_addffEE6__halfS0_S0_JPKS0_S2_S2_S2_S2_S2_S2_EEvPKT0_PKT1_PT2_15HIP_vector_typeIjLj3EESC_SC_jSC_SC_SC_SC_SC_SC_iiiiiiiiiiiDpT3_.has_recursion, 0
	.set _ZL19k_bin_bcast_unravelIXadL_ZL6op_addffEE6__halfS0_S0_JPKS0_S2_S2_S2_S2_S2_S2_EEvPKT0_PKT1_PT2_15HIP_vector_typeIjLj3EESC_SC_jSC_SC_SC_SC_SC_SC_iiiiiiiiiiiDpT3_.has_indirect_call, 0
	.section	.AMDGPU.csdata,"",@progbits
; Kernel info:
; codeLenInByte = 968
; TotalNumSgprs: 29
; NumVgprs: 17
; ScratchSize: 0
; MemoryBound: 0
; FloatMode: 240
; IeeeMode: 1
; LDSByteSize: 0 bytes/workgroup (compile time only)
; SGPRBlocks: 0
; VGPRBlocks: 1
; NumSGPRsForWavesPerEU: 29
; NumVGPRsForWavesPerEU: 17
; NamedBarCnt: 0
; Occupancy: 16
; WaveLimiterHint : 1
; COMPUTE_PGM_RSRC2:SCRATCH_EN: 0
; COMPUTE_PGM_RSRC2:USER_SGPR: 2
; COMPUTE_PGM_RSRC2:TRAP_HANDLER: 0
; COMPUTE_PGM_RSRC2:TGID_X_EN: 1
; COMPUTE_PGM_RSRC2:TGID_Y_EN: 0
; COMPUTE_PGM_RSRC2:TGID_Z_EN: 0
; COMPUTE_PGM_RSRC2:TIDIG_COMP_CNT: 0
	.section	.text._ZL11k_bin_bcastIXadL_ZL6op_addffEE6__halfS0_S0_JPKS0_S2_S2_S2_S2_S2_S2_EEvPKT0_PKT1_PT2_iii15HIP_vector_typeIjLj3EESC_SC_SC_SC_iiiiiiiiiiiDpT3_,"axG",@progbits,_ZL11k_bin_bcastIXadL_ZL6op_addffEE6__halfS0_S0_JPKS0_S2_S2_S2_S2_S2_S2_EEvPKT0_PKT1_PT2_iii15HIP_vector_typeIjLj3EESC_SC_SC_SC_iiiiiiiiiiiDpT3_,comdat
	.globl	_ZL11k_bin_bcastIXadL_ZL6op_addffEE6__halfS0_S0_JPKS0_S2_S2_S2_S2_S2_S2_EEvPKT0_PKT1_PT2_iii15HIP_vector_typeIjLj3EESC_SC_SC_SC_iiiiiiiiiiiDpT3_ ; -- Begin function _ZL11k_bin_bcastIXadL_ZL6op_addffEE6__halfS0_S0_JPKS0_S2_S2_S2_S2_S2_S2_EEvPKT0_PKT1_PT2_iii15HIP_vector_typeIjLj3EESC_SC_SC_SC_iiiiiiiiiiiDpT3_
	.p2align	8
	.type	_ZL11k_bin_bcastIXadL_ZL6op_addffEE6__halfS0_S0_JPKS0_S2_S2_S2_S2_S2_S2_EEvPKT0_PKT1_PT2_iii15HIP_vector_typeIjLj3EESC_SC_SC_SC_iiiiiiiiiiiDpT3_,@function
_ZL11k_bin_bcastIXadL_ZL6op_addffEE6__halfS0_S0_JPKS0_S2_S2_S2_S2_S2_S2_EEvPKT0_PKT1_PT2_iii15HIP_vector_typeIjLj3EESC_SC_SC_SC_iiiiiiiiiiiDpT3_: ; @_ZL11k_bin_bcastIXadL_ZL6op_addffEE6__halfS0_S0_JPKS0_S2_S2_S2_S2_S2_S2_EEvPKT0_PKT1_PT2_iii15HIP_vector_typeIjLj3EESC_SC_SC_SC_iiiiiiiiiiiDpT3_
; %bb.0:
	s_load_b64 s[2:3], s[0:1], 0xd4
	s_bfe_u32 s5, ttmp6, 0x40014
	s_bfe_u32 s7, ttmp6, 0x40010
	;; [unrolled: 1-line block ×3, first 2 shown]
	s_lshr_b32 s4, ttmp7, 16
	s_and_b32 s16, ttmp7, 0xffff
	s_add_co_i32 s5, s5, 1
	s_add_co_i32 s7, s7, 1
	s_load_b256 s[8:15], s[0:1], 0x18
	s_add_co_i32 s19, s19, 1
	s_bfe_u32 s6, ttmp6, 0x40008
	s_bfe_u32 s17, ttmp6, 0x40004
	s_mul_i32 s5, s4, s5
	s_mul_i32 s7, s16, s7
	s_and_b32 s18, ttmp6, 15
	s_mul_i32 s19, ttmp9, s19
	s_add_co_i32 s6, s6, s5
	s_add_co_i32 s17, s17, s7
	;; [unrolled: 1-line block ×3, first 2 shown]
	v_bfe_u32 v1, v0, 20, 10
	s_wait_kmcnt 0x0
	s_lshr_b32 s5, s2, 16
	s_and_b32 s7, s2, 0xffff
	s_getreg_b32 s2, hwreg(HW_REG_IB_STS2, 6, 4)
	s_and_b32 s3, s3, 0xffff
	s_cmp_eq_u32 s2, 0
	v_and_b32_e32 v2, 0x3ff, v0
	s_cselect_b32 s2, s4, s6
	v_bfe_u32 v4, v0, 10, 10
	v_mad_u32 v3, s2, s3, v1
	s_cselect_b32 s2, ttmp9, s18
	s_cselect_b32 s3, s16, s17
	v_mad_u32 v0, s2, s7, v2
	v_mad_u32 v2, s3, s5, v4
	s_delay_alu instid0(VALU_DEP_3) | instskip(NEXT) | instid1(VALU_DEP_3)
	v_mul_hi_u32 v1, v3, s11
	v_cmp_gt_u32_e32 vcc_lo, s8, v0
	s_delay_alu instid0(VALU_DEP_3) | instskip(SKIP_2) | instid1(VALU_DEP_1)
	v_cmp_gt_u32_e64 s2, s9, v2
	s_and_b32 s2, vcc_lo, s2
	v_add_nc_u32_e32 v1, v3, v1
	v_lshrrev_b32_e32 v1, s12, v1
	s_delay_alu instid0(VALU_DEP_1) | instskip(SKIP_3) | instid1(VALU_DEP_1)
	v_mul_lo_u32 v5, v1, s13
	v_cmp_gt_u32_e64 s3, s10, v1
	s_and_b32 s2, s2, s3
	v_sub_nc_u32_e32 v3, v3, v5
	v_cmp_gt_u32_e64 s4, s13, v3
	s_and_b32 s2, s2, s4
	s_delay_alu instid0(SALU_CYCLE_1)
	s_and_saveexec_b32 s3, s2
	s_cbranch_execz .LBB83_6
; %bb.1:
	v_cmp_gt_i32_e32 vcc_lo, s8, v0
	s_and_b32 exec_lo, exec_lo, vcc_lo
	s_cbranch_execz .LBB83_6
; %bb.2:
	s_clause 0x3
	s_load_b256 s[24:31], s[0:1], 0x3c
	s_load_b32 s2, s[0:1], 0x5c
	s_load_b256 s[16:23], s[0:1], 0x60
	s_load_b96 s[4:6], s[0:1], 0x80
	s_add_nc_u64 s[10:11], s[0:1], 0xc8
	s_clause 0x1
	s_load_b256 s[36:43], s[0:1], 0x90
	s_load_b64 s[12:13], s[0:1], 0x10
	s_wait_kmcnt 0x0
	v_mul_hi_u32 v4, s30, v3
	v_mul_hi_u32 v5, s27, v1
	;; [unrolled: 1-line block ×3, first 2 shown]
	v_mul_lo_u32 v7, v2, s20
	v_mul_lo_u32 v8, v2, s16
	s_delay_alu instid0(VALU_DEP_4) | instskip(NEXT) | instid1(VALU_DEP_3)
	v_dual_add_nc_u32 v4, v3, v4 :: v_dual_add_nc_u32 v5, v1, v5
	v_mad_u32 v7, v1, s21, v7
	s_delay_alu instid0(VALU_DEP_3) | instskip(NEXT) | instid1(VALU_DEP_3)
	v_mad_u32 v8, v1, s17, v8
	v_dual_lshrrev_b32 v4, s31, v4 :: v_dual_lshrrev_b32 v5, s28, v5
	s_delay_alu instid0(VALU_DEP_1) | instskip(SKIP_1) | instid1(VALU_DEP_3)
	v_mul_lo_u32 v4, v4, s2
	v_add_nc_u32_e32 v6, v2, v6
	v_mul_lo_u32 v5, v5, s29
	s_load_b64 s[2:3], s[0:1], 0x0
	v_mad_u32 v8, v3, s18, v8
	s_delay_alu instid0(VALU_DEP_3) | instskip(NEXT) | instid1(VALU_DEP_3)
	v_dual_sub_nc_u32 v4, v3, v4 :: v_dual_lshrrev_b32 v6, s25, v6
	v_sub_nc_u32_e32 v5, v1, v5
	s_delay_alu instid0(VALU_DEP_2) | instskip(NEXT) | instid1(VALU_DEP_3)
	v_mul_lo_u32 v9, v4, s6
	v_mul_lo_u32 v6, v6, s26
	s_load_b32 s6, s[10:11], 0x0
	s_load_b32 s9, s[0:1], 0x38
	v_mad_u32 v4, v3, s22, v7
	s_load_b256 s[24:31], s[0:1], 0xb0
	v_mov_b32_e32 v1, 0
	s_wait_xcnt 0x0
	s_mov_b32 s1, 0
	s_wait_kmcnt 0x0
	s_cmp_lg_u64 s[2:3], 0
	s_mov_b32 s0, s14
	v_mad_u32 v7, v5, s5, v9
	v_sub_nc_u32_e32 v2, v2, v6
	v_mul_lo_u32 v6, s19, v0
	v_dual_mov_b32 v5, v1 :: v_dual_mov_b32 v9, v1
	v_mov_b32_e32 v3, v1
	s_delay_alu instid0(VALU_DEP_2) | instskip(NEXT) | instid1(VALU_DEP_3)
	v_lshl_add_u64 v[4:5], v[4:5], 1, s[2:3]
	v_lshl_add_u64 v[8:9], v[8:9], 1, s[12:13]
	s_mul_i32 s2, s6, s7
	v_mad_u32 v2, v2, s4, v7
	s_cselect_b32 s3, -1, 0
	s_mul_i32 s4, s2, s19
	s_sub_co_i32 s5, 0, s9
	s_mov_b32 s6, s1
	s_branch .LBB83_4
.LBB83_3:                               ;   in Loop: Header=BB83_4 Depth=1
	s_wait_xcnt 0x0
	v_mul_u64_e32 v[10:11], s[0:1], v[0:1]
	s_delay_alu instid0(VALU_DEP_1) | instskip(NEXT) | instid1(VALU_DEP_1)
	v_dual_add_nc_u32 v6, s4, v6 :: v_dual_add_nc_u32 v10, v0, v11
	v_dual_mov_b32 v11, v1 :: v_dual_lshrrev_b32 v10, s15, v10
	s_delay_alu instid0(VALU_DEP_1) | instskip(NEXT) | instid1(VALU_DEP_1)
	v_mad_u32 v10, s5, v10, v0
	v_mul_lo_u32 v10, v10, s23
	s_delay_alu instid0(VALU_DEP_1) | instskip(NEXT) | instid1(VALU_DEP_1)
	v_add_nc_u64_e32 v[10:11], v[10:11], v[2:3]
	v_lshlrev_b64_e32 v[10:11], 1, v[10:11]
	s_delay_alu instid0(VALU_DEP_1)
	v_add_nc_u64_e32 v[12:13], s[36:37], v[10:11]
	v_add_nc_u64_e32 v[14:15], s[38:39], v[10:11]
	global_load_u16 v16, v[12:13], off
	s_wait_xcnt 0x0
	v_add_nc_u64_e32 v[12:13], s[40:41], v[10:11]
	global_load_u16 v17, v[14:15], off
	s_wait_xcnt 0x0
	;; [unrolled: 3-line block ×4, first 2 shown]
	v_add_nc_u64_e32 v[14:15], s[26:27], v[10:11]
	v_add_nc_u64_e32 v[10:11], s[28:29], v[10:11]
	global_load_u16 v12, v[12:13], off
	global_load_u16 v13, v[14:15], off
	;; [unrolled: 1-line block ×3, first 2 shown]
	s_wait_loadcnt 0x6
	s_wait_xcnt 0x0
	v_cvt_f32_f16_e32 v10, v16
	s_wait_loadcnt 0x5
	v_cvt_f32_f16_e32 v11, v17
	s_delay_alu instid0(VALU_DEP_2) | instskip(SKIP_2) | instid1(VALU_DEP_2)
	v_add_f32_e32 v7, v7, v10
	s_wait_loadcnt 0x4
	v_cvt_f32_f16_e32 v10, v18
	v_add_f32_e32 v7, v7, v11
	s_wait_loadcnt 0x3
	v_cvt_f32_f16_e32 v11, v19
	s_delay_alu instid0(VALU_DEP_2)
	v_add_f32_e32 v7, v7, v10
	s_wait_loadcnt 0x2
	v_cvt_f32_f16_e32 v10, v12
	s_wait_loadcnt 0x0
	v_cvt_f32_f16_e32 v12, v20
	v_add_f32_e32 v7, v7, v11
	v_cvt_f32_f16_e32 v11, v13
	s_delay_alu instid0(VALU_DEP_2) | instskip(NEXT) | instid1(VALU_DEP_1)
	v_dual_add_f32 v7, v7, v10 :: v_dual_mov_b32 v10, v0
	v_dual_add_f32 v7, v7, v11 :: v_dual_ashrrev_i32 v11, 31, v0
	v_add_nc_u32_e32 v0, s2, v0
	s_delay_alu instid0(VALU_DEP_2) | instskip(NEXT) | instid1(VALU_DEP_3)
	v_add_f32_e32 v7, v7, v12
	v_lshl_add_u64 v[10:11], v[10:11], 1, v[8:9]
	s_delay_alu instid0(VALU_DEP_3) | instskip(NEXT) | instid1(VALU_DEP_3)
	v_cmp_le_i32_e32 vcc_lo, s8, v0
	v_cvt_f16_f32_e32 v7, v7
	s_or_b32 s6, vcc_lo, s6
	global_store_b16 v[10:11], v7, off
	s_wait_xcnt 0x0
	s_and_not1_b32 exec_lo, exec_lo, s6
	s_cbranch_execz .LBB83_6
.LBB83_4:                               ; =>This Inner Loop Header: Depth=1
	v_mov_b32_e32 v7, 0
	s_and_not1_b32 vcc_lo, exec_lo, s3
	s_cbranch_vccnz .LBB83_3
; %bb.5:                                ;   in Loop: Header=BB83_4 Depth=1
	v_ashrrev_i32_e32 v7, 31, v6
	s_delay_alu instid0(VALU_DEP_1)
	v_lshl_add_u64 v[10:11], v[6:7], 1, v[4:5]
	global_load_u16 v7, v[10:11], off
	s_wait_loadcnt 0x0
	v_cvt_f32_f16_e32 v7, v7
	s_branch .LBB83_3
.LBB83_6:
	s_endpgm
	.section	.rodata,"a",@progbits
	.p2align	6, 0x0
	.amdhsa_kernel _ZL11k_bin_bcastIXadL_ZL6op_addffEE6__halfS0_S0_JPKS0_S2_S2_S2_S2_S2_S2_EEvPKT0_PKT1_PT2_iii15HIP_vector_typeIjLj3EESC_SC_SC_SC_iiiiiiiiiiiDpT3_
		.amdhsa_group_segment_fixed_size 0
		.amdhsa_private_segment_fixed_size 0
		.amdhsa_kernarg_size 456
		.amdhsa_user_sgpr_count 2
		.amdhsa_user_sgpr_dispatch_ptr 0
		.amdhsa_user_sgpr_queue_ptr 0
		.amdhsa_user_sgpr_kernarg_segment_ptr 1
		.amdhsa_user_sgpr_dispatch_id 0
		.amdhsa_user_sgpr_kernarg_preload_length 0
		.amdhsa_user_sgpr_kernarg_preload_offset 0
		.amdhsa_user_sgpr_private_segment_size 0
		.amdhsa_wavefront_size32 1
		.amdhsa_uses_dynamic_stack 0
		.amdhsa_enable_private_segment 0
		.amdhsa_system_sgpr_workgroup_id_x 1
		.amdhsa_system_sgpr_workgroup_id_y 1
		.amdhsa_system_sgpr_workgroup_id_z 1
		.amdhsa_system_sgpr_workgroup_info 0
		.amdhsa_system_vgpr_workitem_id 2
		.amdhsa_next_free_vgpr 21
		.amdhsa_next_free_sgpr 44
		.amdhsa_named_barrier_count 0
		.amdhsa_reserve_vcc 1
		.amdhsa_float_round_mode_32 0
		.amdhsa_float_round_mode_16_64 0
		.amdhsa_float_denorm_mode_32 3
		.amdhsa_float_denorm_mode_16_64 3
		.amdhsa_fp16_overflow 0
		.amdhsa_memory_ordered 1
		.amdhsa_forward_progress 1
		.amdhsa_inst_pref_size 9
		.amdhsa_round_robin_scheduling 0
		.amdhsa_exception_fp_ieee_invalid_op 0
		.amdhsa_exception_fp_denorm_src 0
		.amdhsa_exception_fp_ieee_div_zero 0
		.amdhsa_exception_fp_ieee_overflow 0
		.amdhsa_exception_fp_ieee_underflow 0
		.amdhsa_exception_fp_ieee_inexact 0
		.amdhsa_exception_int_div_zero 0
	.end_amdhsa_kernel
	.section	.text._ZL11k_bin_bcastIXadL_ZL6op_addffEE6__halfS0_S0_JPKS0_S2_S2_S2_S2_S2_S2_EEvPKT0_PKT1_PT2_iii15HIP_vector_typeIjLj3EESC_SC_SC_SC_iiiiiiiiiiiDpT3_,"axG",@progbits,_ZL11k_bin_bcastIXadL_ZL6op_addffEE6__halfS0_S0_JPKS0_S2_S2_S2_S2_S2_S2_EEvPKT0_PKT1_PT2_iii15HIP_vector_typeIjLj3EESC_SC_SC_SC_iiiiiiiiiiiDpT3_,comdat
.Lfunc_end83:
	.size	_ZL11k_bin_bcastIXadL_ZL6op_addffEE6__halfS0_S0_JPKS0_S2_S2_S2_S2_S2_S2_EEvPKT0_PKT1_PT2_iii15HIP_vector_typeIjLj3EESC_SC_SC_SC_iiiiiiiiiiiDpT3_, .Lfunc_end83-_ZL11k_bin_bcastIXadL_ZL6op_addffEE6__halfS0_S0_JPKS0_S2_S2_S2_S2_S2_S2_EEvPKT0_PKT1_PT2_iii15HIP_vector_typeIjLj3EESC_SC_SC_SC_iiiiiiiiiiiDpT3_
                                        ; -- End function
	.set _ZL11k_bin_bcastIXadL_ZL6op_addffEE6__halfS0_S0_JPKS0_S2_S2_S2_S2_S2_S2_EEvPKT0_PKT1_PT2_iii15HIP_vector_typeIjLj3EESC_SC_SC_SC_iiiiiiiiiiiDpT3_.num_vgpr, 21
	.set _ZL11k_bin_bcastIXadL_ZL6op_addffEE6__halfS0_S0_JPKS0_S2_S2_S2_S2_S2_S2_EEvPKT0_PKT1_PT2_iii15HIP_vector_typeIjLj3EESC_SC_SC_SC_iiiiiiiiiiiDpT3_.num_agpr, 0
	.set _ZL11k_bin_bcastIXadL_ZL6op_addffEE6__halfS0_S0_JPKS0_S2_S2_S2_S2_S2_S2_EEvPKT0_PKT1_PT2_iii15HIP_vector_typeIjLj3EESC_SC_SC_SC_iiiiiiiiiiiDpT3_.numbered_sgpr, 44
	.set _ZL11k_bin_bcastIXadL_ZL6op_addffEE6__halfS0_S0_JPKS0_S2_S2_S2_S2_S2_S2_EEvPKT0_PKT1_PT2_iii15HIP_vector_typeIjLj3EESC_SC_SC_SC_iiiiiiiiiiiDpT3_.num_named_barrier, 0
	.set _ZL11k_bin_bcastIXadL_ZL6op_addffEE6__halfS0_S0_JPKS0_S2_S2_S2_S2_S2_S2_EEvPKT0_PKT1_PT2_iii15HIP_vector_typeIjLj3EESC_SC_SC_SC_iiiiiiiiiiiDpT3_.private_seg_size, 0
	.set _ZL11k_bin_bcastIXadL_ZL6op_addffEE6__halfS0_S0_JPKS0_S2_S2_S2_S2_S2_S2_EEvPKT0_PKT1_PT2_iii15HIP_vector_typeIjLj3EESC_SC_SC_SC_iiiiiiiiiiiDpT3_.uses_vcc, 1
	.set _ZL11k_bin_bcastIXadL_ZL6op_addffEE6__halfS0_S0_JPKS0_S2_S2_S2_S2_S2_S2_EEvPKT0_PKT1_PT2_iii15HIP_vector_typeIjLj3EESC_SC_SC_SC_iiiiiiiiiiiDpT3_.uses_flat_scratch, 0
	.set _ZL11k_bin_bcastIXadL_ZL6op_addffEE6__halfS0_S0_JPKS0_S2_S2_S2_S2_S2_S2_EEvPKT0_PKT1_PT2_iii15HIP_vector_typeIjLj3EESC_SC_SC_SC_iiiiiiiiiiiDpT3_.has_dyn_sized_stack, 0
	.set _ZL11k_bin_bcastIXadL_ZL6op_addffEE6__halfS0_S0_JPKS0_S2_S2_S2_S2_S2_S2_EEvPKT0_PKT1_PT2_iii15HIP_vector_typeIjLj3EESC_SC_SC_SC_iiiiiiiiiiiDpT3_.has_recursion, 0
	.set _ZL11k_bin_bcastIXadL_ZL6op_addffEE6__halfS0_S0_JPKS0_S2_S2_S2_S2_S2_S2_EEvPKT0_PKT1_PT2_iii15HIP_vector_typeIjLj3EESC_SC_SC_SC_iiiiiiiiiiiDpT3_.has_indirect_call, 0
	.section	.AMDGPU.csdata,"",@progbits
; Kernel info:
; codeLenInByte = 1100
; TotalNumSgprs: 46
; NumVgprs: 21
; ScratchSize: 0
; MemoryBound: 0
; FloatMode: 240
; IeeeMode: 1
; LDSByteSize: 0 bytes/workgroup (compile time only)
; SGPRBlocks: 0
; VGPRBlocks: 1
; NumSGPRsForWavesPerEU: 46
; NumVGPRsForWavesPerEU: 21
; NamedBarCnt: 0
; Occupancy: 16
; WaveLimiterHint : 1
; COMPUTE_PGM_RSRC2:SCRATCH_EN: 0
; COMPUTE_PGM_RSRC2:USER_SGPR: 2
; COMPUTE_PGM_RSRC2:TRAP_HANDLER: 0
; COMPUTE_PGM_RSRC2:TGID_X_EN: 1
; COMPUTE_PGM_RSRC2:TGID_Y_EN: 1
; COMPUTE_PGM_RSRC2:TGID_Z_EN: 1
; COMPUTE_PGM_RSRC2:TIDIG_COMP_CNT: 2
	.section	.text._ZL19k_bin_bcast_unravelIXadL_ZL6op_addffEE6__halffS0_JPKfS2_S2_S2_S2_S2_S2_EEvPKT0_PKT1_PT2_15HIP_vector_typeIjLj3EESC_SC_jSC_SC_SC_SC_SC_SC_iiiiiiiiiiiDpT3_,"axG",@progbits,_ZL19k_bin_bcast_unravelIXadL_ZL6op_addffEE6__halffS0_JPKfS2_S2_S2_S2_S2_S2_EEvPKT0_PKT1_PT2_15HIP_vector_typeIjLj3EESC_SC_jSC_SC_SC_SC_SC_SC_iiiiiiiiiiiDpT3_,comdat
	.globl	_ZL19k_bin_bcast_unravelIXadL_ZL6op_addffEE6__halffS0_JPKfS2_S2_S2_S2_S2_S2_EEvPKT0_PKT1_PT2_15HIP_vector_typeIjLj3EESC_SC_jSC_SC_SC_SC_SC_SC_iiiiiiiiiiiDpT3_ ; -- Begin function _ZL19k_bin_bcast_unravelIXadL_ZL6op_addffEE6__halffS0_JPKfS2_S2_S2_S2_S2_S2_EEvPKT0_PKT1_PT2_15HIP_vector_typeIjLj3EESC_SC_jSC_SC_SC_SC_SC_SC_iiiiiiiiiiiDpT3_
	.p2align	8
	.type	_ZL19k_bin_bcast_unravelIXadL_ZL6op_addffEE6__halffS0_JPKfS2_S2_S2_S2_S2_S2_EEvPKT0_PKT1_PT2_15HIP_vector_typeIjLj3EESC_SC_jSC_SC_SC_SC_SC_SC_iiiiiiiiiiiDpT3_,@function
_ZL19k_bin_bcast_unravelIXadL_ZL6op_addffEE6__halffS0_JPKfS2_S2_S2_S2_S2_S2_EEvPKT0_PKT1_PT2_15HIP_vector_typeIjLj3EESC_SC_jSC_SC_SC_SC_SC_SC_iiiiiiiiiiiDpT3_: ; @_ZL19k_bin_bcast_unravelIXadL_ZL6op_addffEE6__halffS0_JPKfS2_S2_S2_S2_S2_S2_EEvPKT0_PKT1_PT2_15HIP_vector_typeIjLj3EESC_SC_jSC_SC_SC_SC_SC_SC_iiiiiiiiiiiDpT3_
; %bb.0:
	s_load_b32 s2, s[0:1], 0xfc
	s_bfe_u32 s3, ttmp6, 0x4000c
	s_load_b256 s[4:11], s[0:1], 0x38
	s_add_co_i32 s3, s3, 1
	s_and_b32 s12, ttmp6, 15
	s_mul_i32 s3, ttmp9, s3
	s_getreg_b32 s13, hwreg(HW_REG_IB_STS2, 6, 4)
	s_add_co_i32 s12, s12, s3
	s_wait_kmcnt 0x0
	s_and_b32 s2, s2, 0xffff
	s_cmp_eq_u32 s13, 0
	s_cselect_b32 s3, ttmp9, s12
	s_delay_alu instid0(SALU_CYCLE_1) | instskip(SKIP_1) | instid1(VALU_DEP_1)
	v_mad_u32 v0, s3, s2, v0
	s_load_b32 s2, s[0:1], 0x2c
	v_mul_hi_u32 v1, v0, s6
	s_delay_alu instid0(VALU_DEP_1) | instskip(NEXT) | instid1(VALU_DEP_1)
	v_add_nc_u32_e32 v1, v0, v1
	v_lshrrev_b32_e32 v1, s7, v1
	s_delay_alu instid0(VALU_DEP_1) | instskip(NEXT) | instid1(VALU_DEP_1)
	v_mul_lo_u32 v2, v1, s8
	v_sub_nc_u32_e32 v0, v0, v2
	s_delay_alu instid0(VALU_DEP_1) | instskip(NEXT) | instid1(VALU_DEP_1)
	v_mul_hi_u32 v2, v0, s9
	v_add_nc_u32_e32 v2, v0, v2
	s_delay_alu instid0(VALU_DEP_1) | instskip(SKIP_1) | instid1(VALU_DEP_1)
	v_lshrrev_b32_e32 v2, s10, v2
	s_load_b96 s[8:10], s[0:1], 0x18
	v_mul_lo_u32 v3, v2, s11
	s_delay_alu instid0(VALU_DEP_1) | instskip(SKIP_3) | instid1(VALU_DEP_3)
	v_sub_nc_u32_e32 v0, v0, v3
	v_cmp_gt_u32_e64 s3, s4, v2
	v_cmp_gt_u32_e64 s4, s5, v1
	s_wait_kmcnt 0x0
	v_mul_hi_u32 v3, v0, s8
	s_delay_alu instid0(VALU_DEP_1) | instskip(NEXT) | instid1(VALU_DEP_1)
	v_add_nc_u32_e32 v3, v0, v3
	v_lshrrev_b32_e32 v4, s9, v3
	s_delay_alu instid0(VALU_DEP_1) | instskip(NEXT) | instid1(VALU_DEP_1)
	v_mul_lo_u32 v3, v4, s10
	v_sub_nc_u32_e32 v0, v0, v3
	v_cmp_gt_u32_e64 s2, s2, v4
	s_delay_alu instid0(VALU_DEP_2) | instskip(SKIP_1) | instid1(SALU_CYCLE_1)
	v_cmp_gt_u32_e32 vcc_lo, s10, v0
	s_and_b32 s2, vcc_lo, s2
	s_and_b32 s2, s2, s3
	s_delay_alu instid0(SALU_CYCLE_1) | instskip(NEXT) | instid1(SALU_CYCLE_1)
	s_and_b32 s2, s4, s2
	s_and_saveexec_b32 s3, s2
	s_cbranch_execz .LBB84_4
; %bb.1:
	s_clause 0x4
	s_load_b64 s[2:3], s[0:1], 0x0
	s_load_b96 s[24:26], s[0:1], 0xa8
	s_load_b256 s[4:11], s[0:1], 0x88
	s_load_b128 s[20:23], s[0:1], 0x78
	s_load_b256 s[12:19], s[0:1], 0x58
	v_dual_mov_b32 v3, 0 :: v_dual_mov_b32 v5, 0
	s_wait_kmcnt 0x0
	s_cmp_eq_u64 s[2:3], 0
	s_cbranch_scc1 .LBB84_3
; %bb.2:
	v_mul_lo_u32 v5, v1, s10
	v_mov_b32_e32 v7, 0
	s_delay_alu instid0(VALU_DEP_2) | instskip(NEXT) | instid1(VALU_DEP_1)
	v_mad_u32 v5, v2, s9, v5
	v_mad_u32 v6, v4, s8, v5
	s_delay_alu instid0(VALU_DEP_1) | instskip(SKIP_1) | instid1(VALU_DEP_1)
	v_lshl_add_u64 v[8:9], v[6:7], 1, s[2:3]
	v_mul_lo_u32 v6, v0, s7
	v_lshl_add_u64 v[6:7], v[6:7], 1, v[8:9]
	global_load_u16 v5, v[6:7], off
	s_wait_loadcnt 0x0
	v_cvt_f32_f16_e32 v5, v5
.LBB84_3:
	v_mul_hi_u32 v6, s21, v1
	v_mul_hi_u32 v7, s18, v2
	;; [unrolled: 1-line block ×4, first 2 shown]
	s_load_b64 s[2:3], s[0:1], 0xe8
	s_delay_alu instid0(VALU_DEP_3) | instskip(NEXT) | instid1(VALU_DEP_1)
	v_dual_add_nc_u32 v6, v1, v6 :: v_dual_add_nc_u32 v7, v2, v7
	v_dual_lshrrev_b32 v6, s22, v6 :: v_dual_lshrrev_b32 v7, s19, v7
	s_delay_alu instid0(VALU_DEP_1) | instskip(SKIP_1) | instid1(VALU_DEP_3)
	v_mul_lo_u32 v6, v6, s23
	v_add_nc_u32_e32 v8, v4, v8
	v_mul_lo_u32 v7, v7, s20
	s_delay_alu instid0(VALU_DEP_3) | instskip(NEXT) | instid1(VALU_DEP_2)
	v_dual_sub_nc_u32 v6, v1, v6 :: v_dual_add_nc_u32 v9, v0, v9
	v_dual_lshrrev_b32 v8, s16, v8 :: v_dual_sub_nc_u32 v7, v2, v7
	v_mul_lo_u32 v1, v1, s6
	s_delay_alu instid0(VALU_DEP_3) | instskip(NEXT) | instid1(VALU_DEP_4)
	v_mul_lo_u32 v6, v6, s26
	v_lshrrev_b32_e32 v9, s13, v9
	s_delay_alu instid0(VALU_DEP_4) | instskip(SKIP_1) | instid1(VALU_DEP_2)
	v_mul_lo_u32 v8, v8, s17
	s_load_b128 s[16:19], s[0:1], 0xd8
	v_mul_lo_u32 v9, v9, s14
	v_mad_u32 v1, v2, s5, v1
	v_mad_u32 v7, v7, s25, v6
	s_delay_alu instid0(VALU_DEP_4) | instskip(NEXT) | instid1(VALU_DEP_1)
	v_sub_nc_u32_e32 v8, v4, v8
	v_mad_u32 v8, v8, s24, v7
	s_delay_alu instid0(VALU_DEP_1) | instskip(NEXT) | instid1(VALU_DEP_1)
	v_dual_sub_nc_u32 v6, v0, v9 :: v_dual_ashrrev_i32 v9, 31, v8
	v_mul_lo_u32 v6, v6, s11
	s_load_b256 s[8:15], s[0:1], 0xb8
	s_delay_alu instid0(VALU_DEP_1) | instskip(SKIP_2) | instid1(VALU_DEP_1)
	v_ashrrev_i32_e32 v7, 31, v6
	s_wait_xcnt 0x0
	s_load_b64 s[0:1], s[0:1], 0x10
	v_add_nc_u64_e32 v[6:7], v[6:7], v[8:9]
	s_delay_alu instid0(VALU_DEP_1) | instskip(SKIP_1) | instid1(VALU_DEP_1)
	v_lshlrev_b64_e32 v[6:7], 2, v[6:7]
	s_wait_kmcnt 0x0
	v_add_nc_u64_e32 v[8:9], s[8:9], v[6:7]
	v_add_nc_u64_e32 v[10:11], s[10:11], v[6:7]
	global_load_b32 v12, v[8:9], off
	s_wait_xcnt 0x0
	v_add_nc_u64_e32 v[8:9], s[12:13], v[6:7]
	global_load_b32 v13, v[10:11], off
	s_wait_xcnt 0x0
	;; [unrolled: 3-line block ×4, first 2 shown]
	v_add_nc_u64_e32 v[10:11], s[18:19], v[6:7]
	v_add_nc_u64_e32 v[6:7], s[2:3], v[6:7]
	global_load_b32 v8, v[8:9], off
	global_load_b32 v9, v[10:11], off
	;; [unrolled: 1-line block ×3, first 2 shown]
	s_wait_loadcnt 0x6
	v_add_f32_e32 v5, v5, v12
	s_wait_loadcnt 0x5
	s_delay_alu instid0(VALU_DEP_1) | instskip(SKIP_1) | instid1(VALU_DEP_1)
	v_add_f32_e32 v5, v5, v13
	s_wait_loadcnt 0x4
	v_add_f32_e32 v2, v5, v14
	s_wait_loadcnt 0x3
	s_delay_alu instid0(VALU_DEP_1) | instskip(SKIP_2) | instid1(VALU_DEP_2)
	v_add_f32_e32 v5, v2, v15
	v_mad_u32 v2, v4, s4, v1
	s_wait_loadcnt 0x2
	v_add_f32_e32 v1, v5, v8
	s_wait_loadcnt 0x1
	s_delay_alu instid0(VALU_DEP_1) | instskip(NEXT) | instid1(VALU_DEP_3)
	v_dual_add_f32 v4, v1, v9 :: v_dual_mov_b32 v1, v3
	v_lshl_add_u64 v[2:3], v[2:3], 1, s[0:1]
	s_wait_loadcnt 0x0
	s_delay_alu instid0(VALU_DEP_2) | instskip(NEXT) | instid1(VALU_DEP_2)
	v_add_f32_e32 v4, v4, v16
	v_lshl_add_u64 v[0:1], v[0:1], 1, v[2:3]
	s_delay_alu instid0(VALU_DEP_2)
	v_cvt_f16_f32_e32 v4, v4
	global_store_b16 v[0:1], v4, off
.LBB84_4:
	s_endpgm
	.section	.rodata,"a",@progbits
	.p2align	6, 0x0
	.amdhsa_kernel _ZL19k_bin_bcast_unravelIXadL_ZL6op_addffEE6__halffS0_JPKfS2_S2_S2_S2_S2_S2_EEvPKT0_PKT1_PT2_15HIP_vector_typeIjLj3EESC_SC_jSC_SC_SC_SC_SC_SC_iiiiiiiiiiiDpT3_
		.amdhsa_group_segment_fixed_size 0
		.amdhsa_private_segment_fixed_size 0
		.amdhsa_kernarg_size 496
		.amdhsa_user_sgpr_count 2
		.amdhsa_user_sgpr_dispatch_ptr 0
		.amdhsa_user_sgpr_queue_ptr 0
		.amdhsa_user_sgpr_kernarg_segment_ptr 1
		.amdhsa_user_sgpr_dispatch_id 0
		.amdhsa_user_sgpr_kernarg_preload_length 0
		.amdhsa_user_sgpr_kernarg_preload_offset 0
		.amdhsa_user_sgpr_private_segment_size 0
		.amdhsa_wavefront_size32 1
		.amdhsa_uses_dynamic_stack 0
		.amdhsa_enable_private_segment 0
		.amdhsa_system_sgpr_workgroup_id_x 1
		.amdhsa_system_sgpr_workgroup_id_y 0
		.amdhsa_system_sgpr_workgroup_id_z 0
		.amdhsa_system_sgpr_workgroup_info 0
		.amdhsa_system_vgpr_workitem_id 0
		.amdhsa_next_free_vgpr 17
		.amdhsa_next_free_sgpr 27
		.amdhsa_named_barrier_count 0
		.amdhsa_reserve_vcc 1
		.amdhsa_float_round_mode_32 0
		.amdhsa_float_round_mode_16_64 0
		.amdhsa_float_denorm_mode_32 3
		.amdhsa_float_denorm_mode_16_64 3
		.amdhsa_fp16_overflow 0
		.amdhsa_memory_ordered 1
		.amdhsa_forward_progress 1
		.amdhsa_inst_pref_size 8
		.amdhsa_round_robin_scheduling 0
		.amdhsa_exception_fp_ieee_invalid_op 0
		.amdhsa_exception_fp_denorm_src 0
		.amdhsa_exception_fp_ieee_div_zero 0
		.amdhsa_exception_fp_ieee_overflow 0
		.amdhsa_exception_fp_ieee_underflow 0
		.amdhsa_exception_fp_ieee_inexact 0
		.amdhsa_exception_int_div_zero 0
	.end_amdhsa_kernel
	.section	.text._ZL19k_bin_bcast_unravelIXadL_ZL6op_addffEE6__halffS0_JPKfS2_S2_S2_S2_S2_S2_EEvPKT0_PKT1_PT2_15HIP_vector_typeIjLj3EESC_SC_jSC_SC_SC_SC_SC_SC_iiiiiiiiiiiDpT3_,"axG",@progbits,_ZL19k_bin_bcast_unravelIXadL_ZL6op_addffEE6__halffS0_JPKfS2_S2_S2_S2_S2_S2_EEvPKT0_PKT1_PT2_15HIP_vector_typeIjLj3EESC_SC_jSC_SC_SC_SC_SC_SC_iiiiiiiiiiiDpT3_,comdat
.Lfunc_end84:
	.size	_ZL19k_bin_bcast_unravelIXadL_ZL6op_addffEE6__halffS0_JPKfS2_S2_S2_S2_S2_S2_EEvPKT0_PKT1_PT2_15HIP_vector_typeIjLj3EESC_SC_jSC_SC_SC_SC_SC_SC_iiiiiiiiiiiDpT3_, .Lfunc_end84-_ZL19k_bin_bcast_unravelIXadL_ZL6op_addffEE6__halffS0_JPKfS2_S2_S2_S2_S2_S2_EEvPKT0_PKT1_PT2_15HIP_vector_typeIjLj3EESC_SC_jSC_SC_SC_SC_SC_SC_iiiiiiiiiiiDpT3_
                                        ; -- End function
	.set _ZL19k_bin_bcast_unravelIXadL_ZL6op_addffEE6__halffS0_JPKfS2_S2_S2_S2_S2_S2_EEvPKT0_PKT1_PT2_15HIP_vector_typeIjLj3EESC_SC_jSC_SC_SC_SC_SC_SC_iiiiiiiiiiiDpT3_.num_vgpr, 17
	.set _ZL19k_bin_bcast_unravelIXadL_ZL6op_addffEE6__halffS0_JPKfS2_S2_S2_S2_S2_S2_EEvPKT0_PKT1_PT2_15HIP_vector_typeIjLj3EESC_SC_jSC_SC_SC_SC_SC_SC_iiiiiiiiiiiDpT3_.num_agpr, 0
	.set _ZL19k_bin_bcast_unravelIXadL_ZL6op_addffEE6__halffS0_JPKfS2_S2_S2_S2_S2_S2_EEvPKT0_PKT1_PT2_15HIP_vector_typeIjLj3EESC_SC_jSC_SC_SC_SC_SC_SC_iiiiiiiiiiiDpT3_.numbered_sgpr, 27
	.set _ZL19k_bin_bcast_unravelIXadL_ZL6op_addffEE6__halffS0_JPKfS2_S2_S2_S2_S2_S2_EEvPKT0_PKT1_PT2_15HIP_vector_typeIjLj3EESC_SC_jSC_SC_SC_SC_SC_SC_iiiiiiiiiiiDpT3_.num_named_barrier, 0
	.set _ZL19k_bin_bcast_unravelIXadL_ZL6op_addffEE6__halffS0_JPKfS2_S2_S2_S2_S2_S2_EEvPKT0_PKT1_PT2_15HIP_vector_typeIjLj3EESC_SC_jSC_SC_SC_SC_SC_SC_iiiiiiiiiiiDpT3_.private_seg_size, 0
	.set _ZL19k_bin_bcast_unravelIXadL_ZL6op_addffEE6__halffS0_JPKfS2_S2_S2_S2_S2_S2_EEvPKT0_PKT1_PT2_15HIP_vector_typeIjLj3EESC_SC_jSC_SC_SC_SC_SC_SC_iiiiiiiiiiiDpT3_.uses_vcc, 1
	.set _ZL19k_bin_bcast_unravelIXadL_ZL6op_addffEE6__halffS0_JPKfS2_S2_S2_S2_S2_S2_EEvPKT0_PKT1_PT2_15HIP_vector_typeIjLj3EESC_SC_jSC_SC_SC_SC_SC_SC_iiiiiiiiiiiDpT3_.uses_flat_scratch, 0
	.set _ZL19k_bin_bcast_unravelIXadL_ZL6op_addffEE6__halffS0_JPKfS2_S2_S2_S2_S2_S2_EEvPKT0_PKT1_PT2_15HIP_vector_typeIjLj3EESC_SC_jSC_SC_SC_SC_SC_SC_iiiiiiiiiiiDpT3_.has_dyn_sized_stack, 0
	.set _ZL19k_bin_bcast_unravelIXadL_ZL6op_addffEE6__halffS0_JPKfS2_S2_S2_S2_S2_S2_EEvPKT0_PKT1_PT2_15HIP_vector_typeIjLj3EESC_SC_jSC_SC_SC_SC_SC_SC_iiiiiiiiiiiDpT3_.has_recursion, 0
	.set _ZL19k_bin_bcast_unravelIXadL_ZL6op_addffEE6__halffS0_JPKfS2_S2_S2_S2_S2_S2_EEvPKT0_PKT1_PT2_15HIP_vector_typeIjLj3EESC_SC_jSC_SC_SC_SC_SC_SC_iiiiiiiiiiiDpT3_.has_indirect_call, 0
	.section	.AMDGPU.csdata,"",@progbits
; Kernel info:
; codeLenInByte = 936
; TotalNumSgprs: 29
; NumVgprs: 17
; ScratchSize: 0
; MemoryBound: 0
; FloatMode: 240
; IeeeMode: 1
; LDSByteSize: 0 bytes/workgroup (compile time only)
; SGPRBlocks: 0
; VGPRBlocks: 1
; NumSGPRsForWavesPerEU: 29
; NumVGPRsForWavesPerEU: 17
; NamedBarCnt: 0
; Occupancy: 16
; WaveLimiterHint : 1
; COMPUTE_PGM_RSRC2:SCRATCH_EN: 0
; COMPUTE_PGM_RSRC2:USER_SGPR: 2
; COMPUTE_PGM_RSRC2:TRAP_HANDLER: 0
; COMPUTE_PGM_RSRC2:TGID_X_EN: 1
; COMPUTE_PGM_RSRC2:TGID_Y_EN: 0
; COMPUTE_PGM_RSRC2:TGID_Z_EN: 0
; COMPUTE_PGM_RSRC2:TIDIG_COMP_CNT: 0
	.section	.text._ZL11k_bin_bcastIXadL_ZL6op_addffEE6__halffS0_JPKfS2_S2_S2_S2_S2_S2_EEvPKT0_PKT1_PT2_iii15HIP_vector_typeIjLj3EESC_SC_SC_SC_iiiiiiiiiiiDpT3_,"axG",@progbits,_ZL11k_bin_bcastIXadL_ZL6op_addffEE6__halffS0_JPKfS2_S2_S2_S2_S2_S2_EEvPKT0_PKT1_PT2_iii15HIP_vector_typeIjLj3EESC_SC_SC_SC_iiiiiiiiiiiDpT3_,comdat
	.globl	_ZL11k_bin_bcastIXadL_ZL6op_addffEE6__halffS0_JPKfS2_S2_S2_S2_S2_S2_EEvPKT0_PKT1_PT2_iii15HIP_vector_typeIjLj3EESC_SC_SC_SC_iiiiiiiiiiiDpT3_ ; -- Begin function _ZL11k_bin_bcastIXadL_ZL6op_addffEE6__halffS0_JPKfS2_S2_S2_S2_S2_S2_EEvPKT0_PKT1_PT2_iii15HIP_vector_typeIjLj3EESC_SC_SC_SC_iiiiiiiiiiiDpT3_
	.p2align	8
	.type	_ZL11k_bin_bcastIXadL_ZL6op_addffEE6__halffS0_JPKfS2_S2_S2_S2_S2_S2_EEvPKT0_PKT1_PT2_iii15HIP_vector_typeIjLj3EESC_SC_SC_SC_iiiiiiiiiiiDpT3_,@function
_ZL11k_bin_bcastIXadL_ZL6op_addffEE6__halffS0_JPKfS2_S2_S2_S2_S2_S2_EEvPKT0_PKT1_PT2_iii15HIP_vector_typeIjLj3EESC_SC_SC_SC_iiiiiiiiiiiDpT3_: ; @_ZL11k_bin_bcastIXadL_ZL6op_addffEE6__halffS0_JPKfS2_S2_S2_S2_S2_S2_EEvPKT0_PKT1_PT2_iii15HIP_vector_typeIjLj3EESC_SC_SC_SC_iiiiiiiiiiiDpT3_
; %bb.0:
	s_load_b64 s[2:3], s[0:1], 0xd4
	s_bfe_u32 s5, ttmp6, 0x40014
	s_bfe_u32 s7, ttmp6, 0x40010
	;; [unrolled: 1-line block ×3, first 2 shown]
	s_lshr_b32 s4, ttmp7, 16
	s_and_b32 s16, ttmp7, 0xffff
	s_add_co_i32 s5, s5, 1
	s_add_co_i32 s7, s7, 1
	s_load_b256 s[8:15], s[0:1], 0x18
	s_add_co_i32 s19, s19, 1
	s_bfe_u32 s6, ttmp6, 0x40008
	s_bfe_u32 s17, ttmp6, 0x40004
	s_mul_i32 s5, s4, s5
	s_mul_i32 s7, s16, s7
	s_and_b32 s18, ttmp6, 15
	s_mul_i32 s19, ttmp9, s19
	s_add_co_i32 s6, s6, s5
	s_add_co_i32 s17, s17, s7
	;; [unrolled: 1-line block ×3, first 2 shown]
	v_bfe_u32 v1, v0, 20, 10
	s_wait_kmcnt 0x0
	s_lshr_b32 s5, s2, 16
	s_and_b32 s7, s2, 0xffff
	s_getreg_b32 s2, hwreg(HW_REG_IB_STS2, 6, 4)
	s_and_b32 s3, s3, 0xffff
	s_cmp_eq_u32 s2, 0
	v_and_b32_e32 v2, 0x3ff, v0
	s_cselect_b32 s2, s4, s6
	v_bfe_u32 v4, v0, 10, 10
	v_mad_u32 v3, s2, s3, v1
	s_cselect_b32 s2, ttmp9, s18
	s_cselect_b32 s3, s16, s17
	v_mad_u32 v0, s2, s7, v2
	v_mad_u32 v2, s3, s5, v4
	s_delay_alu instid0(VALU_DEP_3) | instskip(NEXT) | instid1(VALU_DEP_3)
	v_mul_hi_u32 v1, v3, s11
	v_cmp_gt_u32_e32 vcc_lo, s8, v0
	s_delay_alu instid0(VALU_DEP_3) | instskip(SKIP_2) | instid1(VALU_DEP_1)
	v_cmp_gt_u32_e64 s2, s9, v2
	s_and_b32 s2, vcc_lo, s2
	v_add_nc_u32_e32 v1, v3, v1
	v_lshrrev_b32_e32 v1, s12, v1
	s_delay_alu instid0(VALU_DEP_1) | instskip(SKIP_3) | instid1(VALU_DEP_1)
	v_mul_lo_u32 v5, v1, s13
	v_cmp_gt_u32_e64 s3, s10, v1
	s_and_b32 s2, s2, s3
	v_sub_nc_u32_e32 v3, v3, v5
	v_cmp_gt_u32_e64 s4, s13, v3
	s_and_b32 s2, s2, s4
	s_delay_alu instid0(SALU_CYCLE_1)
	s_and_saveexec_b32 s3, s2
	s_cbranch_execz .LBB85_6
; %bb.1:
	v_cmp_gt_i32_e32 vcc_lo, s8, v0
	s_and_b32 exec_lo, exec_lo, vcc_lo
	s_cbranch_execz .LBB85_6
; %bb.2:
	s_clause 0x3
	s_load_b256 s[24:31], s[0:1], 0x3c
	s_load_b32 s2, s[0:1], 0x5c
	s_load_b256 s[16:23], s[0:1], 0x60
	s_load_b96 s[4:6], s[0:1], 0x80
	s_add_nc_u64 s[10:11], s[0:1], 0xc8
	s_clause 0x1
	s_load_b256 s[36:43], s[0:1], 0x90
	s_load_b64 s[12:13], s[0:1], 0x10
	s_wait_kmcnt 0x0
	v_mul_hi_u32 v4, s30, v3
	v_mul_hi_u32 v5, s27, v1
	;; [unrolled: 1-line block ×3, first 2 shown]
	v_mul_lo_u32 v7, v2, s20
	v_mul_lo_u32 v8, v2, s16
	s_delay_alu instid0(VALU_DEP_4) | instskip(NEXT) | instid1(VALU_DEP_3)
	v_dual_add_nc_u32 v4, v3, v4 :: v_dual_add_nc_u32 v5, v1, v5
	v_mad_u32 v7, v1, s21, v7
	s_delay_alu instid0(VALU_DEP_3) | instskip(NEXT) | instid1(VALU_DEP_3)
	v_mad_u32 v8, v1, s17, v8
	v_dual_lshrrev_b32 v4, s31, v4 :: v_dual_lshrrev_b32 v5, s28, v5
	s_delay_alu instid0(VALU_DEP_1) | instskip(SKIP_1) | instid1(VALU_DEP_3)
	v_mul_lo_u32 v4, v4, s2
	v_add_nc_u32_e32 v6, v2, v6
	v_mul_lo_u32 v5, v5, s29
	s_load_b64 s[2:3], s[0:1], 0x0
	v_mad_u32 v8, v3, s18, v8
	s_delay_alu instid0(VALU_DEP_3) | instskip(NEXT) | instid1(VALU_DEP_3)
	v_dual_sub_nc_u32 v4, v3, v4 :: v_dual_lshrrev_b32 v6, s25, v6
	v_sub_nc_u32_e32 v5, v1, v5
	s_delay_alu instid0(VALU_DEP_2) | instskip(NEXT) | instid1(VALU_DEP_3)
	v_mul_lo_u32 v9, v4, s6
	v_mul_lo_u32 v6, v6, s26
	s_load_b32 s6, s[10:11], 0x0
	s_load_b32 s9, s[0:1], 0x38
	v_mad_u32 v4, v3, s22, v7
	s_load_b256 s[24:31], s[0:1], 0xb0
	v_mov_b32_e32 v1, 0
	s_wait_xcnt 0x0
	s_mov_b32 s1, 0
	s_wait_kmcnt 0x0
	s_cmp_lg_u64 s[2:3], 0
	s_mov_b32 s0, s14
	v_mad_u32 v7, v5, s5, v9
	v_sub_nc_u32_e32 v2, v2, v6
	v_mul_lo_u32 v6, s19, v0
	v_dual_mov_b32 v5, v1 :: v_dual_mov_b32 v9, v1
	v_mov_b32_e32 v3, v1
	s_delay_alu instid0(VALU_DEP_2) | instskip(NEXT) | instid1(VALU_DEP_3)
	v_lshl_add_u64 v[4:5], v[4:5], 1, s[2:3]
	v_lshl_add_u64 v[8:9], v[8:9], 1, s[12:13]
	s_mul_i32 s2, s6, s7
	v_mad_u32 v2, v2, s4, v7
	s_cselect_b32 s3, -1, 0
	s_mul_i32 s4, s2, s19
	s_sub_co_i32 s5, 0, s9
	s_mov_b32 s6, s1
	s_branch .LBB85_4
.LBB85_3:                               ;   in Loop: Header=BB85_4 Depth=1
	s_wait_xcnt 0x0
	v_mul_u64_e32 v[10:11], s[0:1], v[0:1]
	s_delay_alu instid0(VALU_DEP_1) | instskip(NEXT) | instid1(VALU_DEP_1)
	v_dual_add_nc_u32 v6, s4, v6 :: v_dual_add_nc_u32 v10, v0, v11
	v_dual_mov_b32 v11, v1 :: v_dual_lshrrev_b32 v10, s15, v10
	s_delay_alu instid0(VALU_DEP_1) | instskip(NEXT) | instid1(VALU_DEP_1)
	v_mad_u32 v10, s5, v10, v0
	v_mul_lo_u32 v10, v10, s23
	s_delay_alu instid0(VALU_DEP_1) | instskip(NEXT) | instid1(VALU_DEP_1)
	v_add_nc_u64_e32 v[10:11], v[10:11], v[2:3]
	v_lshlrev_b64_e32 v[10:11], 2, v[10:11]
	s_delay_alu instid0(VALU_DEP_1)
	v_add_nc_u64_e32 v[12:13], s[36:37], v[10:11]
	v_add_nc_u64_e32 v[14:15], s[38:39], v[10:11]
	global_load_b32 v16, v[12:13], off
	s_wait_xcnt 0x0
	v_add_nc_u64_e32 v[12:13], s[40:41], v[10:11]
	global_load_b32 v17, v[14:15], off
	s_wait_xcnt 0x0
	v_add_nc_u64_e32 v[14:15], s[42:43], v[10:11]
	global_load_b32 v18, v[12:13], off
	s_wait_xcnt 0x0
	v_add_nc_u64_e32 v[12:13], s[24:25], v[10:11]
	global_load_b32 v19, v[14:15], off
	s_wait_xcnt 0x0
	v_add_nc_u64_e32 v[14:15], s[26:27], v[10:11]
	v_add_nc_u64_e32 v[10:11], s[28:29], v[10:11]
	global_load_b32 v12, v[12:13], off
	global_load_b32 v13, v[14:15], off
	;; [unrolled: 1-line block ×3, first 2 shown]
	s_wait_xcnt 0x0
	v_dual_mov_b32 v10, v0 :: v_dual_ashrrev_i32 v11, 31, v0
	v_add_nc_u32_e32 v0, s2, v0
	s_delay_alu instid0(VALU_DEP_2) | instskip(NEXT) | instid1(VALU_DEP_2)
	v_lshl_add_u64 v[10:11], v[10:11], 1, v[8:9]
	v_cmp_le_i32_e32 vcc_lo, s8, v0
	s_or_b32 s6, vcc_lo, s6
	s_wait_loadcnt 0x6
	v_add_f32_e32 v7, v7, v16
	s_wait_loadcnt 0x5
	s_delay_alu instid0(VALU_DEP_1) | instskip(SKIP_1) | instid1(VALU_DEP_1)
	v_add_f32_e32 v7, v7, v17
	s_wait_loadcnt 0x4
	v_add_f32_e32 v7, v7, v18
	s_wait_loadcnt 0x3
	s_delay_alu instid0(VALU_DEP_1) | instskip(SKIP_1) | instid1(VALU_DEP_1)
	v_add_f32_e32 v7, v7, v19
	;; [unrolled: 5-line block ×3, first 2 shown]
	s_wait_loadcnt 0x0
	v_add_f32_e32 v7, v7, v20
	s_delay_alu instid0(VALU_DEP_1)
	v_cvt_f16_f32_e32 v7, v7
	global_store_b16 v[10:11], v7, off
	s_wait_xcnt 0x0
	s_and_not1_b32 exec_lo, exec_lo, s6
	s_cbranch_execz .LBB85_6
.LBB85_4:                               ; =>This Inner Loop Header: Depth=1
	v_mov_b32_e32 v7, 0
	s_and_not1_b32 vcc_lo, exec_lo, s3
	s_cbranch_vccnz .LBB85_3
; %bb.5:                                ;   in Loop: Header=BB85_4 Depth=1
	v_ashrrev_i32_e32 v7, 31, v6
	s_delay_alu instid0(VALU_DEP_1)
	v_lshl_add_u64 v[10:11], v[6:7], 1, v[4:5]
	global_load_u16 v7, v[10:11], off
	s_wait_loadcnt 0x0
	v_cvt_f32_f16_e32 v7, v7
	s_branch .LBB85_3
.LBB85_6:
	s_endpgm
	.section	.rodata,"a",@progbits
	.p2align	6, 0x0
	.amdhsa_kernel _ZL11k_bin_bcastIXadL_ZL6op_addffEE6__halffS0_JPKfS2_S2_S2_S2_S2_S2_EEvPKT0_PKT1_PT2_iii15HIP_vector_typeIjLj3EESC_SC_SC_SC_iiiiiiiiiiiDpT3_
		.amdhsa_group_segment_fixed_size 0
		.amdhsa_private_segment_fixed_size 0
		.amdhsa_kernarg_size 456
		.amdhsa_user_sgpr_count 2
		.amdhsa_user_sgpr_dispatch_ptr 0
		.amdhsa_user_sgpr_queue_ptr 0
		.amdhsa_user_sgpr_kernarg_segment_ptr 1
		.amdhsa_user_sgpr_dispatch_id 0
		.amdhsa_user_sgpr_kernarg_preload_length 0
		.amdhsa_user_sgpr_kernarg_preload_offset 0
		.amdhsa_user_sgpr_private_segment_size 0
		.amdhsa_wavefront_size32 1
		.amdhsa_uses_dynamic_stack 0
		.amdhsa_enable_private_segment 0
		.amdhsa_system_sgpr_workgroup_id_x 1
		.amdhsa_system_sgpr_workgroup_id_y 1
		.amdhsa_system_sgpr_workgroup_id_z 1
		.amdhsa_system_sgpr_workgroup_info 0
		.amdhsa_system_vgpr_workitem_id 2
		.amdhsa_next_free_vgpr 21
		.amdhsa_next_free_sgpr 44
		.amdhsa_named_barrier_count 0
		.amdhsa_reserve_vcc 1
		.amdhsa_float_round_mode_32 0
		.amdhsa_float_round_mode_16_64 0
		.amdhsa_float_denorm_mode_32 3
		.amdhsa_float_denorm_mode_16_64 3
		.amdhsa_fp16_overflow 0
		.amdhsa_memory_ordered 1
		.amdhsa_forward_progress 1
		.amdhsa_inst_pref_size 9
		.amdhsa_round_robin_scheduling 0
		.amdhsa_exception_fp_ieee_invalid_op 0
		.amdhsa_exception_fp_denorm_src 0
		.amdhsa_exception_fp_ieee_div_zero 0
		.amdhsa_exception_fp_ieee_overflow 0
		.amdhsa_exception_fp_ieee_underflow 0
		.amdhsa_exception_fp_ieee_inexact 0
		.amdhsa_exception_int_div_zero 0
	.end_amdhsa_kernel
	.section	.text._ZL11k_bin_bcastIXadL_ZL6op_addffEE6__halffS0_JPKfS2_S2_S2_S2_S2_S2_EEvPKT0_PKT1_PT2_iii15HIP_vector_typeIjLj3EESC_SC_SC_SC_iiiiiiiiiiiDpT3_,"axG",@progbits,_ZL11k_bin_bcastIXadL_ZL6op_addffEE6__halffS0_JPKfS2_S2_S2_S2_S2_S2_EEvPKT0_PKT1_PT2_iii15HIP_vector_typeIjLj3EESC_SC_SC_SC_iiiiiiiiiiiDpT3_,comdat
.Lfunc_end85:
	.size	_ZL11k_bin_bcastIXadL_ZL6op_addffEE6__halffS0_JPKfS2_S2_S2_S2_S2_S2_EEvPKT0_PKT1_PT2_iii15HIP_vector_typeIjLj3EESC_SC_SC_SC_iiiiiiiiiiiDpT3_, .Lfunc_end85-_ZL11k_bin_bcastIXadL_ZL6op_addffEE6__halffS0_JPKfS2_S2_S2_S2_S2_S2_EEvPKT0_PKT1_PT2_iii15HIP_vector_typeIjLj3EESC_SC_SC_SC_iiiiiiiiiiiDpT3_
                                        ; -- End function
	.set _ZL11k_bin_bcastIXadL_ZL6op_addffEE6__halffS0_JPKfS2_S2_S2_S2_S2_S2_EEvPKT0_PKT1_PT2_iii15HIP_vector_typeIjLj3EESC_SC_SC_SC_iiiiiiiiiiiDpT3_.num_vgpr, 21
	.set _ZL11k_bin_bcastIXadL_ZL6op_addffEE6__halffS0_JPKfS2_S2_S2_S2_S2_S2_EEvPKT0_PKT1_PT2_iii15HIP_vector_typeIjLj3EESC_SC_SC_SC_iiiiiiiiiiiDpT3_.num_agpr, 0
	.set _ZL11k_bin_bcastIXadL_ZL6op_addffEE6__halffS0_JPKfS2_S2_S2_S2_S2_S2_EEvPKT0_PKT1_PT2_iii15HIP_vector_typeIjLj3EESC_SC_SC_SC_iiiiiiiiiiiDpT3_.numbered_sgpr, 44
	.set _ZL11k_bin_bcastIXadL_ZL6op_addffEE6__halffS0_JPKfS2_S2_S2_S2_S2_S2_EEvPKT0_PKT1_PT2_iii15HIP_vector_typeIjLj3EESC_SC_SC_SC_iiiiiiiiiiiDpT3_.num_named_barrier, 0
	.set _ZL11k_bin_bcastIXadL_ZL6op_addffEE6__halffS0_JPKfS2_S2_S2_S2_S2_S2_EEvPKT0_PKT1_PT2_iii15HIP_vector_typeIjLj3EESC_SC_SC_SC_iiiiiiiiiiiDpT3_.private_seg_size, 0
	.set _ZL11k_bin_bcastIXadL_ZL6op_addffEE6__halffS0_JPKfS2_S2_S2_S2_S2_S2_EEvPKT0_PKT1_PT2_iii15HIP_vector_typeIjLj3EESC_SC_SC_SC_iiiiiiiiiiiDpT3_.uses_vcc, 1
	.set _ZL11k_bin_bcastIXadL_ZL6op_addffEE6__halffS0_JPKfS2_S2_S2_S2_S2_S2_EEvPKT0_PKT1_PT2_iii15HIP_vector_typeIjLj3EESC_SC_SC_SC_iiiiiiiiiiiDpT3_.uses_flat_scratch, 0
	.set _ZL11k_bin_bcastIXadL_ZL6op_addffEE6__halffS0_JPKfS2_S2_S2_S2_S2_S2_EEvPKT0_PKT1_PT2_iii15HIP_vector_typeIjLj3EESC_SC_SC_SC_iiiiiiiiiiiDpT3_.has_dyn_sized_stack, 0
	.set _ZL11k_bin_bcastIXadL_ZL6op_addffEE6__halffS0_JPKfS2_S2_S2_S2_S2_S2_EEvPKT0_PKT1_PT2_iii15HIP_vector_typeIjLj3EESC_SC_SC_SC_iiiiiiiiiiiDpT3_.has_recursion, 0
	.set _ZL11k_bin_bcastIXadL_ZL6op_addffEE6__halffS0_JPKfS2_S2_S2_S2_S2_S2_EEvPKT0_PKT1_PT2_iii15HIP_vector_typeIjLj3EESC_SC_SC_SC_iiiiiiiiiiiDpT3_.has_indirect_call, 0
	.section	.AMDGPU.csdata,"",@progbits
; Kernel info:
; codeLenInByte = 1072
; TotalNumSgprs: 46
; NumVgprs: 21
; ScratchSize: 0
; MemoryBound: 0
; FloatMode: 240
; IeeeMode: 1
; LDSByteSize: 0 bytes/workgroup (compile time only)
; SGPRBlocks: 0
; VGPRBlocks: 1
; NumSGPRsForWavesPerEU: 46
; NumVGPRsForWavesPerEU: 21
; NamedBarCnt: 0
; Occupancy: 16
; WaveLimiterHint : 1
; COMPUTE_PGM_RSRC2:SCRATCH_EN: 0
; COMPUTE_PGM_RSRC2:USER_SGPR: 2
; COMPUTE_PGM_RSRC2:TRAP_HANDLER: 0
; COMPUTE_PGM_RSRC2:TGID_X_EN: 1
; COMPUTE_PGM_RSRC2:TGID_Y_EN: 1
; COMPUTE_PGM_RSRC2:TGID_Z_EN: 1
; COMPUTE_PGM_RSRC2:TIDIG_COMP_CNT: 2
	.section	.text._ZL19k_bin_bcast_unravelIXadL_ZL6op_addffEE6__halfffJPKfS2_S2_S2_S2_S2_S2_EEvPKT0_PKT1_PT2_15HIP_vector_typeIjLj3EESC_SC_jSC_SC_SC_SC_SC_SC_iiiiiiiiiiiDpT3_,"axG",@progbits,_ZL19k_bin_bcast_unravelIXadL_ZL6op_addffEE6__halfffJPKfS2_S2_S2_S2_S2_S2_EEvPKT0_PKT1_PT2_15HIP_vector_typeIjLj3EESC_SC_jSC_SC_SC_SC_SC_SC_iiiiiiiiiiiDpT3_,comdat
	.globl	_ZL19k_bin_bcast_unravelIXadL_ZL6op_addffEE6__halfffJPKfS2_S2_S2_S2_S2_S2_EEvPKT0_PKT1_PT2_15HIP_vector_typeIjLj3EESC_SC_jSC_SC_SC_SC_SC_SC_iiiiiiiiiiiDpT3_ ; -- Begin function _ZL19k_bin_bcast_unravelIXadL_ZL6op_addffEE6__halfffJPKfS2_S2_S2_S2_S2_S2_EEvPKT0_PKT1_PT2_15HIP_vector_typeIjLj3EESC_SC_jSC_SC_SC_SC_SC_SC_iiiiiiiiiiiDpT3_
	.p2align	8
	.type	_ZL19k_bin_bcast_unravelIXadL_ZL6op_addffEE6__halfffJPKfS2_S2_S2_S2_S2_S2_EEvPKT0_PKT1_PT2_15HIP_vector_typeIjLj3EESC_SC_jSC_SC_SC_SC_SC_SC_iiiiiiiiiiiDpT3_,@function
_ZL19k_bin_bcast_unravelIXadL_ZL6op_addffEE6__halfffJPKfS2_S2_S2_S2_S2_S2_EEvPKT0_PKT1_PT2_15HIP_vector_typeIjLj3EESC_SC_jSC_SC_SC_SC_SC_SC_iiiiiiiiiiiDpT3_: ; @_ZL19k_bin_bcast_unravelIXadL_ZL6op_addffEE6__halfffJPKfS2_S2_S2_S2_S2_S2_EEvPKT0_PKT1_PT2_15HIP_vector_typeIjLj3EESC_SC_jSC_SC_SC_SC_SC_SC_iiiiiiiiiiiDpT3_
; %bb.0:
	s_load_b32 s2, s[0:1], 0xfc
	s_bfe_u32 s3, ttmp6, 0x4000c
	s_load_b256 s[4:11], s[0:1], 0x38
	s_add_co_i32 s3, s3, 1
	s_and_b32 s12, ttmp6, 15
	s_mul_i32 s3, ttmp9, s3
	s_getreg_b32 s13, hwreg(HW_REG_IB_STS2, 6, 4)
	s_add_co_i32 s12, s12, s3
	s_wait_kmcnt 0x0
	s_and_b32 s2, s2, 0xffff
	s_cmp_eq_u32 s13, 0
	s_cselect_b32 s3, ttmp9, s12
	s_delay_alu instid0(SALU_CYCLE_1) | instskip(SKIP_1) | instid1(VALU_DEP_1)
	v_mad_u32 v0, s3, s2, v0
	s_load_b32 s2, s[0:1], 0x2c
	v_mul_hi_u32 v1, v0, s6
	s_delay_alu instid0(VALU_DEP_1) | instskip(NEXT) | instid1(VALU_DEP_1)
	v_add_nc_u32_e32 v1, v0, v1
	v_lshrrev_b32_e32 v1, s7, v1
	s_delay_alu instid0(VALU_DEP_1) | instskip(NEXT) | instid1(VALU_DEP_1)
	v_mul_lo_u32 v2, v1, s8
	v_sub_nc_u32_e32 v0, v0, v2
	s_delay_alu instid0(VALU_DEP_1) | instskip(NEXT) | instid1(VALU_DEP_1)
	v_mul_hi_u32 v2, v0, s9
	v_add_nc_u32_e32 v2, v0, v2
	s_delay_alu instid0(VALU_DEP_1) | instskip(SKIP_1) | instid1(VALU_DEP_1)
	v_lshrrev_b32_e32 v2, s10, v2
	s_load_b96 s[8:10], s[0:1], 0x18
	v_mul_lo_u32 v3, v2, s11
	s_delay_alu instid0(VALU_DEP_1) | instskip(SKIP_3) | instid1(VALU_DEP_3)
	v_sub_nc_u32_e32 v0, v0, v3
	v_cmp_gt_u32_e64 s3, s4, v2
	v_cmp_gt_u32_e64 s4, s5, v1
	s_wait_kmcnt 0x0
	v_mul_hi_u32 v3, v0, s8
	s_delay_alu instid0(VALU_DEP_1) | instskip(NEXT) | instid1(VALU_DEP_1)
	v_add_nc_u32_e32 v3, v0, v3
	v_lshrrev_b32_e32 v4, s9, v3
	s_delay_alu instid0(VALU_DEP_1) | instskip(NEXT) | instid1(VALU_DEP_1)
	v_mul_lo_u32 v3, v4, s10
	v_sub_nc_u32_e32 v0, v0, v3
	v_cmp_gt_u32_e64 s2, s2, v4
	s_delay_alu instid0(VALU_DEP_2) | instskip(SKIP_1) | instid1(SALU_CYCLE_1)
	v_cmp_gt_u32_e32 vcc_lo, s10, v0
	s_and_b32 s2, vcc_lo, s2
	s_and_b32 s2, s2, s3
	s_delay_alu instid0(SALU_CYCLE_1) | instskip(NEXT) | instid1(SALU_CYCLE_1)
	s_and_b32 s2, s4, s2
	s_and_saveexec_b32 s3, s2
	s_cbranch_execz .LBB86_4
; %bb.1:
	s_clause 0x4
	s_load_b64 s[2:3], s[0:1], 0x0
	s_load_b96 s[24:26], s[0:1], 0xa8
	s_load_b256 s[4:11], s[0:1], 0x88
	s_load_b128 s[20:23], s[0:1], 0x78
	s_load_b256 s[12:19], s[0:1], 0x58
	v_dual_mov_b32 v3, 0 :: v_dual_mov_b32 v5, 0
	s_wait_kmcnt 0x0
	s_cmp_eq_u64 s[2:3], 0
	s_cbranch_scc1 .LBB86_3
; %bb.2:
	v_mul_lo_u32 v5, v1, s10
	v_mov_b32_e32 v7, 0
	s_delay_alu instid0(VALU_DEP_2) | instskip(NEXT) | instid1(VALU_DEP_1)
	v_mad_u32 v5, v2, s9, v5
	v_mad_u32 v6, v4, s8, v5
	s_delay_alu instid0(VALU_DEP_1) | instskip(SKIP_1) | instid1(VALU_DEP_1)
	v_lshl_add_u64 v[8:9], v[6:7], 1, s[2:3]
	v_mul_lo_u32 v6, v0, s7
	v_lshl_add_u64 v[6:7], v[6:7], 1, v[8:9]
	global_load_u16 v5, v[6:7], off
	s_wait_loadcnt 0x0
	v_cvt_f32_f16_e32 v5, v5
.LBB86_3:
	v_mul_hi_u32 v6, s21, v1
	v_mul_hi_u32 v7, s18, v2
	;; [unrolled: 1-line block ×4, first 2 shown]
	s_load_b64 s[2:3], s[0:1], 0xe8
	s_delay_alu instid0(VALU_DEP_3) | instskip(NEXT) | instid1(VALU_DEP_1)
	v_dual_add_nc_u32 v6, v1, v6 :: v_dual_add_nc_u32 v7, v2, v7
	v_dual_lshrrev_b32 v6, s22, v6 :: v_dual_lshrrev_b32 v7, s19, v7
	s_delay_alu instid0(VALU_DEP_1) | instskip(SKIP_1) | instid1(VALU_DEP_3)
	v_mul_lo_u32 v6, v6, s23
	v_add_nc_u32_e32 v8, v4, v8
	v_mul_lo_u32 v7, v7, s20
	s_delay_alu instid0(VALU_DEP_3) | instskip(NEXT) | instid1(VALU_DEP_2)
	v_dual_sub_nc_u32 v6, v1, v6 :: v_dual_add_nc_u32 v9, v0, v9
	v_dual_lshrrev_b32 v8, s16, v8 :: v_dual_sub_nc_u32 v7, v2, v7
	v_mul_lo_u32 v1, v1, s6
	s_delay_alu instid0(VALU_DEP_3) | instskip(NEXT) | instid1(VALU_DEP_4)
	v_mul_lo_u32 v6, v6, s26
	v_lshrrev_b32_e32 v9, s13, v9
	s_delay_alu instid0(VALU_DEP_4) | instskip(SKIP_1) | instid1(VALU_DEP_2)
	v_mul_lo_u32 v8, v8, s17
	s_load_b128 s[16:19], s[0:1], 0xd8
	v_mul_lo_u32 v9, v9, s14
	v_mad_u32 v1, v2, s5, v1
	v_mad_u32 v7, v7, s25, v6
	s_delay_alu instid0(VALU_DEP_4) | instskip(NEXT) | instid1(VALU_DEP_1)
	v_sub_nc_u32_e32 v8, v4, v8
	v_mad_u32 v8, v8, s24, v7
	s_delay_alu instid0(VALU_DEP_1) | instskip(NEXT) | instid1(VALU_DEP_1)
	v_dual_sub_nc_u32 v6, v0, v9 :: v_dual_ashrrev_i32 v9, 31, v8
	v_mul_lo_u32 v6, v6, s11
	s_load_b256 s[8:15], s[0:1], 0xb8
	s_delay_alu instid0(VALU_DEP_1) | instskip(SKIP_2) | instid1(VALU_DEP_1)
	v_ashrrev_i32_e32 v7, 31, v6
	s_wait_xcnt 0x0
	s_load_b64 s[0:1], s[0:1], 0x10
	v_add_nc_u64_e32 v[6:7], v[6:7], v[8:9]
	s_delay_alu instid0(VALU_DEP_1) | instskip(SKIP_1) | instid1(VALU_DEP_1)
	v_lshlrev_b64_e32 v[6:7], 2, v[6:7]
	s_wait_kmcnt 0x0
	v_add_nc_u64_e32 v[8:9], s[8:9], v[6:7]
	v_add_nc_u64_e32 v[10:11], s[10:11], v[6:7]
	global_load_b32 v12, v[8:9], off
	s_wait_xcnt 0x0
	v_add_nc_u64_e32 v[8:9], s[12:13], v[6:7]
	global_load_b32 v13, v[10:11], off
	s_wait_xcnt 0x0
	;; [unrolled: 3-line block ×4, first 2 shown]
	v_add_nc_u64_e32 v[10:11], s[18:19], v[6:7]
	v_add_nc_u64_e32 v[6:7], s[2:3], v[6:7]
	global_load_b32 v8, v[8:9], off
	global_load_b32 v9, v[10:11], off
	;; [unrolled: 1-line block ×3, first 2 shown]
	s_wait_loadcnt 0x6
	v_add_f32_e32 v5, v5, v12
	s_wait_loadcnt 0x5
	s_delay_alu instid0(VALU_DEP_1) | instskip(SKIP_1) | instid1(VALU_DEP_1)
	v_add_f32_e32 v2, v5, v13
	s_wait_loadcnt 0x4
	v_add_f32_e32 v5, v2, v14
	v_mad_u32 v2, v4, s4, v1
	s_wait_loadcnt 0x3
	s_delay_alu instid0(VALU_DEP_2) | instskip(SKIP_1) | instid1(VALU_DEP_1)
	v_add_f32_e32 v1, v5, v15
	s_wait_loadcnt 0x2
	v_dual_add_f32 v4, v1, v8 :: v_dual_mov_b32 v1, v3
	s_delay_alu instid0(VALU_DEP_3) | instskip(SKIP_1) | instid1(VALU_DEP_2)
	v_lshl_add_u64 v[2:3], v[2:3], 2, s[0:1]
	s_wait_loadcnt 0x1
	v_add_f32_e32 v4, v4, v9
	s_delay_alu instid0(VALU_DEP_2) | instskip(SKIP_1) | instid1(VALU_DEP_2)
	v_lshl_add_u64 v[0:1], v[0:1], 2, v[2:3]
	s_wait_loadcnt 0x0
	v_add_f32_e32 v4, v4, v16
	global_store_b32 v[0:1], v4, off
.LBB86_4:
	s_endpgm
	.section	.rodata,"a",@progbits
	.p2align	6, 0x0
	.amdhsa_kernel _ZL19k_bin_bcast_unravelIXadL_ZL6op_addffEE6__halfffJPKfS2_S2_S2_S2_S2_S2_EEvPKT0_PKT1_PT2_15HIP_vector_typeIjLj3EESC_SC_jSC_SC_SC_SC_SC_SC_iiiiiiiiiiiDpT3_
		.amdhsa_group_segment_fixed_size 0
		.amdhsa_private_segment_fixed_size 0
		.amdhsa_kernarg_size 496
		.amdhsa_user_sgpr_count 2
		.amdhsa_user_sgpr_dispatch_ptr 0
		.amdhsa_user_sgpr_queue_ptr 0
		.amdhsa_user_sgpr_kernarg_segment_ptr 1
		.amdhsa_user_sgpr_dispatch_id 0
		.amdhsa_user_sgpr_kernarg_preload_length 0
		.amdhsa_user_sgpr_kernarg_preload_offset 0
		.amdhsa_user_sgpr_private_segment_size 0
		.amdhsa_wavefront_size32 1
		.amdhsa_uses_dynamic_stack 0
		.amdhsa_enable_private_segment 0
		.amdhsa_system_sgpr_workgroup_id_x 1
		.amdhsa_system_sgpr_workgroup_id_y 0
		.amdhsa_system_sgpr_workgroup_id_z 0
		.amdhsa_system_sgpr_workgroup_info 0
		.amdhsa_system_vgpr_workitem_id 0
		.amdhsa_next_free_vgpr 17
		.amdhsa_next_free_sgpr 27
		.amdhsa_named_barrier_count 0
		.amdhsa_reserve_vcc 1
		.amdhsa_float_round_mode_32 0
		.amdhsa_float_round_mode_16_64 0
		.amdhsa_float_denorm_mode_32 3
		.amdhsa_float_denorm_mode_16_64 3
		.amdhsa_fp16_overflow 0
		.amdhsa_memory_ordered 1
		.amdhsa_forward_progress 1
		.amdhsa_inst_pref_size 8
		.amdhsa_round_robin_scheduling 0
		.amdhsa_exception_fp_ieee_invalid_op 0
		.amdhsa_exception_fp_denorm_src 0
		.amdhsa_exception_fp_ieee_div_zero 0
		.amdhsa_exception_fp_ieee_overflow 0
		.amdhsa_exception_fp_ieee_underflow 0
		.amdhsa_exception_fp_ieee_inexact 0
		.amdhsa_exception_int_div_zero 0
	.end_amdhsa_kernel
	.section	.text._ZL19k_bin_bcast_unravelIXadL_ZL6op_addffEE6__halfffJPKfS2_S2_S2_S2_S2_S2_EEvPKT0_PKT1_PT2_15HIP_vector_typeIjLj3EESC_SC_jSC_SC_SC_SC_SC_SC_iiiiiiiiiiiDpT3_,"axG",@progbits,_ZL19k_bin_bcast_unravelIXadL_ZL6op_addffEE6__halfffJPKfS2_S2_S2_S2_S2_S2_EEvPKT0_PKT1_PT2_15HIP_vector_typeIjLj3EESC_SC_jSC_SC_SC_SC_SC_SC_iiiiiiiiiiiDpT3_,comdat
.Lfunc_end86:
	.size	_ZL19k_bin_bcast_unravelIXadL_ZL6op_addffEE6__halfffJPKfS2_S2_S2_S2_S2_S2_EEvPKT0_PKT1_PT2_15HIP_vector_typeIjLj3EESC_SC_jSC_SC_SC_SC_SC_SC_iiiiiiiiiiiDpT3_, .Lfunc_end86-_ZL19k_bin_bcast_unravelIXadL_ZL6op_addffEE6__halfffJPKfS2_S2_S2_S2_S2_S2_EEvPKT0_PKT1_PT2_15HIP_vector_typeIjLj3EESC_SC_jSC_SC_SC_SC_SC_SC_iiiiiiiiiiiDpT3_
                                        ; -- End function
	.set _ZL19k_bin_bcast_unravelIXadL_ZL6op_addffEE6__halfffJPKfS2_S2_S2_S2_S2_S2_EEvPKT0_PKT1_PT2_15HIP_vector_typeIjLj3EESC_SC_jSC_SC_SC_SC_SC_SC_iiiiiiiiiiiDpT3_.num_vgpr, 17
	.set _ZL19k_bin_bcast_unravelIXadL_ZL6op_addffEE6__halfffJPKfS2_S2_S2_S2_S2_S2_EEvPKT0_PKT1_PT2_15HIP_vector_typeIjLj3EESC_SC_jSC_SC_SC_SC_SC_SC_iiiiiiiiiiiDpT3_.num_agpr, 0
	.set _ZL19k_bin_bcast_unravelIXadL_ZL6op_addffEE6__halfffJPKfS2_S2_S2_S2_S2_S2_EEvPKT0_PKT1_PT2_15HIP_vector_typeIjLj3EESC_SC_jSC_SC_SC_SC_SC_SC_iiiiiiiiiiiDpT3_.numbered_sgpr, 27
	.set _ZL19k_bin_bcast_unravelIXadL_ZL6op_addffEE6__halfffJPKfS2_S2_S2_S2_S2_S2_EEvPKT0_PKT1_PT2_15HIP_vector_typeIjLj3EESC_SC_jSC_SC_SC_SC_SC_SC_iiiiiiiiiiiDpT3_.num_named_barrier, 0
	.set _ZL19k_bin_bcast_unravelIXadL_ZL6op_addffEE6__halfffJPKfS2_S2_S2_S2_S2_S2_EEvPKT0_PKT1_PT2_15HIP_vector_typeIjLj3EESC_SC_jSC_SC_SC_SC_SC_SC_iiiiiiiiiiiDpT3_.private_seg_size, 0
	.set _ZL19k_bin_bcast_unravelIXadL_ZL6op_addffEE6__halfffJPKfS2_S2_S2_S2_S2_S2_EEvPKT0_PKT1_PT2_15HIP_vector_typeIjLj3EESC_SC_jSC_SC_SC_SC_SC_SC_iiiiiiiiiiiDpT3_.uses_vcc, 1
	.set _ZL19k_bin_bcast_unravelIXadL_ZL6op_addffEE6__halfffJPKfS2_S2_S2_S2_S2_S2_EEvPKT0_PKT1_PT2_15HIP_vector_typeIjLj3EESC_SC_jSC_SC_SC_SC_SC_SC_iiiiiiiiiiiDpT3_.uses_flat_scratch, 0
	.set _ZL19k_bin_bcast_unravelIXadL_ZL6op_addffEE6__halfffJPKfS2_S2_S2_S2_S2_S2_EEvPKT0_PKT1_PT2_15HIP_vector_typeIjLj3EESC_SC_jSC_SC_SC_SC_SC_SC_iiiiiiiiiiiDpT3_.has_dyn_sized_stack, 0
	.set _ZL19k_bin_bcast_unravelIXadL_ZL6op_addffEE6__halfffJPKfS2_S2_S2_S2_S2_S2_EEvPKT0_PKT1_PT2_15HIP_vector_typeIjLj3EESC_SC_jSC_SC_SC_SC_SC_SC_iiiiiiiiiiiDpT3_.has_recursion, 0
	.set _ZL19k_bin_bcast_unravelIXadL_ZL6op_addffEE6__halfffJPKfS2_S2_S2_S2_S2_S2_EEvPKT0_PKT1_PT2_15HIP_vector_typeIjLj3EESC_SC_jSC_SC_SC_SC_SC_SC_iiiiiiiiiiiDpT3_.has_indirect_call, 0
	.section	.AMDGPU.csdata,"",@progbits
; Kernel info:
; codeLenInByte = 928
; TotalNumSgprs: 29
; NumVgprs: 17
; ScratchSize: 0
; MemoryBound: 0
; FloatMode: 240
; IeeeMode: 1
; LDSByteSize: 0 bytes/workgroup (compile time only)
; SGPRBlocks: 0
; VGPRBlocks: 1
; NumSGPRsForWavesPerEU: 29
; NumVGPRsForWavesPerEU: 17
; NamedBarCnt: 0
; Occupancy: 16
; WaveLimiterHint : 1
; COMPUTE_PGM_RSRC2:SCRATCH_EN: 0
; COMPUTE_PGM_RSRC2:USER_SGPR: 2
; COMPUTE_PGM_RSRC2:TRAP_HANDLER: 0
; COMPUTE_PGM_RSRC2:TGID_X_EN: 1
; COMPUTE_PGM_RSRC2:TGID_Y_EN: 0
; COMPUTE_PGM_RSRC2:TGID_Z_EN: 0
; COMPUTE_PGM_RSRC2:TIDIG_COMP_CNT: 0
	.section	.text._ZL11k_bin_bcastIXadL_ZL6op_addffEE6__halfffJPKfS2_S2_S2_S2_S2_S2_EEvPKT0_PKT1_PT2_iii15HIP_vector_typeIjLj3EESC_SC_SC_SC_iiiiiiiiiiiDpT3_,"axG",@progbits,_ZL11k_bin_bcastIXadL_ZL6op_addffEE6__halfffJPKfS2_S2_S2_S2_S2_S2_EEvPKT0_PKT1_PT2_iii15HIP_vector_typeIjLj3EESC_SC_SC_SC_iiiiiiiiiiiDpT3_,comdat
	.globl	_ZL11k_bin_bcastIXadL_ZL6op_addffEE6__halfffJPKfS2_S2_S2_S2_S2_S2_EEvPKT0_PKT1_PT2_iii15HIP_vector_typeIjLj3EESC_SC_SC_SC_iiiiiiiiiiiDpT3_ ; -- Begin function _ZL11k_bin_bcastIXadL_ZL6op_addffEE6__halfffJPKfS2_S2_S2_S2_S2_S2_EEvPKT0_PKT1_PT2_iii15HIP_vector_typeIjLj3EESC_SC_SC_SC_iiiiiiiiiiiDpT3_
	.p2align	8
	.type	_ZL11k_bin_bcastIXadL_ZL6op_addffEE6__halfffJPKfS2_S2_S2_S2_S2_S2_EEvPKT0_PKT1_PT2_iii15HIP_vector_typeIjLj3EESC_SC_SC_SC_iiiiiiiiiiiDpT3_,@function
_ZL11k_bin_bcastIXadL_ZL6op_addffEE6__halfffJPKfS2_S2_S2_S2_S2_S2_EEvPKT0_PKT1_PT2_iii15HIP_vector_typeIjLj3EESC_SC_SC_SC_iiiiiiiiiiiDpT3_: ; @_ZL11k_bin_bcastIXadL_ZL6op_addffEE6__halfffJPKfS2_S2_S2_S2_S2_S2_EEvPKT0_PKT1_PT2_iii15HIP_vector_typeIjLj3EESC_SC_SC_SC_iiiiiiiiiiiDpT3_
; %bb.0:
	s_load_b64 s[2:3], s[0:1], 0xd4
	s_bfe_u32 s5, ttmp6, 0x40014
	s_bfe_u32 s7, ttmp6, 0x40010
	;; [unrolled: 1-line block ×3, first 2 shown]
	s_lshr_b32 s4, ttmp7, 16
	s_and_b32 s16, ttmp7, 0xffff
	s_add_co_i32 s5, s5, 1
	s_add_co_i32 s7, s7, 1
	s_load_b256 s[8:15], s[0:1], 0x18
	s_add_co_i32 s19, s19, 1
	s_bfe_u32 s6, ttmp6, 0x40008
	s_bfe_u32 s17, ttmp6, 0x40004
	s_mul_i32 s5, s4, s5
	s_mul_i32 s7, s16, s7
	s_and_b32 s18, ttmp6, 15
	s_mul_i32 s19, ttmp9, s19
	s_add_co_i32 s6, s6, s5
	s_add_co_i32 s17, s17, s7
	;; [unrolled: 1-line block ×3, first 2 shown]
	v_bfe_u32 v1, v0, 20, 10
	s_wait_kmcnt 0x0
	s_lshr_b32 s5, s2, 16
	s_and_b32 s7, s2, 0xffff
	s_getreg_b32 s2, hwreg(HW_REG_IB_STS2, 6, 4)
	s_and_b32 s3, s3, 0xffff
	s_cmp_eq_u32 s2, 0
	v_and_b32_e32 v2, 0x3ff, v0
	s_cselect_b32 s2, s4, s6
	v_bfe_u32 v4, v0, 10, 10
	v_mad_u32 v3, s2, s3, v1
	s_cselect_b32 s2, ttmp9, s18
	s_cselect_b32 s3, s16, s17
	v_mad_u32 v0, s2, s7, v2
	v_mad_u32 v2, s3, s5, v4
	s_delay_alu instid0(VALU_DEP_3) | instskip(NEXT) | instid1(VALU_DEP_3)
	v_mul_hi_u32 v1, v3, s11
	v_cmp_gt_u32_e32 vcc_lo, s8, v0
	s_delay_alu instid0(VALU_DEP_3) | instskip(SKIP_2) | instid1(VALU_DEP_1)
	v_cmp_gt_u32_e64 s2, s9, v2
	s_and_b32 s2, vcc_lo, s2
	v_add_nc_u32_e32 v1, v3, v1
	v_lshrrev_b32_e32 v1, s12, v1
	s_delay_alu instid0(VALU_DEP_1) | instskip(SKIP_3) | instid1(VALU_DEP_1)
	v_mul_lo_u32 v5, v1, s13
	v_cmp_gt_u32_e64 s3, s10, v1
	s_and_b32 s2, s2, s3
	v_sub_nc_u32_e32 v3, v3, v5
	v_cmp_gt_u32_e64 s4, s13, v3
	s_and_b32 s2, s2, s4
	s_delay_alu instid0(SALU_CYCLE_1)
	s_and_saveexec_b32 s3, s2
	s_cbranch_execz .LBB87_6
; %bb.1:
	v_cmp_gt_i32_e32 vcc_lo, s8, v0
	s_and_b32 exec_lo, exec_lo, vcc_lo
	s_cbranch_execz .LBB87_6
; %bb.2:
	s_clause 0x3
	s_load_b256 s[24:31], s[0:1], 0x3c
	s_load_b32 s2, s[0:1], 0x5c
	s_load_b256 s[16:23], s[0:1], 0x60
	s_load_b96 s[4:6], s[0:1], 0x80
	s_add_nc_u64 s[10:11], s[0:1], 0xc8
	s_clause 0x1
	s_load_b256 s[36:43], s[0:1], 0x90
	s_load_b64 s[12:13], s[0:1], 0x10
	s_wait_kmcnt 0x0
	v_mul_hi_u32 v4, s30, v3
	v_mul_hi_u32 v5, s27, v1
	;; [unrolled: 1-line block ×3, first 2 shown]
	v_mul_lo_u32 v7, v2, s20
	v_mul_lo_u32 v8, v2, s16
	s_delay_alu instid0(VALU_DEP_4) | instskip(NEXT) | instid1(VALU_DEP_3)
	v_dual_add_nc_u32 v4, v3, v4 :: v_dual_add_nc_u32 v5, v1, v5
	v_mad_u32 v7, v1, s21, v7
	s_delay_alu instid0(VALU_DEP_3) | instskip(NEXT) | instid1(VALU_DEP_3)
	v_mad_u32 v8, v1, s17, v8
	v_dual_lshrrev_b32 v4, s31, v4 :: v_dual_lshrrev_b32 v5, s28, v5
	s_delay_alu instid0(VALU_DEP_1) | instskip(SKIP_1) | instid1(VALU_DEP_3)
	v_mul_lo_u32 v4, v4, s2
	v_add_nc_u32_e32 v6, v2, v6
	v_mul_lo_u32 v5, v5, s29
	s_load_b64 s[2:3], s[0:1], 0x0
	v_mad_u32 v8, v3, s18, v8
	s_delay_alu instid0(VALU_DEP_3) | instskip(NEXT) | instid1(VALU_DEP_3)
	v_dual_sub_nc_u32 v4, v3, v4 :: v_dual_lshrrev_b32 v6, s25, v6
	v_sub_nc_u32_e32 v5, v1, v5
	s_delay_alu instid0(VALU_DEP_2) | instskip(NEXT) | instid1(VALU_DEP_3)
	v_mul_lo_u32 v9, v4, s6
	v_mul_lo_u32 v6, v6, s26
	s_load_b32 s6, s[10:11], 0x0
	s_load_b32 s9, s[0:1], 0x38
	v_mad_u32 v4, v3, s22, v7
	s_load_b256 s[24:31], s[0:1], 0xb0
	v_mov_b32_e32 v1, 0
	s_wait_xcnt 0x0
	s_mov_b32 s1, 0
	s_wait_kmcnt 0x0
	s_cmp_lg_u64 s[2:3], 0
	s_mov_b32 s0, s14
	v_mad_u32 v7, v5, s5, v9
	v_sub_nc_u32_e32 v2, v2, v6
	v_mul_lo_u32 v6, s19, v0
	v_dual_mov_b32 v5, v1 :: v_dual_mov_b32 v9, v1
	v_mov_b32_e32 v3, v1
	s_delay_alu instid0(VALU_DEP_2) | instskip(NEXT) | instid1(VALU_DEP_3)
	v_lshl_add_u64 v[4:5], v[4:5], 1, s[2:3]
	v_lshl_add_u64 v[8:9], v[8:9], 2, s[12:13]
	s_mul_i32 s2, s6, s7
	v_mad_u32 v2, v2, s4, v7
	s_cselect_b32 s3, -1, 0
	s_mul_i32 s4, s2, s19
	s_sub_co_i32 s5, 0, s9
	s_mov_b32 s6, s1
	s_branch .LBB87_4
.LBB87_3:                               ;   in Loop: Header=BB87_4 Depth=1
	s_wait_xcnt 0x0
	v_mul_u64_e32 v[10:11], s[0:1], v[0:1]
	s_delay_alu instid0(VALU_DEP_1) | instskip(NEXT) | instid1(VALU_DEP_1)
	v_dual_add_nc_u32 v6, s4, v6 :: v_dual_add_nc_u32 v10, v0, v11
	v_dual_mov_b32 v11, v1 :: v_dual_lshrrev_b32 v10, s15, v10
	s_delay_alu instid0(VALU_DEP_1) | instskip(NEXT) | instid1(VALU_DEP_1)
	v_mad_u32 v10, s5, v10, v0
	v_mul_lo_u32 v10, v10, s23
	s_delay_alu instid0(VALU_DEP_1) | instskip(NEXT) | instid1(VALU_DEP_1)
	v_add_nc_u64_e32 v[10:11], v[10:11], v[2:3]
	v_lshlrev_b64_e32 v[10:11], 2, v[10:11]
	s_delay_alu instid0(VALU_DEP_1)
	v_add_nc_u64_e32 v[12:13], s[36:37], v[10:11]
	v_add_nc_u64_e32 v[14:15], s[38:39], v[10:11]
	global_load_b32 v16, v[12:13], off
	s_wait_xcnt 0x0
	v_add_nc_u64_e32 v[12:13], s[40:41], v[10:11]
	global_load_b32 v17, v[14:15], off
	s_wait_xcnt 0x0
	;; [unrolled: 3-line block ×4, first 2 shown]
	v_add_nc_u64_e32 v[14:15], s[26:27], v[10:11]
	v_add_nc_u64_e32 v[10:11], s[28:29], v[10:11]
	global_load_b32 v12, v[12:13], off
	global_load_b32 v13, v[14:15], off
	;; [unrolled: 1-line block ×3, first 2 shown]
	s_wait_xcnt 0x0
	v_dual_mov_b32 v10, v0 :: v_dual_ashrrev_i32 v11, 31, v0
	v_add_nc_u32_e32 v0, s2, v0
	s_delay_alu instid0(VALU_DEP_2) | instskip(NEXT) | instid1(VALU_DEP_2)
	v_lshl_add_u64 v[10:11], v[10:11], 2, v[8:9]
	v_cmp_le_i32_e32 vcc_lo, s8, v0
	s_or_b32 s6, vcc_lo, s6
	s_wait_loadcnt 0x6
	v_add_f32_e32 v7, v7, v16
	s_wait_loadcnt 0x5
	s_delay_alu instid0(VALU_DEP_1) | instskip(SKIP_1) | instid1(VALU_DEP_1)
	v_add_f32_e32 v7, v7, v17
	s_wait_loadcnt 0x4
	v_add_f32_e32 v7, v7, v18
	s_wait_loadcnt 0x3
	s_delay_alu instid0(VALU_DEP_1) | instskip(SKIP_1) | instid1(VALU_DEP_1)
	v_add_f32_e32 v7, v7, v19
	;; [unrolled: 5-line block ×3, first 2 shown]
	s_wait_loadcnt 0x0
	v_add_f32_e32 v7, v7, v20
	global_store_b32 v[10:11], v7, off
	s_wait_xcnt 0x0
	s_and_not1_b32 exec_lo, exec_lo, s6
	s_cbranch_execz .LBB87_6
.LBB87_4:                               ; =>This Inner Loop Header: Depth=1
	v_mov_b32_e32 v7, 0
	s_and_not1_b32 vcc_lo, exec_lo, s3
	s_cbranch_vccnz .LBB87_3
; %bb.5:                                ;   in Loop: Header=BB87_4 Depth=1
	v_ashrrev_i32_e32 v7, 31, v6
	s_delay_alu instid0(VALU_DEP_1)
	v_lshl_add_u64 v[10:11], v[6:7], 1, v[4:5]
	global_load_u16 v7, v[10:11], off
	s_wait_loadcnt 0x0
	v_cvt_f32_f16_e32 v7, v7
	s_branch .LBB87_3
.LBB87_6:
	s_endpgm
	.section	.rodata,"a",@progbits
	.p2align	6, 0x0
	.amdhsa_kernel _ZL11k_bin_bcastIXadL_ZL6op_addffEE6__halfffJPKfS2_S2_S2_S2_S2_S2_EEvPKT0_PKT1_PT2_iii15HIP_vector_typeIjLj3EESC_SC_SC_SC_iiiiiiiiiiiDpT3_
		.amdhsa_group_segment_fixed_size 0
		.amdhsa_private_segment_fixed_size 0
		.amdhsa_kernarg_size 456
		.amdhsa_user_sgpr_count 2
		.amdhsa_user_sgpr_dispatch_ptr 0
		.amdhsa_user_sgpr_queue_ptr 0
		.amdhsa_user_sgpr_kernarg_segment_ptr 1
		.amdhsa_user_sgpr_dispatch_id 0
		.amdhsa_user_sgpr_kernarg_preload_length 0
		.amdhsa_user_sgpr_kernarg_preload_offset 0
		.amdhsa_user_sgpr_private_segment_size 0
		.amdhsa_wavefront_size32 1
		.amdhsa_uses_dynamic_stack 0
		.amdhsa_enable_private_segment 0
		.amdhsa_system_sgpr_workgroup_id_x 1
		.amdhsa_system_sgpr_workgroup_id_y 1
		.amdhsa_system_sgpr_workgroup_id_z 1
		.amdhsa_system_sgpr_workgroup_info 0
		.amdhsa_system_vgpr_workitem_id 2
		.amdhsa_next_free_vgpr 21
		.amdhsa_next_free_sgpr 44
		.amdhsa_named_barrier_count 0
		.amdhsa_reserve_vcc 1
		.amdhsa_float_round_mode_32 0
		.amdhsa_float_round_mode_16_64 0
		.amdhsa_float_denorm_mode_32 3
		.amdhsa_float_denorm_mode_16_64 3
		.amdhsa_fp16_overflow 0
		.amdhsa_memory_ordered 1
		.amdhsa_forward_progress 1
		.amdhsa_inst_pref_size 9
		.amdhsa_round_robin_scheduling 0
		.amdhsa_exception_fp_ieee_invalid_op 0
		.amdhsa_exception_fp_denorm_src 0
		.amdhsa_exception_fp_ieee_div_zero 0
		.amdhsa_exception_fp_ieee_overflow 0
		.amdhsa_exception_fp_ieee_underflow 0
		.amdhsa_exception_fp_ieee_inexact 0
		.amdhsa_exception_int_div_zero 0
	.end_amdhsa_kernel
	.section	.text._ZL11k_bin_bcastIXadL_ZL6op_addffEE6__halfffJPKfS2_S2_S2_S2_S2_S2_EEvPKT0_PKT1_PT2_iii15HIP_vector_typeIjLj3EESC_SC_SC_SC_iiiiiiiiiiiDpT3_,"axG",@progbits,_ZL11k_bin_bcastIXadL_ZL6op_addffEE6__halfffJPKfS2_S2_S2_S2_S2_S2_EEvPKT0_PKT1_PT2_iii15HIP_vector_typeIjLj3EESC_SC_SC_SC_iiiiiiiiiiiDpT3_,comdat
.Lfunc_end87:
	.size	_ZL11k_bin_bcastIXadL_ZL6op_addffEE6__halfffJPKfS2_S2_S2_S2_S2_S2_EEvPKT0_PKT1_PT2_iii15HIP_vector_typeIjLj3EESC_SC_SC_SC_iiiiiiiiiiiDpT3_, .Lfunc_end87-_ZL11k_bin_bcastIXadL_ZL6op_addffEE6__halfffJPKfS2_S2_S2_S2_S2_S2_EEvPKT0_PKT1_PT2_iii15HIP_vector_typeIjLj3EESC_SC_SC_SC_iiiiiiiiiiiDpT3_
                                        ; -- End function
	.set _ZL11k_bin_bcastIXadL_ZL6op_addffEE6__halfffJPKfS2_S2_S2_S2_S2_S2_EEvPKT0_PKT1_PT2_iii15HIP_vector_typeIjLj3EESC_SC_SC_SC_iiiiiiiiiiiDpT3_.num_vgpr, 21
	.set _ZL11k_bin_bcastIXadL_ZL6op_addffEE6__halfffJPKfS2_S2_S2_S2_S2_S2_EEvPKT0_PKT1_PT2_iii15HIP_vector_typeIjLj3EESC_SC_SC_SC_iiiiiiiiiiiDpT3_.num_agpr, 0
	.set _ZL11k_bin_bcastIXadL_ZL6op_addffEE6__halfffJPKfS2_S2_S2_S2_S2_S2_EEvPKT0_PKT1_PT2_iii15HIP_vector_typeIjLj3EESC_SC_SC_SC_iiiiiiiiiiiDpT3_.numbered_sgpr, 44
	.set _ZL11k_bin_bcastIXadL_ZL6op_addffEE6__halfffJPKfS2_S2_S2_S2_S2_S2_EEvPKT0_PKT1_PT2_iii15HIP_vector_typeIjLj3EESC_SC_SC_SC_iiiiiiiiiiiDpT3_.num_named_barrier, 0
	.set _ZL11k_bin_bcastIXadL_ZL6op_addffEE6__halfffJPKfS2_S2_S2_S2_S2_S2_EEvPKT0_PKT1_PT2_iii15HIP_vector_typeIjLj3EESC_SC_SC_SC_iiiiiiiiiiiDpT3_.private_seg_size, 0
	.set _ZL11k_bin_bcastIXadL_ZL6op_addffEE6__halfffJPKfS2_S2_S2_S2_S2_S2_EEvPKT0_PKT1_PT2_iii15HIP_vector_typeIjLj3EESC_SC_SC_SC_iiiiiiiiiiiDpT3_.uses_vcc, 1
	.set _ZL11k_bin_bcastIXadL_ZL6op_addffEE6__halfffJPKfS2_S2_S2_S2_S2_S2_EEvPKT0_PKT1_PT2_iii15HIP_vector_typeIjLj3EESC_SC_SC_SC_iiiiiiiiiiiDpT3_.uses_flat_scratch, 0
	.set _ZL11k_bin_bcastIXadL_ZL6op_addffEE6__halfffJPKfS2_S2_S2_S2_S2_S2_EEvPKT0_PKT1_PT2_iii15HIP_vector_typeIjLj3EESC_SC_SC_SC_iiiiiiiiiiiDpT3_.has_dyn_sized_stack, 0
	.set _ZL11k_bin_bcastIXadL_ZL6op_addffEE6__halfffJPKfS2_S2_S2_S2_S2_S2_EEvPKT0_PKT1_PT2_iii15HIP_vector_typeIjLj3EESC_SC_SC_SC_iiiiiiiiiiiDpT3_.has_recursion, 0
	.set _ZL11k_bin_bcastIXadL_ZL6op_addffEE6__halfffJPKfS2_S2_S2_S2_S2_S2_EEvPKT0_PKT1_PT2_iii15HIP_vector_typeIjLj3EESC_SC_SC_SC_iiiiiiiiiiiDpT3_.has_indirect_call, 0
	.section	.AMDGPU.csdata,"",@progbits
; Kernel info:
; codeLenInByte = 1064
; TotalNumSgprs: 46
; NumVgprs: 21
; ScratchSize: 0
; MemoryBound: 0
; FloatMode: 240
; IeeeMode: 1
; LDSByteSize: 0 bytes/workgroup (compile time only)
; SGPRBlocks: 0
; VGPRBlocks: 1
; NumSGPRsForWavesPerEU: 46
; NumVGPRsForWavesPerEU: 21
; NamedBarCnt: 0
; Occupancy: 16
; WaveLimiterHint : 1
; COMPUTE_PGM_RSRC2:SCRATCH_EN: 0
; COMPUTE_PGM_RSRC2:USER_SGPR: 2
; COMPUTE_PGM_RSRC2:TRAP_HANDLER: 0
; COMPUTE_PGM_RSRC2:TGID_X_EN: 1
; COMPUTE_PGM_RSRC2:TGID_Y_EN: 1
; COMPUTE_PGM_RSRC2:TGID_Z_EN: 1
; COMPUTE_PGM_RSRC2:TIDIG_COMP_CNT: 2
	.section	.text._ZL19k_bin_bcast_unravelIXadL_ZL6op_addffEEfffJPKfS1_S1_S1_S1_S1_S1_S1_EEvPKT0_PKT1_PT2_15HIP_vector_typeIjLj3EESB_SB_jSB_SB_SB_SB_SB_SB_iiiiiiiiiiiDpT3_,"axG",@progbits,_ZL19k_bin_bcast_unravelIXadL_ZL6op_addffEEfffJPKfS1_S1_S1_S1_S1_S1_S1_EEvPKT0_PKT1_PT2_15HIP_vector_typeIjLj3EESB_SB_jSB_SB_SB_SB_SB_SB_iiiiiiiiiiiDpT3_,comdat
	.globl	_ZL19k_bin_bcast_unravelIXadL_ZL6op_addffEEfffJPKfS1_S1_S1_S1_S1_S1_S1_EEvPKT0_PKT1_PT2_15HIP_vector_typeIjLj3EESB_SB_jSB_SB_SB_SB_SB_SB_iiiiiiiiiiiDpT3_ ; -- Begin function _ZL19k_bin_bcast_unravelIXadL_ZL6op_addffEEfffJPKfS1_S1_S1_S1_S1_S1_S1_EEvPKT0_PKT1_PT2_15HIP_vector_typeIjLj3EESB_SB_jSB_SB_SB_SB_SB_SB_iiiiiiiiiiiDpT3_
	.p2align	8
	.type	_ZL19k_bin_bcast_unravelIXadL_ZL6op_addffEEfffJPKfS1_S1_S1_S1_S1_S1_S1_EEvPKT0_PKT1_PT2_15HIP_vector_typeIjLj3EESB_SB_jSB_SB_SB_SB_SB_SB_iiiiiiiiiiiDpT3_,@function
_ZL19k_bin_bcast_unravelIXadL_ZL6op_addffEEfffJPKfS1_S1_S1_S1_S1_S1_S1_EEvPKT0_PKT1_PT2_15HIP_vector_typeIjLj3EESB_SB_jSB_SB_SB_SB_SB_SB_iiiiiiiiiiiDpT3_: ; @_ZL19k_bin_bcast_unravelIXadL_ZL6op_addffEEfffJPKfS1_S1_S1_S1_S1_S1_S1_EEvPKT0_PKT1_PT2_15HIP_vector_typeIjLj3EESB_SB_jSB_SB_SB_SB_SB_SB_iiiiiiiiiiiDpT3_
; %bb.0:
	s_load_b32 s2, s[0:1], 0x104
	s_bfe_u32 s3, ttmp6, 0x4000c
	s_load_b256 s[4:11], s[0:1], 0x38
	s_add_co_i32 s3, s3, 1
	s_and_b32 s12, ttmp6, 15
	s_mul_i32 s3, ttmp9, s3
	s_getreg_b32 s13, hwreg(HW_REG_IB_STS2, 6, 4)
	s_add_co_i32 s12, s12, s3
	s_wait_kmcnt 0x0
	s_and_b32 s2, s2, 0xffff
	s_cmp_eq_u32 s13, 0
	s_cselect_b32 s3, ttmp9, s12
	s_delay_alu instid0(SALU_CYCLE_1) | instskip(SKIP_1) | instid1(VALU_DEP_1)
	v_mad_u32 v0, s3, s2, v0
	s_load_b32 s2, s[0:1], 0x2c
	v_mul_hi_u32 v1, v0, s6
	s_delay_alu instid0(VALU_DEP_1) | instskip(NEXT) | instid1(VALU_DEP_1)
	v_add_nc_u32_e32 v1, v0, v1
	v_lshrrev_b32_e32 v1, s7, v1
	s_delay_alu instid0(VALU_DEP_1) | instskip(NEXT) | instid1(VALU_DEP_1)
	v_mul_lo_u32 v2, v1, s8
	v_sub_nc_u32_e32 v0, v0, v2
	s_delay_alu instid0(VALU_DEP_1) | instskip(NEXT) | instid1(VALU_DEP_1)
	v_mul_hi_u32 v2, v0, s9
	v_add_nc_u32_e32 v2, v0, v2
	s_delay_alu instid0(VALU_DEP_1) | instskip(SKIP_1) | instid1(VALU_DEP_1)
	v_lshrrev_b32_e32 v2, s10, v2
	s_load_b96 s[8:10], s[0:1], 0x18
	v_mul_lo_u32 v3, v2, s11
	s_delay_alu instid0(VALU_DEP_1) | instskip(SKIP_3) | instid1(VALU_DEP_3)
	v_sub_nc_u32_e32 v0, v0, v3
	v_cmp_gt_u32_e64 s3, s4, v2
	v_cmp_gt_u32_e64 s4, s5, v1
	s_wait_kmcnt 0x0
	v_mul_hi_u32 v3, v0, s8
	s_delay_alu instid0(VALU_DEP_1) | instskip(NEXT) | instid1(VALU_DEP_1)
	v_add_nc_u32_e32 v3, v0, v3
	v_lshrrev_b32_e32 v4, s9, v3
	s_delay_alu instid0(VALU_DEP_1) | instskip(NEXT) | instid1(VALU_DEP_1)
	v_mul_lo_u32 v3, v4, s10
	v_sub_nc_u32_e32 v0, v0, v3
	v_cmp_gt_u32_e64 s2, s2, v4
	s_delay_alu instid0(VALU_DEP_2) | instskip(SKIP_1) | instid1(SALU_CYCLE_1)
	v_cmp_gt_u32_e32 vcc_lo, s10, v0
	s_and_b32 s2, vcc_lo, s2
	s_and_b32 s2, s2, s3
	s_delay_alu instid0(SALU_CYCLE_1) | instskip(NEXT) | instid1(SALU_CYCLE_1)
	s_and_b32 s2, s4, s2
	s_and_saveexec_b32 s3, s2
	s_cbranch_execz .LBB88_4
; %bb.1:
	s_clause 0x4
	s_load_b64 s[2:3], s[0:1], 0x0
	s_load_b96 s[16:18], s[0:1], 0xa8
	s_load_b256 s[20:27], s[0:1], 0x88
	s_load_b128 s[12:15], s[0:1], 0x78
	s_load_b256 s[4:11], s[0:1], 0x58
	v_dual_mov_b32 v3, 0 :: v_dual_mov_b32 v5, 0
	s_wait_kmcnt 0x0
	s_cmp_eq_u64 s[2:3], 0
	s_cbranch_scc1 .LBB88_3
; %bb.2:
	v_mul_lo_u32 v5, v1, s26
	v_mov_b32_e32 v7, 0
	s_delay_alu instid0(VALU_DEP_2) | instskip(NEXT) | instid1(VALU_DEP_1)
	v_mad_u32 v5, v2, s25, v5
	v_mad_u32 v6, v4, s24, v5
	s_delay_alu instid0(VALU_DEP_1) | instskip(SKIP_1) | instid1(VALU_DEP_1)
	v_lshl_add_u64 v[8:9], v[6:7], 2, s[2:3]
	v_mul_lo_u32 v6, v0, s23
	v_lshl_add_u64 v[6:7], v[6:7], 2, v[8:9]
	global_load_b32 v5, v[6:7], off
.LBB88_3:
	s_wait_xcnt 0x0
	v_mul_hi_u32 v6, s13, v1
	v_mul_hi_u32 v7, s10, v2
	;; [unrolled: 1-line block ×4, first 2 shown]
	s_delay_alu instid0(VALU_DEP_3) | instskip(NEXT) | instid1(VALU_DEP_1)
	v_dual_add_nc_u32 v6, v1, v6 :: v_dual_add_nc_u32 v7, v2, v7
	v_dual_lshrrev_b32 v6, s14, v6 :: v_dual_lshrrev_b32 v7, s11, v7
	s_delay_alu instid0(VALU_DEP_1) | instskip(SKIP_1) | instid1(VALU_DEP_3)
	v_mul_lo_u32 v6, v6, s15
	v_add_nc_u32_e32 v8, v4, v8
	v_mul_lo_u32 v7, v7, s12
	s_delay_alu instid0(VALU_DEP_3) | instskip(NEXT) | instid1(VALU_DEP_3)
	v_dual_sub_nc_u32 v6, v1, v6 :: v_dual_add_nc_u32 v9, v0, v9
	v_lshrrev_b32_e32 v8, s8, v8
	v_mul_lo_u32 v1, v1, s22
	s_delay_alu instid0(VALU_DEP_4) | instskip(NEXT) | instid1(VALU_DEP_4)
	v_sub_nc_u32_e32 v7, v2, v7
	v_mul_lo_u32 v6, v6, s18
	v_lshrrev_b32_e32 v9, s5, v9
	v_mul_lo_u32 v8, v8, s9
	s_delay_alu instid0(VALU_DEP_2) | instskip(SKIP_2) | instid1(VALU_DEP_4)
	v_mul_lo_u32 v9, v9, s6
	v_mad_u32 v1, v2, s21, v1
	v_mad_u32 v7, v7, s17, v6
	v_sub_nc_u32_e32 v8, v4, v8
	s_delay_alu instid0(VALU_DEP_1) | instskip(SKIP_2) | instid1(VALU_DEP_2)
	v_mad_u32 v8, v8, s16, v7
	v_sub_nc_u32_e32 v6, v0, v9
	s_load_b512 s[4:19], s[0:1], 0xb8
	v_ashrrev_i32_e32 v9, 31, v8
	s_delay_alu instid0(VALU_DEP_2) | instskip(SKIP_2) | instid1(VALU_DEP_1)
	v_mul_lo_u32 v6, v6, s27
	s_wait_xcnt 0x0
	s_load_b64 s[0:1], s[0:1], 0x10
	v_ashrrev_i32_e32 v7, 31, v6
	s_delay_alu instid0(VALU_DEP_1) | instskip(NEXT) | instid1(VALU_DEP_1)
	v_add_nc_u64_e32 v[6:7], v[6:7], v[8:9]
	v_lshlrev_b64_e32 v[6:7], 2, v[6:7]
	s_wait_kmcnt 0x0
	s_delay_alu instid0(VALU_DEP_1)
	v_add_nc_u64_e32 v[8:9], s[4:5], v[6:7]
	v_add_nc_u64_e32 v[10:11], s[6:7], v[6:7]
	global_load_b32 v12, v[8:9], off
	s_wait_xcnt 0x0
	v_add_nc_u64_e32 v[8:9], s[8:9], v[6:7]
	global_load_b32 v13, v[10:11], off
	s_wait_xcnt 0x0
	;; [unrolled: 3-line block ×5, first 2 shown]
	v_add_nc_u64_e32 v[8:9], s[16:17], v[6:7]
	global_load_b32 v10, v[10:11], off
	v_add_nc_u64_e32 v[6:7], s[18:19], v[6:7]
	global_load_b32 v11, v[8:9], off
	global_load_b32 v17, v[6:7], off
	s_wait_loadcnt 0x7
	v_add_f32_e32 v5, v5, v12
	s_wait_loadcnt 0x6
	s_delay_alu instid0(VALU_DEP_1) | instskip(SKIP_1) | instid1(VALU_DEP_1)
	v_add_f32_e32 v5, v5, v13
	s_wait_loadcnt 0x5
	v_add_f32_e32 v2, v5, v14
	s_wait_loadcnt 0x4
	s_delay_alu instid0(VALU_DEP_1) | instskip(SKIP_2) | instid1(VALU_DEP_2)
	v_add_f32_e32 v5, v2, v15
	v_mad_u32 v2, v4, s20, v1
	s_wait_loadcnt 0x3
	v_add_f32_e32 v1, v5, v16
	s_wait_loadcnt 0x2
	s_delay_alu instid0(VALU_DEP_1) | instskip(NEXT) | instid1(VALU_DEP_3)
	v_dual_add_f32 v4, v1, v10 :: v_dual_mov_b32 v1, v3
	v_lshl_add_u64 v[2:3], v[2:3], 2, s[0:1]
	s_wait_loadcnt 0x1
	s_delay_alu instid0(VALU_DEP_2) | instskip(NEXT) | instid1(VALU_DEP_2)
	v_add_f32_e32 v4, v4, v11
	v_lshl_add_u64 v[0:1], v[0:1], 2, v[2:3]
	s_wait_loadcnt 0x0
	s_delay_alu instid0(VALU_DEP_2)
	v_add_f32_e32 v4, v4, v17
	global_store_b32 v[0:1], v4, off
.LBB88_4:
	s_endpgm
	.section	.rodata,"a",@progbits
	.p2align	6, 0x0
	.amdhsa_kernel _ZL19k_bin_bcast_unravelIXadL_ZL6op_addffEEfffJPKfS1_S1_S1_S1_S1_S1_S1_EEvPKT0_PKT1_PT2_15HIP_vector_typeIjLj3EESB_SB_jSB_SB_SB_SB_SB_SB_iiiiiiiiiiiDpT3_
		.amdhsa_group_segment_fixed_size 0
		.amdhsa_private_segment_fixed_size 0
		.amdhsa_kernarg_size 504
		.amdhsa_user_sgpr_count 2
		.amdhsa_user_sgpr_dispatch_ptr 0
		.amdhsa_user_sgpr_queue_ptr 0
		.amdhsa_user_sgpr_kernarg_segment_ptr 1
		.amdhsa_user_sgpr_dispatch_id 0
		.amdhsa_user_sgpr_kernarg_preload_length 0
		.amdhsa_user_sgpr_kernarg_preload_offset 0
		.amdhsa_user_sgpr_private_segment_size 0
		.amdhsa_wavefront_size32 1
		.amdhsa_uses_dynamic_stack 0
		.amdhsa_enable_private_segment 0
		.amdhsa_system_sgpr_workgroup_id_x 1
		.amdhsa_system_sgpr_workgroup_id_y 0
		.amdhsa_system_sgpr_workgroup_id_z 0
		.amdhsa_system_sgpr_workgroup_info 0
		.amdhsa_system_vgpr_workitem_id 0
		.amdhsa_next_free_vgpr 18
		.amdhsa_next_free_sgpr 28
		.amdhsa_named_barrier_count 0
		.amdhsa_reserve_vcc 1
		.amdhsa_float_round_mode_32 0
		.amdhsa_float_round_mode_16_64 0
		.amdhsa_float_denorm_mode_32 3
		.amdhsa_float_denorm_mode_16_64 3
		.amdhsa_fp16_overflow 0
		.amdhsa_memory_ordered 1
		.amdhsa_forward_progress 1
		.amdhsa_inst_pref_size 8
		.amdhsa_round_robin_scheduling 0
		.amdhsa_exception_fp_ieee_invalid_op 0
		.amdhsa_exception_fp_denorm_src 0
		.amdhsa_exception_fp_ieee_div_zero 0
		.amdhsa_exception_fp_ieee_overflow 0
		.amdhsa_exception_fp_ieee_underflow 0
		.amdhsa_exception_fp_ieee_inexact 0
		.amdhsa_exception_int_div_zero 0
	.end_amdhsa_kernel
	.section	.text._ZL19k_bin_bcast_unravelIXadL_ZL6op_addffEEfffJPKfS1_S1_S1_S1_S1_S1_S1_EEvPKT0_PKT1_PT2_15HIP_vector_typeIjLj3EESB_SB_jSB_SB_SB_SB_SB_SB_iiiiiiiiiiiDpT3_,"axG",@progbits,_ZL19k_bin_bcast_unravelIXadL_ZL6op_addffEEfffJPKfS1_S1_S1_S1_S1_S1_S1_EEvPKT0_PKT1_PT2_15HIP_vector_typeIjLj3EESB_SB_jSB_SB_SB_SB_SB_SB_iiiiiiiiiiiDpT3_,comdat
.Lfunc_end88:
	.size	_ZL19k_bin_bcast_unravelIXadL_ZL6op_addffEEfffJPKfS1_S1_S1_S1_S1_S1_S1_EEvPKT0_PKT1_PT2_15HIP_vector_typeIjLj3EESB_SB_jSB_SB_SB_SB_SB_SB_iiiiiiiiiiiDpT3_, .Lfunc_end88-_ZL19k_bin_bcast_unravelIXadL_ZL6op_addffEEfffJPKfS1_S1_S1_S1_S1_S1_S1_EEvPKT0_PKT1_PT2_15HIP_vector_typeIjLj3EESB_SB_jSB_SB_SB_SB_SB_SB_iiiiiiiiiiiDpT3_
                                        ; -- End function
	.set _ZL19k_bin_bcast_unravelIXadL_ZL6op_addffEEfffJPKfS1_S1_S1_S1_S1_S1_S1_EEvPKT0_PKT1_PT2_15HIP_vector_typeIjLj3EESB_SB_jSB_SB_SB_SB_SB_SB_iiiiiiiiiiiDpT3_.num_vgpr, 18
	.set _ZL19k_bin_bcast_unravelIXadL_ZL6op_addffEEfffJPKfS1_S1_S1_S1_S1_S1_S1_EEvPKT0_PKT1_PT2_15HIP_vector_typeIjLj3EESB_SB_jSB_SB_SB_SB_SB_SB_iiiiiiiiiiiDpT3_.num_agpr, 0
	.set _ZL19k_bin_bcast_unravelIXadL_ZL6op_addffEEfffJPKfS1_S1_S1_S1_S1_S1_S1_EEvPKT0_PKT1_PT2_15HIP_vector_typeIjLj3EESB_SB_jSB_SB_SB_SB_SB_SB_iiiiiiiiiiiDpT3_.numbered_sgpr, 28
	.set _ZL19k_bin_bcast_unravelIXadL_ZL6op_addffEEfffJPKfS1_S1_S1_S1_S1_S1_S1_EEvPKT0_PKT1_PT2_15HIP_vector_typeIjLj3EESB_SB_jSB_SB_SB_SB_SB_SB_iiiiiiiiiiiDpT3_.num_named_barrier, 0
	.set _ZL19k_bin_bcast_unravelIXadL_ZL6op_addffEEfffJPKfS1_S1_S1_S1_S1_S1_S1_EEvPKT0_PKT1_PT2_15HIP_vector_typeIjLj3EESB_SB_jSB_SB_SB_SB_SB_SB_iiiiiiiiiiiDpT3_.private_seg_size, 0
	.set _ZL19k_bin_bcast_unravelIXadL_ZL6op_addffEEfffJPKfS1_S1_S1_S1_S1_S1_S1_EEvPKT0_PKT1_PT2_15HIP_vector_typeIjLj3EESB_SB_jSB_SB_SB_SB_SB_SB_iiiiiiiiiiiDpT3_.uses_vcc, 1
	.set _ZL19k_bin_bcast_unravelIXadL_ZL6op_addffEEfffJPKfS1_S1_S1_S1_S1_S1_S1_EEvPKT0_PKT1_PT2_15HIP_vector_typeIjLj3EESB_SB_jSB_SB_SB_SB_SB_SB_iiiiiiiiiiiDpT3_.uses_flat_scratch, 0
	.set _ZL19k_bin_bcast_unravelIXadL_ZL6op_addffEEfffJPKfS1_S1_S1_S1_S1_S1_S1_EEvPKT0_PKT1_PT2_15HIP_vector_typeIjLj3EESB_SB_jSB_SB_SB_SB_SB_SB_iiiiiiiiiiiDpT3_.has_dyn_sized_stack, 0
	.set _ZL19k_bin_bcast_unravelIXadL_ZL6op_addffEEfffJPKfS1_S1_S1_S1_S1_S1_S1_EEvPKT0_PKT1_PT2_15HIP_vector_typeIjLj3EESB_SB_jSB_SB_SB_SB_SB_SB_iiiiiiiiiiiDpT3_.has_recursion, 0
	.set _ZL19k_bin_bcast_unravelIXadL_ZL6op_addffEEfffJPKfS1_S1_S1_S1_S1_S1_S1_EEvPKT0_PKT1_PT2_15HIP_vector_typeIjLj3EESB_SB_jSB_SB_SB_SB_SB_SB_iiiiiiiiiiiDpT3_.has_indirect_call, 0
	.section	.AMDGPU.csdata,"",@progbits
; Kernel info:
; codeLenInByte = 932
; TotalNumSgprs: 30
; NumVgprs: 18
; ScratchSize: 0
; MemoryBound: 0
; FloatMode: 240
; IeeeMode: 1
; LDSByteSize: 0 bytes/workgroup (compile time only)
; SGPRBlocks: 0
; VGPRBlocks: 1
; NumSGPRsForWavesPerEU: 30
; NumVGPRsForWavesPerEU: 18
; NamedBarCnt: 0
; Occupancy: 16
; WaveLimiterHint : 1
; COMPUTE_PGM_RSRC2:SCRATCH_EN: 0
; COMPUTE_PGM_RSRC2:USER_SGPR: 2
; COMPUTE_PGM_RSRC2:TRAP_HANDLER: 0
; COMPUTE_PGM_RSRC2:TGID_X_EN: 1
; COMPUTE_PGM_RSRC2:TGID_Y_EN: 0
; COMPUTE_PGM_RSRC2:TGID_Z_EN: 0
; COMPUTE_PGM_RSRC2:TIDIG_COMP_CNT: 0
	.section	.text._ZL11k_bin_bcastIXadL_ZL6op_addffEEfffJPKfS1_S1_S1_S1_S1_S1_S1_EEvPKT0_PKT1_PT2_iii15HIP_vector_typeIjLj3EESB_SB_SB_SB_iiiiiiiiiiiDpT3_,"axG",@progbits,_ZL11k_bin_bcastIXadL_ZL6op_addffEEfffJPKfS1_S1_S1_S1_S1_S1_S1_EEvPKT0_PKT1_PT2_iii15HIP_vector_typeIjLj3EESB_SB_SB_SB_iiiiiiiiiiiDpT3_,comdat
	.globl	_ZL11k_bin_bcastIXadL_ZL6op_addffEEfffJPKfS1_S1_S1_S1_S1_S1_S1_EEvPKT0_PKT1_PT2_iii15HIP_vector_typeIjLj3EESB_SB_SB_SB_iiiiiiiiiiiDpT3_ ; -- Begin function _ZL11k_bin_bcastIXadL_ZL6op_addffEEfffJPKfS1_S1_S1_S1_S1_S1_S1_EEvPKT0_PKT1_PT2_iii15HIP_vector_typeIjLj3EESB_SB_SB_SB_iiiiiiiiiiiDpT3_
	.p2align	8
	.type	_ZL11k_bin_bcastIXadL_ZL6op_addffEEfffJPKfS1_S1_S1_S1_S1_S1_S1_EEvPKT0_PKT1_PT2_iii15HIP_vector_typeIjLj3EESB_SB_SB_SB_iiiiiiiiiiiDpT3_,@function
_ZL11k_bin_bcastIXadL_ZL6op_addffEEfffJPKfS1_S1_S1_S1_S1_S1_S1_EEvPKT0_PKT1_PT2_iii15HIP_vector_typeIjLj3EESB_SB_SB_SB_iiiiiiiiiiiDpT3_: ; @_ZL11k_bin_bcastIXadL_ZL6op_addffEEfffJPKfS1_S1_S1_S1_S1_S1_S1_EEvPKT0_PKT1_PT2_iii15HIP_vector_typeIjLj3EESB_SB_SB_SB_iiiiiiiiiiiDpT3_
; %bb.0:
	s_load_b64 s[2:3], s[0:1], 0xdc
	s_bfe_u32 s5, ttmp6, 0x40014
	s_bfe_u32 s8, ttmp6, 0x40010
	;; [unrolled: 1-line block ×3, first 2 shown]
	s_lshr_b32 s4, ttmp7, 16
	s_add_co_i32 s5, s5, 1
	s_and_b32 s7, ttmp7, 0xffff
	s_load_b256 s[20:27], s[0:1], 0x18
	s_add_co_i32 s8, s8, 1
	s_add_co_i32 s11, s11, 1
	s_bfe_u32 s6, ttmp6, 0x40008
	s_mul_i32 s5, s4, s5
	s_bfe_u32 s9, ttmp6, 0x40004
	s_and_b32 s10, ttmp6, 15
	s_mul_i32 s8, s7, s8
	s_mul_i32 s11, ttmp9, s11
	s_add_co_i32 s6, s6, s5
	s_add_co_i32 s9, s9, s8
	;; [unrolled: 1-line block ×3, first 2 shown]
	v_bfe_u32 v1, v0, 20, 10
	s_wait_kmcnt 0x0
	s_lshr_b32 s5, s2, 16
	s_and_b32 s28, s2, 0xffff
	s_getreg_b32 s2, hwreg(HW_REG_IB_STS2, 6, 4)
	s_and_b32 s3, s3, 0xffff
	s_cmp_eq_u32 s2, 0
	v_and_b32_e32 v2, 0x3ff, v0
	s_cselect_b32 s2, s4, s6
	v_bfe_u32 v4, v0, 10, 10
	v_mad_u32 v3, s2, s3, v1
	s_cselect_b32 s2, ttmp9, s10
	s_cselect_b32 s3, s7, s9
	v_mad_u32 v0, s2, s28, v2
	v_mad_u32 v2, s3, s5, v4
	s_delay_alu instid0(VALU_DEP_3) | instskip(NEXT) | instid1(VALU_DEP_3)
	v_mul_hi_u32 v1, v3, s23
	v_cmp_gt_u32_e32 vcc_lo, s20, v0
	s_delay_alu instid0(VALU_DEP_3) | instskip(SKIP_2) | instid1(VALU_DEP_1)
	v_cmp_gt_u32_e64 s2, s21, v2
	s_and_b32 s2, vcc_lo, s2
	v_add_nc_u32_e32 v1, v3, v1
	v_lshrrev_b32_e32 v1, s24, v1
	s_delay_alu instid0(VALU_DEP_1) | instskip(SKIP_3) | instid1(VALU_DEP_1)
	v_mul_lo_u32 v5, v1, s25
	v_cmp_gt_u32_e64 s3, s22, v1
	s_and_b32 s2, s2, s3
	v_sub_nc_u32_e32 v3, v3, v5
	v_cmp_gt_u32_e64 s4, s25, v3
	s_and_b32 s2, s2, s4
	s_delay_alu instid0(SALU_CYCLE_1)
	s_and_saveexec_b32 s3, s2
	s_cbranch_execz .LBB89_6
; %bb.1:
	v_cmp_gt_i32_e32 vcc_lo, s20, v0
	s_and_b32 exec_lo, exec_lo, vcc_lo
	s_cbranch_execz .LBB89_6
; %bb.2:
	s_clause 0x4
	s_load_b256 s[4:11], s[0:1], 0x3c
	s_load_b32 s2, s[0:1], 0x5c
	s_load_b256 s[36:43], s[0:1], 0x60
	s_load_b96 s[44:46], s[0:1], 0x80
	s_load_b64 s[22:23], s[0:1], 0x10
	s_wait_kmcnt 0x0
	v_mul_hi_u32 v4, s10, v3
	v_mul_hi_u32 v5, s7, v1
	;; [unrolled: 1-line block ×3, first 2 shown]
	v_mul_lo_u32 v7, v2, s40
	v_mul_lo_u32 v8, v2, s36
	s_delay_alu instid0(VALU_DEP_4) | instskip(NEXT) | instid1(VALU_DEP_3)
	v_dual_add_nc_u32 v4, v3, v4 :: v_dual_add_nc_u32 v5, v1, v5
	v_mad_u32 v7, v1, s41, v7
	s_delay_alu instid0(VALU_DEP_3) | instskip(NEXT) | instid1(VALU_DEP_3)
	v_mad_u32 v8, v1, s37, v8
	v_dual_lshrrev_b32 v4, s11, v4 :: v_dual_lshrrev_b32 v5, s8, v5
	s_delay_alu instid0(VALU_DEP_1) | instskip(SKIP_1) | instid1(VALU_DEP_3)
	v_mul_lo_u32 v4, v4, s2
	v_add_nc_u32_e32 v6, v2, v6
	v_mul_lo_u32 v5, v5, s9
	s_load_b64 s[2:3], s[0:1], 0x0
	v_mad_u32 v8, v3, s38, v8
	s_delay_alu instid0(VALU_DEP_3) | instskip(NEXT) | instid1(VALU_DEP_3)
	v_dual_sub_nc_u32 v4, v3, v4 :: v_dual_lshrrev_b32 v6, s5, v6
	v_sub_nc_u32_e32 v5, v1, v5
	s_add_nc_u64 s[4:5], s[0:1], 0xd0
	s_load_b32 s21, s[4:5], 0x0
	s_load_b32 s24, s[0:1], 0x38
	v_mul_lo_u32 v9, v4, s46
	v_mul_lo_u32 v6, v6, s6
	v_mad_u32 v4, v3, s42, v7
	s_wait_xcnt 0x0
	s_load_b512 s[4:19], s[0:1], 0x90
	v_mov_b32_e32 v1, 0
	s_wait_xcnt 0x0
	s_mov_b32 s1, 0
	s_wait_kmcnt 0x0
	s_cmp_lg_u64 s[2:3], 0
	s_mov_b32 s0, s26
	v_mad_u32 v7, v5, s45, v9
	v_sub_nc_u32_e32 v2, v2, v6
	v_mul_lo_u32 v6, s39, v0
	v_dual_mov_b32 v5, v1 :: v_dual_mov_b32 v9, v1
	v_mov_b32_e32 v3, v1
	s_delay_alu instid0(VALU_DEP_2) | instskip(NEXT) | instid1(VALU_DEP_3)
	v_lshl_add_u64 v[4:5], v[4:5], 2, s[2:3]
	v_lshl_add_u64 v[8:9], v[8:9], 2, s[22:23]
	s_mul_i32 s2, s21, s28
	v_mad_u32 v2, v2, s44, v7
	s_cselect_b32 s3, -1, 0
	s_mul_i32 s21, s2, s39
	s_sub_co_i32 s22, 0, s24
	s_mov_b32 s23, s1
	s_branch .LBB89_4
.LBB89_3:                               ;   in Loop: Header=BB89_4 Depth=1
	s_wait_xcnt 0x0
	v_mul_u64_e32 v[10:11], s[0:1], v[0:1]
	s_delay_alu instid0(VALU_DEP_1) | instskip(NEXT) | instid1(VALU_DEP_1)
	v_dual_add_nc_u32 v6, s21, v6 :: v_dual_add_nc_u32 v10, v0, v11
	v_dual_mov_b32 v11, v1 :: v_dual_lshrrev_b32 v10, s27, v10
	s_delay_alu instid0(VALU_DEP_1) | instskip(NEXT) | instid1(VALU_DEP_1)
	v_mad_u32 v10, s22, v10, v0
	v_mul_lo_u32 v10, v10, s43
	s_delay_alu instid0(VALU_DEP_1) | instskip(NEXT) | instid1(VALU_DEP_1)
	v_add_nc_u64_e32 v[10:11], v[10:11], v[2:3]
	v_lshlrev_b64_e32 v[10:11], 2, v[10:11]
	s_delay_alu instid0(VALU_DEP_1)
	v_add_nc_u64_e32 v[12:13], s[4:5], v[10:11]
	v_add_nc_u64_e32 v[14:15], s[6:7], v[10:11]
	global_load_b32 v16, v[12:13], off
	s_wait_xcnt 0x0
	v_add_nc_u64_e32 v[12:13], s[8:9], v[10:11]
	global_load_b32 v17, v[14:15], off
	s_wait_xcnt 0x0
	;; [unrolled: 3-line block ×5, first 2 shown]
	v_add_nc_u64_e32 v[12:13], s[16:17], v[10:11]
	global_load_b32 v14, v[14:15], off
	v_add_nc_u64_e32 v[10:11], s[18:19], v[10:11]
	global_load_b32 v15, v[12:13], off
	global_load_b32 v21, v[10:11], off
	s_wait_xcnt 0x0
	v_dual_mov_b32 v10, v0 :: v_dual_ashrrev_i32 v11, 31, v0
	v_add_nc_u32_e32 v0, s2, v0
	s_delay_alu instid0(VALU_DEP_2) | instskip(NEXT) | instid1(VALU_DEP_2)
	v_lshl_add_u64 v[10:11], v[10:11], 2, v[8:9]
	v_cmp_le_i32_e32 vcc_lo, s20, v0
	s_or_b32 s23, vcc_lo, s23
	s_wait_loadcnt 0x7
	v_add_f32_e32 v7, v7, v16
	s_wait_loadcnt 0x6
	s_delay_alu instid0(VALU_DEP_1) | instskip(SKIP_1) | instid1(VALU_DEP_1)
	v_add_f32_e32 v7, v7, v17
	s_wait_loadcnt 0x5
	v_add_f32_e32 v7, v7, v18
	s_wait_loadcnt 0x4
	s_delay_alu instid0(VALU_DEP_1) | instskip(SKIP_1) | instid1(VALU_DEP_1)
	v_add_f32_e32 v7, v7, v19
	;; [unrolled: 5-line block ×3, first 2 shown]
	s_wait_loadcnt 0x1
	v_add_f32_e32 v7, v7, v15
	s_wait_loadcnt 0x0
	s_delay_alu instid0(VALU_DEP_1)
	v_add_f32_e32 v7, v7, v21
	global_store_b32 v[10:11], v7, off
	s_wait_xcnt 0x0
	s_and_not1_b32 exec_lo, exec_lo, s23
	s_cbranch_execz .LBB89_6
.LBB89_4:                               ; =>This Inner Loop Header: Depth=1
	v_mov_b32_e32 v7, 0
	s_and_not1_b32 vcc_lo, exec_lo, s3
	s_cbranch_vccnz .LBB89_3
; %bb.5:                                ;   in Loop: Header=BB89_4 Depth=1
	v_ashrrev_i32_e32 v7, 31, v6
	s_delay_alu instid0(VALU_DEP_1)
	v_lshl_add_u64 v[10:11], v[6:7], 2, v[4:5]
	global_load_b32 v7, v[10:11], off
	s_branch .LBB89_3
.LBB89_6:
	s_endpgm
	.section	.rodata,"a",@progbits
	.p2align	6, 0x0
	.amdhsa_kernel _ZL11k_bin_bcastIXadL_ZL6op_addffEEfffJPKfS1_S1_S1_S1_S1_S1_S1_EEvPKT0_PKT1_PT2_iii15HIP_vector_typeIjLj3EESB_SB_SB_SB_iiiiiiiiiiiDpT3_
		.amdhsa_group_segment_fixed_size 0
		.amdhsa_private_segment_fixed_size 0
		.amdhsa_kernarg_size 464
		.amdhsa_user_sgpr_count 2
		.amdhsa_user_sgpr_dispatch_ptr 0
		.amdhsa_user_sgpr_queue_ptr 0
		.amdhsa_user_sgpr_kernarg_segment_ptr 1
		.amdhsa_user_sgpr_dispatch_id 0
		.amdhsa_user_sgpr_kernarg_preload_length 0
		.amdhsa_user_sgpr_kernarg_preload_offset 0
		.amdhsa_user_sgpr_private_segment_size 0
		.amdhsa_wavefront_size32 1
		.amdhsa_uses_dynamic_stack 0
		.amdhsa_enable_private_segment 0
		.amdhsa_system_sgpr_workgroup_id_x 1
		.amdhsa_system_sgpr_workgroup_id_y 1
		.amdhsa_system_sgpr_workgroup_id_z 1
		.amdhsa_system_sgpr_workgroup_info 0
		.amdhsa_system_vgpr_workitem_id 2
		.amdhsa_next_free_vgpr 22
		.amdhsa_next_free_sgpr 47
		.amdhsa_named_barrier_count 0
		.amdhsa_reserve_vcc 1
		.amdhsa_float_round_mode_32 0
		.amdhsa_float_round_mode_16_64 0
		.amdhsa_float_denorm_mode_32 3
		.amdhsa_float_denorm_mode_16_64 3
		.amdhsa_fp16_overflow 0
		.amdhsa_memory_ordered 1
		.amdhsa_forward_progress 1
		.amdhsa_inst_pref_size 9
		.amdhsa_round_robin_scheduling 0
		.amdhsa_exception_fp_ieee_invalid_op 0
		.amdhsa_exception_fp_denorm_src 0
		.amdhsa_exception_fp_ieee_div_zero 0
		.amdhsa_exception_fp_ieee_overflow 0
		.amdhsa_exception_fp_ieee_underflow 0
		.amdhsa_exception_fp_ieee_inexact 0
		.amdhsa_exception_int_div_zero 0
	.end_amdhsa_kernel
	.section	.text._ZL11k_bin_bcastIXadL_ZL6op_addffEEfffJPKfS1_S1_S1_S1_S1_S1_S1_EEvPKT0_PKT1_PT2_iii15HIP_vector_typeIjLj3EESB_SB_SB_SB_iiiiiiiiiiiDpT3_,"axG",@progbits,_ZL11k_bin_bcastIXadL_ZL6op_addffEEfffJPKfS1_S1_S1_S1_S1_S1_S1_EEvPKT0_PKT1_PT2_iii15HIP_vector_typeIjLj3EESB_SB_SB_SB_iiiiiiiiiiiDpT3_,comdat
.Lfunc_end89:
	.size	_ZL11k_bin_bcastIXadL_ZL6op_addffEEfffJPKfS1_S1_S1_S1_S1_S1_S1_EEvPKT0_PKT1_PT2_iii15HIP_vector_typeIjLj3EESB_SB_SB_SB_iiiiiiiiiiiDpT3_, .Lfunc_end89-_ZL11k_bin_bcastIXadL_ZL6op_addffEEfffJPKfS1_S1_S1_S1_S1_S1_S1_EEvPKT0_PKT1_PT2_iii15HIP_vector_typeIjLj3EESB_SB_SB_SB_iiiiiiiiiiiDpT3_
                                        ; -- End function
	.set _ZL11k_bin_bcastIXadL_ZL6op_addffEEfffJPKfS1_S1_S1_S1_S1_S1_S1_EEvPKT0_PKT1_PT2_iii15HIP_vector_typeIjLj3EESB_SB_SB_SB_iiiiiiiiiiiDpT3_.num_vgpr, 22
	.set _ZL11k_bin_bcastIXadL_ZL6op_addffEEfffJPKfS1_S1_S1_S1_S1_S1_S1_EEvPKT0_PKT1_PT2_iii15HIP_vector_typeIjLj3EESB_SB_SB_SB_iiiiiiiiiiiDpT3_.num_agpr, 0
	.set _ZL11k_bin_bcastIXadL_ZL6op_addffEEfffJPKfS1_S1_S1_S1_S1_S1_S1_EEvPKT0_PKT1_PT2_iii15HIP_vector_typeIjLj3EESB_SB_SB_SB_iiiiiiiiiiiDpT3_.numbered_sgpr, 47
	.set _ZL11k_bin_bcastIXadL_ZL6op_addffEEfffJPKfS1_S1_S1_S1_S1_S1_S1_EEvPKT0_PKT1_PT2_iii15HIP_vector_typeIjLj3EESB_SB_SB_SB_iiiiiiiiiiiDpT3_.num_named_barrier, 0
	.set _ZL11k_bin_bcastIXadL_ZL6op_addffEEfffJPKfS1_S1_S1_S1_S1_S1_S1_EEvPKT0_PKT1_PT2_iii15HIP_vector_typeIjLj3EESB_SB_SB_SB_iiiiiiiiiiiDpT3_.private_seg_size, 0
	.set _ZL11k_bin_bcastIXadL_ZL6op_addffEEfffJPKfS1_S1_S1_S1_S1_S1_S1_EEvPKT0_PKT1_PT2_iii15HIP_vector_typeIjLj3EESB_SB_SB_SB_iiiiiiiiiiiDpT3_.uses_vcc, 1
	.set _ZL11k_bin_bcastIXadL_ZL6op_addffEEfffJPKfS1_S1_S1_S1_S1_S1_S1_EEvPKT0_PKT1_PT2_iii15HIP_vector_typeIjLj3EESB_SB_SB_SB_iiiiiiiiiiiDpT3_.uses_flat_scratch, 0
	.set _ZL11k_bin_bcastIXadL_ZL6op_addffEEfffJPKfS1_S1_S1_S1_S1_S1_S1_EEvPKT0_PKT1_PT2_iii15HIP_vector_typeIjLj3EESB_SB_SB_SB_iiiiiiiiiiiDpT3_.has_dyn_sized_stack, 0
	.set _ZL11k_bin_bcastIXadL_ZL6op_addffEEfffJPKfS1_S1_S1_S1_S1_S1_S1_EEvPKT0_PKT1_PT2_iii15HIP_vector_typeIjLj3EESB_SB_SB_SB_iiiiiiiiiiiDpT3_.has_recursion, 0
	.set _ZL11k_bin_bcastIXadL_ZL6op_addffEEfffJPKfS1_S1_S1_S1_S1_S1_S1_EEvPKT0_PKT1_PT2_iii15HIP_vector_typeIjLj3EESB_SB_SB_SB_iiiiiiiiiiiDpT3_.has_indirect_call, 0
	.section	.AMDGPU.csdata,"",@progbits
; Kernel info:
; codeLenInByte = 1076
; TotalNumSgprs: 49
; NumVgprs: 22
; ScratchSize: 0
; MemoryBound: 0
; FloatMode: 240
; IeeeMode: 1
; LDSByteSize: 0 bytes/workgroup (compile time only)
; SGPRBlocks: 0
; VGPRBlocks: 1
; NumSGPRsForWavesPerEU: 49
; NumVGPRsForWavesPerEU: 22
; NamedBarCnt: 0
; Occupancy: 16
; WaveLimiterHint : 1
; COMPUTE_PGM_RSRC2:SCRATCH_EN: 0
; COMPUTE_PGM_RSRC2:USER_SGPR: 2
; COMPUTE_PGM_RSRC2:TRAP_HANDLER: 0
; COMPUTE_PGM_RSRC2:TGID_X_EN: 1
; COMPUTE_PGM_RSRC2:TGID_Y_EN: 1
; COMPUTE_PGM_RSRC2:TGID_Z_EN: 1
; COMPUTE_PGM_RSRC2:TIDIG_COMP_CNT: 2
	.section	.text._ZL19k_bin_bcast_unravelIXadL_ZL6op_addffEE6__halfS0_S0_JPKS0_S2_S2_S2_S2_S2_S2_S2_EEvPKT0_PKT1_PT2_15HIP_vector_typeIjLj3EESC_SC_jSC_SC_SC_SC_SC_SC_iiiiiiiiiiiDpT3_,"axG",@progbits,_ZL19k_bin_bcast_unravelIXadL_ZL6op_addffEE6__halfS0_S0_JPKS0_S2_S2_S2_S2_S2_S2_S2_EEvPKT0_PKT1_PT2_15HIP_vector_typeIjLj3EESC_SC_jSC_SC_SC_SC_SC_SC_iiiiiiiiiiiDpT3_,comdat
	.globl	_ZL19k_bin_bcast_unravelIXadL_ZL6op_addffEE6__halfS0_S0_JPKS0_S2_S2_S2_S2_S2_S2_S2_EEvPKT0_PKT1_PT2_15HIP_vector_typeIjLj3EESC_SC_jSC_SC_SC_SC_SC_SC_iiiiiiiiiiiDpT3_ ; -- Begin function _ZL19k_bin_bcast_unravelIXadL_ZL6op_addffEE6__halfS0_S0_JPKS0_S2_S2_S2_S2_S2_S2_S2_EEvPKT0_PKT1_PT2_15HIP_vector_typeIjLj3EESC_SC_jSC_SC_SC_SC_SC_SC_iiiiiiiiiiiDpT3_
	.p2align	8
	.type	_ZL19k_bin_bcast_unravelIXadL_ZL6op_addffEE6__halfS0_S0_JPKS0_S2_S2_S2_S2_S2_S2_S2_EEvPKT0_PKT1_PT2_15HIP_vector_typeIjLj3EESC_SC_jSC_SC_SC_SC_SC_SC_iiiiiiiiiiiDpT3_,@function
_ZL19k_bin_bcast_unravelIXadL_ZL6op_addffEE6__halfS0_S0_JPKS0_S2_S2_S2_S2_S2_S2_S2_EEvPKT0_PKT1_PT2_15HIP_vector_typeIjLj3EESC_SC_jSC_SC_SC_SC_SC_SC_iiiiiiiiiiiDpT3_: ; @_ZL19k_bin_bcast_unravelIXadL_ZL6op_addffEE6__halfS0_S0_JPKS0_S2_S2_S2_S2_S2_S2_S2_EEvPKT0_PKT1_PT2_15HIP_vector_typeIjLj3EESC_SC_jSC_SC_SC_SC_SC_SC_iiiiiiiiiiiDpT3_
; %bb.0:
	s_load_b32 s2, s[0:1], 0x104
	s_bfe_u32 s3, ttmp6, 0x4000c
	s_load_b256 s[4:11], s[0:1], 0x38
	s_add_co_i32 s3, s3, 1
	s_and_b32 s12, ttmp6, 15
	s_mul_i32 s3, ttmp9, s3
	s_getreg_b32 s13, hwreg(HW_REG_IB_STS2, 6, 4)
	s_add_co_i32 s12, s12, s3
	s_wait_kmcnt 0x0
	s_and_b32 s2, s2, 0xffff
	s_cmp_eq_u32 s13, 0
	s_cselect_b32 s3, ttmp9, s12
	s_delay_alu instid0(SALU_CYCLE_1) | instskip(SKIP_1) | instid1(VALU_DEP_1)
	v_mad_u32 v0, s3, s2, v0
	s_load_b32 s2, s[0:1], 0x2c
	v_mul_hi_u32 v1, v0, s6
	s_delay_alu instid0(VALU_DEP_1) | instskip(NEXT) | instid1(VALU_DEP_1)
	v_add_nc_u32_e32 v1, v0, v1
	v_lshrrev_b32_e32 v1, s7, v1
	s_delay_alu instid0(VALU_DEP_1) | instskip(NEXT) | instid1(VALU_DEP_1)
	v_mul_lo_u32 v2, v1, s8
	v_sub_nc_u32_e32 v0, v0, v2
	s_delay_alu instid0(VALU_DEP_1) | instskip(NEXT) | instid1(VALU_DEP_1)
	v_mul_hi_u32 v2, v0, s9
	v_add_nc_u32_e32 v2, v0, v2
	s_delay_alu instid0(VALU_DEP_1) | instskip(SKIP_1) | instid1(VALU_DEP_1)
	v_lshrrev_b32_e32 v2, s10, v2
	s_load_b96 s[8:10], s[0:1], 0x18
	v_mul_lo_u32 v3, v2, s11
	s_delay_alu instid0(VALU_DEP_1) | instskip(SKIP_3) | instid1(VALU_DEP_3)
	v_sub_nc_u32_e32 v0, v0, v3
	v_cmp_gt_u32_e64 s3, s4, v2
	v_cmp_gt_u32_e64 s4, s5, v1
	s_wait_kmcnt 0x0
	v_mul_hi_u32 v3, v0, s8
	s_delay_alu instid0(VALU_DEP_1) | instskip(NEXT) | instid1(VALU_DEP_1)
	v_add_nc_u32_e32 v3, v0, v3
	v_lshrrev_b32_e32 v4, s9, v3
	s_delay_alu instid0(VALU_DEP_1) | instskip(NEXT) | instid1(VALU_DEP_1)
	v_mul_lo_u32 v3, v4, s10
	v_sub_nc_u32_e32 v0, v0, v3
	v_cmp_gt_u32_e64 s2, s2, v4
	s_delay_alu instid0(VALU_DEP_2) | instskip(SKIP_1) | instid1(SALU_CYCLE_1)
	v_cmp_gt_u32_e32 vcc_lo, s10, v0
	s_and_b32 s2, vcc_lo, s2
	s_and_b32 s2, s2, s3
	s_delay_alu instid0(SALU_CYCLE_1) | instskip(NEXT) | instid1(SALU_CYCLE_1)
	s_and_b32 s2, s4, s2
	s_and_saveexec_b32 s3, s2
	s_cbranch_execz .LBB90_4
; %bb.1:
	s_clause 0x4
	s_load_b64 s[2:3], s[0:1], 0x0
	s_load_b96 s[16:18], s[0:1], 0xa8
	s_load_b256 s[20:27], s[0:1], 0x88
	s_load_b128 s[12:15], s[0:1], 0x78
	s_load_b256 s[4:11], s[0:1], 0x58
	v_dual_mov_b32 v3, 0 :: v_dual_mov_b32 v5, 0
	s_wait_kmcnt 0x0
	s_cmp_eq_u64 s[2:3], 0
	s_cbranch_scc1 .LBB90_3
; %bb.2:
	v_mul_lo_u32 v5, v1, s26
	v_mov_b32_e32 v7, 0
	s_delay_alu instid0(VALU_DEP_2) | instskip(NEXT) | instid1(VALU_DEP_1)
	v_mad_u32 v5, v2, s25, v5
	v_mad_u32 v6, v4, s24, v5
	s_delay_alu instid0(VALU_DEP_1) | instskip(SKIP_1) | instid1(VALU_DEP_1)
	v_lshl_add_u64 v[8:9], v[6:7], 1, s[2:3]
	v_mul_lo_u32 v6, v0, s23
	v_lshl_add_u64 v[6:7], v[6:7], 1, v[8:9]
	global_load_u16 v5, v[6:7], off
	s_wait_loadcnt 0x0
	v_cvt_f32_f16_e32 v5, v5
.LBB90_3:
	v_mul_hi_u32 v6, s13, v1
	v_mul_hi_u32 v7, s10, v2
	;; [unrolled: 1-line block ×4, first 2 shown]
	s_delay_alu instid0(VALU_DEP_3) | instskip(NEXT) | instid1(VALU_DEP_1)
	v_dual_add_nc_u32 v6, v1, v6 :: v_dual_add_nc_u32 v7, v2, v7
	v_dual_lshrrev_b32 v6, s14, v6 :: v_dual_lshrrev_b32 v7, s11, v7
	s_delay_alu instid0(VALU_DEP_1) | instskip(SKIP_1) | instid1(VALU_DEP_3)
	v_mul_lo_u32 v6, v6, s15
	v_add_nc_u32_e32 v8, v4, v8
	v_mul_lo_u32 v7, v7, s12
	s_delay_alu instid0(VALU_DEP_3) | instskip(NEXT) | instid1(VALU_DEP_3)
	v_dual_sub_nc_u32 v6, v1, v6 :: v_dual_add_nc_u32 v9, v0, v9
	v_lshrrev_b32_e32 v8, s8, v8
	v_mul_lo_u32 v1, v1, s22
	s_delay_alu instid0(VALU_DEP_4) | instskip(NEXT) | instid1(VALU_DEP_4)
	v_sub_nc_u32_e32 v7, v2, v7
	v_mul_lo_u32 v6, v6, s18
	v_lshrrev_b32_e32 v9, s5, v9
	v_mul_lo_u32 v8, v8, s9
	s_delay_alu instid0(VALU_DEP_2) | instskip(SKIP_2) | instid1(VALU_DEP_4)
	v_mul_lo_u32 v9, v9, s6
	v_mad_u32 v1, v2, s21, v1
	v_mad_u32 v7, v7, s17, v6
	v_sub_nc_u32_e32 v8, v4, v8
	s_delay_alu instid0(VALU_DEP_1) | instskip(SKIP_2) | instid1(VALU_DEP_2)
	v_mad_u32 v8, v8, s16, v7
	v_sub_nc_u32_e32 v6, v0, v9
	s_load_b512 s[4:19], s[0:1], 0xb8
	v_ashrrev_i32_e32 v9, 31, v8
	s_delay_alu instid0(VALU_DEP_2) | instskip(SKIP_2) | instid1(VALU_DEP_1)
	v_mul_lo_u32 v6, v6, s27
	s_wait_xcnt 0x0
	s_load_b64 s[0:1], s[0:1], 0x10
	v_ashrrev_i32_e32 v7, 31, v6
	s_delay_alu instid0(VALU_DEP_1) | instskip(NEXT) | instid1(VALU_DEP_1)
	v_add_nc_u64_e32 v[6:7], v[6:7], v[8:9]
	v_lshlrev_b64_e32 v[6:7], 1, v[6:7]
	s_wait_kmcnt 0x0
	s_delay_alu instid0(VALU_DEP_1)
	v_add_nc_u64_e32 v[8:9], s[4:5], v[6:7]
	v_add_nc_u64_e32 v[10:11], s[6:7], v[6:7]
	global_load_u16 v12, v[8:9], off
	s_wait_xcnt 0x0
	v_add_nc_u64_e32 v[8:9], s[8:9], v[6:7]
	global_load_u16 v13, v[10:11], off
	s_wait_xcnt 0x0
	;; [unrolled: 3-line block ×5, first 2 shown]
	v_add_nc_u64_e32 v[8:9], s[16:17], v[6:7]
	global_load_u16 v10, v[10:11], off
	v_add_nc_u64_e32 v[6:7], s[18:19], v[6:7]
	global_load_u16 v11, v[8:9], off
	global_load_u16 v17, v[6:7], off
	s_wait_loadcnt 0x7
	s_wait_xcnt 0x0
	v_cvt_f32_f16_e32 v6, v12
	s_wait_loadcnt 0x6
	v_cvt_f32_f16_e32 v7, v13
	s_delay_alu instid0(VALU_DEP_2) | instskip(SKIP_2) | instid1(VALU_DEP_2)
	v_add_f32_e32 v5, v5, v6
	s_wait_loadcnt 0x5
	v_cvt_f32_f16_e32 v6, v14
	v_add_f32_e32 v5, v5, v7
	s_wait_loadcnt 0x4
	v_cvt_f32_f16_e32 v7, v15
	s_delay_alu instid0(VALU_DEP_2)
	v_add_f32_e32 v5, v5, v6
	s_wait_loadcnt 0x3
	v_cvt_f32_f16_e32 v2, v16
	s_wait_loadcnt 0x2
	v_cvt_f32_f16_e32 v6, v10
	v_add_f32_e32 v5, v5, v7
	s_delay_alu instid0(VALU_DEP_1) | instskip(SKIP_3) | instid1(VALU_DEP_3)
	v_add_f32_e32 v5, v5, v2
	v_mad_u32 v2, v4, s20, v1
	s_wait_loadcnt 0x1
	v_cvt_f32_f16_e32 v1, v11
	v_add_f32_e32 v4, v5, v6
	s_wait_loadcnt 0x0
	v_cvt_f32_f16_e32 v5, v17
	s_delay_alu instid0(VALU_DEP_2) | instskip(SKIP_1) | instid1(VALU_DEP_2)
	v_dual_add_f32 v4, v4, v1 :: v_dual_mov_b32 v1, v3
	v_lshl_add_u64 v[2:3], v[2:3], 1, s[0:1]
	v_add_f32_e32 v4, v4, v5
	s_delay_alu instid0(VALU_DEP_2) | instskip(NEXT) | instid1(VALU_DEP_2)
	v_lshl_add_u64 v[0:1], v[0:1], 1, v[2:3]
	v_cvt_f16_f32_e32 v4, v4
	global_store_b16 v[0:1], v4, off
.LBB90_4:
	s_endpgm
	.section	.rodata,"a",@progbits
	.p2align	6, 0x0
	.amdhsa_kernel _ZL19k_bin_bcast_unravelIXadL_ZL6op_addffEE6__halfS0_S0_JPKS0_S2_S2_S2_S2_S2_S2_S2_EEvPKT0_PKT1_PT2_15HIP_vector_typeIjLj3EESC_SC_jSC_SC_SC_SC_SC_SC_iiiiiiiiiiiDpT3_
		.amdhsa_group_segment_fixed_size 0
		.amdhsa_private_segment_fixed_size 0
		.amdhsa_kernarg_size 504
		.amdhsa_user_sgpr_count 2
		.amdhsa_user_sgpr_dispatch_ptr 0
		.amdhsa_user_sgpr_queue_ptr 0
		.amdhsa_user_sgpr_kernarg_segment_ptr 1
		.amdhsa_user_sgpr_dispatch_id 0
		.amdhsa_user_sgpr_kernarg_preload_length 0
		.amdhsa_user_sgpr_kernarg_preload_offset 0
		.amdhsa_user_sgpr_private_segment_size 0
		.amdhsa_wavefront_size32 1
		.amdhsa_uses_dynamic_stack 0
		.amdhsa_enable_private_segment 0
		.amdhsa_system_sgpr_workgroup_id_x 1
		.amdhsa_system_sgpr_workgroup_id_y 0
		.amdhsa_system_sgpr_workgroup_id_z 0
		.amdhsa_system_sgpr_workgroup_info 0
		.amdhsa_system_vgpr_workitem_id 0
		.amdhsa_next_free_vgpr 18
		.amdhsa_next_free_sgpr 28
		.amdhsa_named_barrier_count 0
		.amdhsa_reserve_vcc 1
		.amdhsa_float_round_mode_32 0
		.amdhsa_float_round_mode_16_64 0
		.amdhsa_float_denorm_mode_32 3
		.amdhsa_float_denorm_mode_16_64 3
		.amdhsa_fp16_overflow 0
		.amdhsa_memory_ordered 1
		.amdhsa_forward_progress 1
		.amdhsa_inst_pref_size 8
		.amdhsa_round_robin_scheduling 0
		.amdhsa_exception_fp_ieee_invalid_op 0
		.amdhsa_exception_fp_denorm_src 0
		.amdhsa_exception_fp_ieee_div_zero 0
		.amdhsa_exception_fp_ieee_overflow 0
		.amdhsa_exception_fp_ieee_underflow 0
		.amdhsa_exception_fp_ieee_inexact 0
		.amdhsa_exception_int_div_zero 0
	.end_amdhsa_kernel
	.section	.text._ZL19k_bin_bcast_unravelIXadL_ZL6op_addffEE6__halfS0_S0_JPKS0_S2_S2_S2_S2_S2_S2_S2_EEvPKT0_PKT1_PT2_15HIP_vector_typeIjLj3EESC_SC_jSC_SC_SC_SC_SC_SC_iiiiiiiiiiiDpT3_,"axG",@progbits,_ZL19k_bin_bcast_unravelIXadL_ZL6op_addffEE6__halfS0_S0_JPKS0_S2_S2_S2_S2_S2_S2_S2_EEvPKT0_PKT1_PT2_15HIP_vector_typeIjLj3EESC_SC_jSC_SC_SC_SC_SC_SC_iiiiiiiiiiiDpT3_,comdat
.Lfunc_end90:
	.size	_ZL19k_bin_bcast_unravelIXadL_ZL6op_addffEE6__halfS0_S0_JPKS0_S2_S2_S2_S2_S2_S2_S2_EEvPKT0_PKT1_PT2_15HIP_vector_typeIjLj3EESC_SC_jSC_SC_SC_SC_SC_SC_iiiiiiiiiiiDpT3_, .Lfunc_end90-_ZL19k_bin_bcast_unravelIXadL_ZL6op_addffEE6__halfS0_S0_JPKS0_S2_S2_S2_S2_S2_S2_S2_EEvPKT0_PKT1_PT2_15HIP_vector_typeIjLj3EESC_SC_jSC_SC_SC_SC_SC_SC_iiiiiiiiiiiDpT3_
                                        ; -- End function
	.set _ZL19k_bin_bcast_unravelIXadL_ZL6op_addffEE6__halfS0_S0_JPKS0_S2_S2_S2_S2_S2_S2_S2_EEvPKT0_PKT1_PT2_15HIP_vector_typeIjLj3EESC_SC_jSC_SC_SC_SC_SC_SC_iiiiiiiiiiiDpT3_.num_vgpr, 18
	.set _ZL19k_bin_bcast_unravelIXadL_ZL6op_addffEE6__halfS0_S0_JPKS0_S2_S2_S2_S2_S2_S2_S2_EEvPKT0_PKT1_PT2_15HIP_vector_typeIjLj3EESC_SC_jSC_SC_SC_SC_SC_SC_iiiiiiiiiiiDpT3_.num_agpr, 0
	.set _ZL19k_bin_bcast_unravelIXadL_ZL6op_addffEE6__halfS0_S0_JPKS0_S2_S2_S2_S2_S2_S2_S2_EEvPKT0_PKT1_PT2_15HIP_vector_typeIjLj3EESC_SC_jSC_SC_SC_SC_SC_SC_iiiiiiiiiiiDpT3_.numbered_sgpr, 28
	.set _ZL19k_bin_bcast_unravelIXadL_ZL6op_addffEE6__halfS0_S0_JPKS0_S2_S2_S2_S2_S2_S2_S2_EEvPKT0_PKT1_PT2_15HIP_vector_typeIjLj3EESC_SC_jSC_SC_SC_SC_SC_SC_iiiiiiiiiiiDpT3_.num_named_barrier, 0
	.set _ZL19k_bin_bcast_unravelIXadL_ZL6op_addffEE6__halfS0_S0_JPKS0_S2_S2_S2_S2_S2_S2_S2_EEvPKT0_PKT1_PT2_15HIP_vector_typeIjLj3EESC_SC_jSC_SC_SC_SC_SC_SC_iiiiiiiiiiiDpT3_.private_seg_size, 0
	.set _ZL19k_bin_bcast_unravelIXadL_ZL6op_addffEE6__halfS0_S0_JPKS0_S2_S2_S2_S2_S2_S2_S2_EEvPKT0_PKT1_PT2_15HIP_vector_typeIjLj3EESC_SC_jSC_SC_SC_SC_SC_SC_iiiiiiiiiiiDpT3_.uses_vcc, 1
	.set _ZL19k_bin_bcast_unravelIXadL_ZL6op_addffEE6__halfS0_S0_JPKS0_S2_S2_S2_S2_S2_S2_S2_EEvPKT0_PKT1_PT2_15HIP_vector_typeIjLj3EESC_SC_jSC_SC_SC_SC_SC_SC_iiiiiiiiiiiDpT3_.uses_flat_scratch, 0
	.set _ZL19k_bin_bcast_unravelIXadL_ZL6op_addffEE6__halfS0_S0_JPKS0_S2_S2_S2_S2_S2_S2_S2_EEvPKT0_PKT1_PT2_15HIP_vector_typeIjLj3EESC_SC_jSC_SC_SC_SC_SC_SC_iiiiiiiiiiiDpT3_.has_dyn_sized_stack, 0
	.set _ZL19k_bin_bcast_unravelIXadL_ZL6op_addffEE6__halfS0_S0_JPKS0_S2_S2_S2_S2_S2_S2_S2_EEvPKT0_PKT1_PT2_15HIP_vector_typeIjLj3EESC_SC_jSC_SC_SC_SC_SC_SC_iiiiiiiiiiiDpT3_.has_recursion, 0
	.set _ZL19k_bin_bcast_unravelIXadL_ZL6op_addffEE6__halfS0_S0_JPKS0_S2_S2_S2_S2_S2_S2_S2_EEvPKT0_PKT1_PT2_15HIP_vector_typeIjLj3EESC_SC_jSC_SC_SC_SC_SC_SC_iiiiiiiiiiiDpT3_.has_indirect_call, 0
	.section	.AMDGPU.csdata,"",@progbits
; Kernel info:
; codeLenInByte = 976
; TotalNumSgprs: 30
; NumVgprs: 18
; ScratchSize: 0
; MemoryBound: 0
; FloatMode: 240
; IeeeMode: 1
; LDSByteSize: 0 bytes/workgroup (compile time only)
; SGPRBlocks: 0
; VGPRBlocks: 1
; NumSGPRsForWavesPerEU: 30
; NumVGPRsForWavesPerEU: 18
; NamedBarCnt: 0
; Occupancy: 16
; WaveLimiterHint : 1
; COMPUTE_PGM_RSRC2:SCRATCH_EN: 0
; COMPUTE_PGM_RSRC2:USER_SGPR: 2
; COMPUTE_PGM_RSRC2:TRAP_HANDLER: 0
; COMPUTE_PGM_RSRC2:TGID_X_EN: 1
; COMPUTE_PGM_RSRC2:TGID_Y_EN: 0
; COMPUTE_PGM_RSRC2:TGID_Z_EN: 0
; COMPUTE_PGM_RSRC2:TIDIG_COMP_CNT: 0
	.section	.text._ZL11k_bin_bcastIXadL_ZL6op_addffEE6__halfS0_S0_JPKS0_S2_S2_S2_S2_S2_S2_S2_EEvPKT0_PKT1_PT2_iii15HIP_vector_typeIjLj3EESC_SC_SC_SC_iiiiiiiiiiiDpT3_,"axG",@progbits,_ZL11k_bin_bcastIXadL_ZL6op_addffEE6__halfS0_S0_JPKS0_S2_S2_S2_S2_S2_S2_S2_EEvPKT0_PKT1_PT2_iii15HIP_vector_typeIjLj3EESC_SC_SC_SC_iiiiiiiiiiiDpT3_,comdat
	.globl	_ZL11k_bin_bcastIXadL_ZL6op_addffEE6__halfS0_S0_JPKS0_S2_S2_S2_S2_S2_S2_S2_EEvPKT0_PKT1_PT2_iii15HIP_vector_typeIjLj3EESC_SC_SC_SC_iiiiiiiiiiiDpT3_ ; -- Begin function _ZL11k_bin_bcastIXadL_ZL6op_addffEE6__halfS0_S0_JPKS0_S2_S2_S2_S2_S2_S2_S2_EEvPKT0_PKT1_PT2_iii15HIP_vector_typeIjLj3EESC_SC_SC_SC_iiiiiiiiiiiDpT3_
	.p2align	8
	.type	_ZL11k_bin_bcastIXadL_ZL6op_addffEE6__halfS0_S0_JPKS0_S2_S2_S2_S2_S2_S2_S2_EEvPKT0_PKT1_PT2_iii15HIP_vector_typeIjLj3EESC_SC_SC_SC_iiiiiiiiiiiDpT3_,@function
_ZL11k_bin_bcastIXadL_ZL6op_addffEE6__halfS0_S0_JPKS0_S2_S2_S2_S2_S2_S2_S2_EEvPKT0_PKT1_PT2_iii15HIP_vector_typeIjLj3EESC_SC_SC_SC_iiiiiiiiiiiDpT3_: ; @_ZL11k_bin_bcastIXadL_ZL6op_addffEE6__halfS0_S0_JPKS0_S2_S2_S2_S2_S2_S2_S2_EEvPKT0_PKT1_PT2_iii15HIP_vector_typeIjLj3EESC_SC_SC_SC_iiiiiiiiiiiDpT3_
; %bb.0:
	s_load_b64 s[2:3], s[0:1], 0xdc
	s_bfe_u32 s5, ttmp6, 0x40014
	s_bfe_u32 s8, ttmp6, 0x40010
	;; [unrolled: 1-line block ×3, first 2 shown]
	s_lshr_b32 s4, ttmp7, 16
	s_add_co_i32 s5, s5, 1
	s_and_b32 s7, ttmp7, 0xffff
	s_load_b256 s[20:27], s[0:1], 0x18
	s_add_co_i32 s8, s8, 1
	s_add_co_i32 s11, s11, 1
	s_bfe_u32 s6, ttmp6, 0x40008
	s_mul_i32 s5, s4, s5
	s_bfe_u32 s9, ttmp6, 0x40004
	s_and_b32 s10, ttmp6, 15
	s_mul_i32 s8, s7, s8
	s_mul_i32 s11, ttmp9, s11
	s_add_co_i32 s6, s6, s5
	s_add_co_i32 s9, s9, s8
	;; [unrolled: 1-line block ×3, first 2 shown]
	v_bfe_u32 v1, v0, 20, 10
	s_wait_kmcnt 0x0
	s_lshr_b32 s5, s2, 16
	s_and_b32 s28, s2, 0xffff
	s_getreg_b32 s2, hwreg(HW_REG_IB_STS2, 6, 4)
	s_and_b32 s3, s3, 0xffff
	s_cmp_eq_u32 s2, 0
	v_and_b32_e32 v2, 0x3ff, v0
	s_cselect_b32 s2, s4, s6
	v_bfe_u32 v4, v0, 10, 10
	v_mad_u32 v3, s2, s3, v1
	s_cselect_b32 s2, ttmp9, s10
	s_cselect_b32 s3, s7, s9
	v_mad_u32 v0, s2, s28, v2
	v_mad_u32 v2, s3, s5, v4
	s_delay_alu instid0(VALU_DEP_3) | instskip(NEXT) | instid1(VALU_DEP_3)
	v_mul_hi_u32 v1, v3, s23
	v_cmp_gt_u32_e32 vcc_lo, s20, v0
	s_delay_alu instid0(VALU_DEP_3) | instskip(SKIP_2) | instid1(VALU_DEP_1)
	v_cmp_gt_u32_e64 s2, s21, v2
	s_and_b32 s2, vcc_lo, s2
	v_add_nc_u32_e32 v1, v3, v1
	v_lshrrev_b32_e32 v1, s24, v1
	s_delay_alu instid0(VALU_DEP_1) | instskip(SKIP_3) | instid1(VALU_DEP_1)
	v_mul_lo_u32 v5, v1, s25
	v_cmp_gt_u32_e64 s3, s22, v1
	s_and_b32 s2, s2, s3
	v_sub_nc_u32_e32 v3, v3, v5
	v_cmp_gt_u32_e64 s4, s25, v3
	s_and_b32 s2, s2, s4
	s_delay_alu instid0(SALU_CYCLE_1)
	s_and_saveexec_b32 s3, s2
	s_cbranch_execz .LBB91_6
; %bb.1:
	v_cmp_gt_i32_e32 vcc_lo, s20, v0
	s_and_b32 exec_lo, exec_lo, vcc_lo
	s_cbranch_execz .LBB91_6
; %bb.2:
	s_clause 0x4
	s_load_b256 s[4:11], s[0:1], 0x3c
	s_load_b32 s2, s[0:1], 0x5c
	s_load_b256 s[36:43], s[0:1], 0x60
	s_load_b96 s[44:46], s[0:1], 0x80
	s_load_b64 s[22:23], s[0:1], 0x10
	s_wait_kmcnt 0x0
	v_mul_hi_u32 v4, s10, v3
	v_mul_hi_u32 v5, s7, v1
	;; [unrolled: 1-line block ×3, first 2 shown]
	v_mul_lo_u32 v7, v2, s40
	v_mul_lo_u32 v8, v2, s36
	s_delay_alu instid0(VALU_DEP_4) | instskip(NEXT) | instid1(VALU_DEP_3)
	v_dual_add_nc_u32 v4, v3, v4 :: v_dual_add_nc_u32 v5, v1, v5
	v_mad_u32 v7, v1, s41, v7
	s_delay_alu instid0(VALU_DEP_3) | instskip(NEXT) | instid1(VALU_DEP_3)
	v_mad_u32 v8, v1, s37, v8
	v_dual_lshrrev_b32 v4, s11, v4 :: v_dual_lshrrev_b32 v5, s8, v5
	s_delay_alu instid0(VALU_DEP_1) | instskip(SKIP_1) | instid1(VALU_DEP_3)
	v_mul_lo_u32 v4, v4, s2
	v_add_nc_u32_e32 v6, v2, v6
	v_mul_lo_u32 v5, v5, s9
	s_load_b64 s[2:3], s[0:1], 0x0
	v_mad_u32 v8, v3, s38, v8
	s_delay_alu instid0(VALU_DEP_3) | instskip(NEXT) | instid1(VALU_DEP_3)
	v_dual_sub_nc_u32 v4, v3, v4 :: v_dual_lshrrev_b32 v6, s5, v6
	v_sub_nc_u32_e32 v5, v1, v5
	s_add_nc_u64 s[4:5], s[0:1], 0xd0
	s_load_b32 s21, s[4:5], 0x0
	s_load_b32 s24, s[0:1], 0x38
	v_mul_lo_u32 v9, v4, s46
	v_mul_lo_u32 v6, v6, s6
	v_mad_u32 v4, v3, s42, v7
	s_wait_xcnt 0x0
	s_load_b512 s[4:19], s[0:1], 0x90
	v_mov_b32_e32 v1, 0
	s_wait_xcnt 0x0
	s_mov_b32 s1, 0
	s_wait_kmcnt 0x0
	s_cmp_lg_u64 s[2:3], 0
	s_mov_b32 s0, s26
	v_mad_u32 v7, v5, s45, v9
	v_sub_nc_u32_e32 v2, v2, v6
	v_mul_lo_u32 v6, s39, v0
	v_dual_mov_b32 v5, v1 :: v_dual_mov_b32 v9, v1
	v_mov_b32_e32 v3, v1
	s_delay_alu instid0(VALU_DEP_2) | instskip(NEXT) | instid1(VALU_DEP_3)
	v_lshl_add_u64 v[4:5], v[4:5], 1, s[2:3]
	v_lshl_add_u64 v[8:9], v[8:9], 1, s[22:23]
	s_mul_i32 s2, s21, s28
	v_mad_u32 v2, v2, s44, v7
	s_cselect_b32 s3, -1, 0
	s_mul_i32 s21, s2, s39
	s_sub_co_i32 s22, 0, s24
	s_mov_b32 s23, s1
	s_branch .LBB91_4
.LBB91_3:                               ;   in Loop: Header=BB91_4 Depth=1
	s_wait_xcnt 0x0
	v_mul_u64_e32 v[10:11], s[0:1], v[0:1]
	s_delay_alu instid0(VALU_DEP_1) | instskip(NEXT) | instid1(VALU_DEP_1)
	v_dual_add_nc_u32 v6, s21, v6 :: v_dual_add_nc_u32 v10, v0, v11
	v_dual_mov_b32 v11, v1 :: v_dual_lshrrev_b32 v10, s27, v10
	s_delay_alu instid0(VALU_DEP_1) | instskip(NEXT) | instid1(VALU_DEP_1)
	v_mad_u32 v10, s22, v10, v0
	v_mul_lo_u32 v10, v10, s43
	s_delay_alu instid0(VALU_DEP_1) | instskip(NEXT) | instid1(VALU_DEP_1)
	v_add_nc_u64_e32 v[10:11], v[10:11], v[2:3]
	v_lshlrev_b64_e32 v[10:11], 1, v[10:11]
	s_delay_alu instid0(VALU_DEP_1)
	v_add_nc_u64_e32 v[12:13], s[4:5], v[10:11]
	v_add_nc_u64_e32 v[14:15], s[6:7], v[10:11]
	global_load_u16 v16, v[12:13], off
	s_wait_xcnt 0x0
	v_add_nc_u64_e32 v[12:13], s[8:9], v[10:11]
	global_load_u16 v17, v[14:15], off
	s_wait_xcnt 0x0
	v_add_nc_u64_e32 v[14:15], s[10:11], v[10:11]
	global_load_u16 v18, v[12:13], off
	s_wait_xcnt 0x0
	v_add_nc_u64_e32 v[12:13], s[12:13], v[10:11]
	global_load_u16 v19, v[14:15], off
	s_wait_xcnt 0x0
	v_add_nc_u64_e32 v[14:15], s[14:15], v[10:11]
	global_load_u16 v20, v[12:13], off
	s_wait_xcnt 0x0
	v_add_nc_u64_e32 v[12:13], s[16:17], v[10:11]
	global_load_u16 v14, v[14:15], off
	v_add_nc_u64_e32 v[10:11], s[18:19], v[10:11]
	global_load_u16 v15, v[12:13], off
	global_load_u16 v21, v[10:11], off
	s_wait_loadcnt 0x7
	s_wait_xcnt 0x0
	v_cvt_f32_f16_e32 v10, v16
	s_wait_loadcnt 0x6
	v_cvt_f32_f16_e32 v11, v17
	s_delay_alu instid0(VALU_DEP_2) | instskip(SKIP_2) | instid1(VALU_DEP_2)
	v_add_f32_e32 v7, v7, v10
	s_wait_loadcnt 0x5
	v_cvt_f32_f16_e32 v10, v18
	v_add_f32_e32 v7, v7, v11
	s_wait_loadcnt 0x4
	v_cvt_f32_f16_e32 v11, v19
	s_delay_alu instid0(VALU_DEP_2) | instskip(SKIP_2) | instid1(VALU_DEP_2)
	v_add_f32_e32 v7, v7, v10
	s_wait_loadcnt 0x3
	v_cvt_f32_f16_e32 v10, v20
	v_add_f32_e32 v7, v7, v11
	s_wait_loadcnt 0x2
	v_cvt_f32_f16_e32 v11, v14
	s_delay_alu instid0(VALU_DEP_2)
	v_add_f32_e32 v7, v7, v10
	s_wait_loadcnt 0x1
	v_cvt_f32_f16_e32 v10, v15
	s_wait_loadcnt 0x0
	v_cvt_f32_f16_e32 v12, v21
	v_dual_add_f32 v7, v7, v11 :: v_dual_ashrrev_i32 v11, 31, v0
	s_delay_alu instid0(VALU_DEP_1) | instskip(SKIP_1) | instid1(VALU_DEP_2)
	v_dual_add_f32 v7, v7, v10 :: v_dual_mov_b32 v10, v0
	v_add_nc_u32_e32 v0, s2, v0
	v_add_f32_e32 v7, v7, v12
	s_delay_alu instid0(VALU_DEP_3) | instskip(NEXT) | instid1(VALU_DEP_3)
	v_lshl_add_u64 v[10:11], v[10:11], 1, v[8:9]
	v_cmp_le_i32_e32 vcc_lo, s20, v0
	s_delay_alu instid0(VALU_DEP_3)
	v_cvt_f16_f32_e32 v7, v7
	s_or_b32 s23, vcc_lo, s23
	global_store_b16 v[10:11], v7, off
	s_wait_xcnt 0x0
	s_and_not1_b32 exec_lo, exec_lo, s23
	s_cbranch_execz .LBB91_6
.LBB91_4:                               ; =>This Inner Loop Header: Depth=1
	v_mov_b32_e32 v7, 0
	s_and_not1_b32 vcc_lo, exec_lo, s3
	s_cbranch_vccnz .LBB91_3
; %bb.5:                                ;   in Loop: Header=BB91_4 Depth=1
	v_ashrrev_i32_e32 v7, 31, v6
	s_delay_alu instid0(VALU_DEP_1)
	v_lshl_add_u64 v[10:11], v[6:7], 1, v[4:5]
	global_load_u16 v7, v[10:11], off
	s_wait_loadcnt 0x0
	v_cvt_f32_f16_e32 v7, v7
	s_branch .LBB91_3
.LBB91_6:
	s_endpgm
	.section	.rodata,"a",@progbits
	.p2align	6, 0x0
	.amdhsa_kernel _ZL11k_bin_bcastIXadL_ZL6op_addffEE6__halfS0_S0_JPKS0_S2_S2_S2_S2_S2_S2_S2_EEvPKT0_PKT1_PT2_iii15HIP_vector_typeIjLj3EESC_SC_SC_SC_iiiiiiiiiiiDpT3_
		.amdhsa_group_segment_fixed_size 0
		.amdhsa_private_segment_fixed_size 0
		.amdhsa_kernarg_size 464
		.amdhsa_user_sgpr_count 2
		.amdhsa_user_sgpr_dispatch_ptr 0
		.amdhsa_user_sgpr_queue_ptr 0
		.amdhsa_user_sgpr_kernarg_segment_ptr 1
		.amdhsa_user_sgpr_dispatch_id 0
		.amdhsa_user_sgpr_kernarg_preload_length 0
		.amdhsa_user_sgpr_kernarg_preload_offset 0
		.amdhsa_user_sgpr_private_segment_size 0
		.amdhsa_wavefront_size32 1
		.amdhsa_uses_dynamic_stack 0
		.amdhsa_enable_private_segment 0
		.amdhsa_system_sgpr_workgroup_id_x 1
		.amdhsa_system_sgpr_workgroup_id_y 1
		.amdhsa_system_sgpr_workgroup_id_z 1
		.amdhsa_system_sgpr_workgroup_info 0
		.amdhsa_system_vgpr_workitem_id 2
		.amdhsa_next_free_vgpr 22
		.amdhsa_next_free_sgpr 47
		.amdhsa_named_barrier_count 0
		.amdhsa_reserve_vcc 1
		.amdhsa_float_round_mode_32 0
		.amdhsa_float_round_mode_16_64 0
		.amdhsa_float_denorm_mode_32 3
		.amdhsa_float_denorm_mode_16_64 3
		.amdhsa_fp16_overflow 0
		.amdhsa_memory_ordered 1
		.amdhsa_forward_progress 1
		.amdhsa_inst_pref_size 9
		.amdhsa_round_robin_scheduling 0
		.amdhsa_exception_fp_ieee_invalid_op 0
		.amdhsa_exception_fp_denorm_src 0
		.amdhsa_exception_fp_ieee_div_zero 0
		.amdhsa_exception_fp_ieee_overflow 0
		.amdhsa_exception_fp_ieee_underflow 0
		.amdhsa_exception_fp_ieee_inexact 0
		.amdhsa_exception_int_div_zero 0
	.end_amdhsa_kernel
	.section	.text._ZL11k_bin_bcastIXadL_ZL6op_addffEE6__halfS0_S0_JPKS0_S2_S2_S2_S2_S2_S2_S2_EEvPKT0_PKT1_PT2_iii15HIP_vector_typeIjLj3EESC_SC_SC_SC_iiiiiiiiiiiDpT3_,"axG",@progbits,_ZL11k_bin_bcastIXadL_ZL6op_addffEE6__halfS0_S0_JPKS0_S2_S2_S2_S2_S2_S2_S2_EEvPKT0_PKT1_PT2_iii15HIP_vector_typeIjLj3EESC_SC_SC_SC_iiiiiiiiiiiDpT3_,comdat
.Lfunc_end91:
	.size	_ZL11k_bin_bcastIXadL_ZL6op_addffEE6__halfS0_S0_JPKS0_S2_S2_S2_S2_S2_S2_S2_EEvPKT0_PKT1_PT2_iii15HIP_vector_typeIjLj3EESC_SC_SC_SC_iiiiiiiiiiiDpT3_, .Lfunc_end91-_ZL11k_bin_bcastIXadL_ZL6op_addffEE6__halfS0_S0_JPKS0_S2_S2_S2_S2_S2_S2_S2_EEvPKT0_PKT1_PT2_iii15HIP_vector_typeIjLj3EESC_SC_SC_SC_iiiiiiiiiiiDpT3_
                                        ; -- End function
	.set _ZL11k_bin_bcastIXadL_ZL6op_addffEE6__halfS0_S0_JPKS0_S2_S2_S2_S2_S2_S2_S2_EEvPKT0_PKT1_PT2_iii15HIP_vector_typeIjLj3EESC_SC_SC_SC_iiiiiiiiiiiDpT3_.num_vgpr, 22
	.set _ZL11k_bin_bcastIXadL_ZL6op_addffEE6__halfS0_S0_JPKS0_S2_S2_S2_S2_S2_S2_S2_EEvPKT0_PKT1_PT2_iii15HIP_vector_typeIjLj3EESC_SC_SC_SC_iiiiiiiiiiiDpT3_.num_agpr, 0
	.set _ZL11k_bin_bcastIXadL_ZL6op_addffEE6__halfS0_S0_JPKS0_S2_S2_S2_S2_S2_S2_S2_EEvPKT0_PKT1_PT2_iii15HIP_vector_typeIjLj3EESC_SC_SC_SC_iiiiiiiiiiiDpT3_.numbered_sgpr, 47
	.set _ZL11k_bin_bcastIXadL_ZL6op_addffEE6__halfS0_S0_JPKS0_S2_S2_S2_S2_S2_S2_S2_EEvPKT0_PKT1_PT2_iii15HIP_vector_typeIjLj3EESC_SC_SC_SC_iiiiiiiiiiiDpT3_.num_named_barrier, 0
	.set _ZL11k_bin_bcastIXadL_ZL6op_addffEE6__halfS0_S0_JPKS0_S2_S2_S2_S2_S2_S2_S2_EEvPKT0_PKT1_PT2_iii15HIP_vector_typeIjLj3EESC_SC_SC_SC_iiiiiiiiiiiDpT3_.private_seg_size, 0
	.set _ZL11k_bin_bcastIXadL_ZL6op_addffEE6__halfS0_S0_JPKS0_S2_S2_S2_S2_S2_S2_S2_EEvPKT0_PKT1_PT2_iii15HIP_vector_typeIjLj3EESC_SC_SC_SC_iiiiiiiiiiiDpT3_.uses_vcc, 1
	.set _ZL11k_bin_bcastIXadL_ZL6op_addffEE6__halfS0_S0_JPKS0_S2_S2_S2_S2_S2_S2_S2_EEvPKT0_PKT1_PT2_iii15HIP_vector_typeIjLj3EESC_SC_SC_SC_iiiiiiiiiiiDpT3_.uses_flat_scratch, 0
	.set _ZL11k_bin_bcastIXadL_ZL6op_addffEE6__halfS0_S0_JPKS0_S2_S2_S2_S2_S2_S2_S2_EEvPKT0_PKT1_PT2_iii15HIP_vector_typeIjLj3EESC_SC_SC_SC_iiiiiiiiiiiDpT3_.has_dyn_sized_stack, 0
	.set _ZL11k_bin_bcastIXadL_ZL6op_addffEE6__halfS0_S0_JPKS0_S2_S2_S2_S2_S2_S2_S2_EEvPKT0_PKT1_PT2_iii15HIP_vector_typeIjLj3EESC_SC_SC_SC_iiiiiiiiiiiDpT3_.has_recursion, 0
	.set _ZL11k_bin_bcastIXadL_ZL6op_addffEE6__halfS0_S0_JPKS0_S2_S2_S2_S2_S2_S2_S2_EEvPKT0_PKT1_PT2_iii15HIP_vector_typeIjLj3EESC_SC_SC_SC_iiiiiiiiiiiDpT3_.has_indirect_call, 0
	.section	.AMDGPU.csdata,"",@progbits
; Kernel info:
; codeLenInByte = 1128
; TotalNumSgprs: 49
; NumVgprs: 22
; ScratchSize: 0
; MemoryBound: 0
; FloatMode: 240
; IeeeMode: 1
; LDSByteSize: 0 bytes/workgroup (compile time only)
; SGPRBlocks: 0
; VGPRBlocks: 1
; NumSGPRsForWavesPerEU: 49
; NumVGPRsForWavesPerEU: 22
; NamedBarCnt: 0
; Occupancy: 16
; WaveLimiterHint : 1
; COMPUTE_PGM_RSRC2:SCRATCH_EN: 0
; COMPUTE_PGM_RSRC2:USER_SGPR: 2
; COMPUTE_PGM_RSRC2:TRAP_HANDLER: 0
; COMPUTE_PGM_RSRC2:TGID_X_EN: 1
; COMPUTE_PGM_RSRC2:TGID_Y_EN: 1
; COMPUTE_PGM_RSRC2:TGID_Z_EN: 1
; COMPUTE_PGM_RSRC2:TIDIG_COMP_CNT: 2
	.section	.text._ZL19k_bin_bcast_unravelIXadL_ZL6op_addffEE6__halffS0_JPKfS2_S2_S2_S2_S2_S2_S2_EEvPKT0_PKT1_PT2_15HIP_vector_typeIjLj3EESC_SC_jSC_SC_SC_SC_SC_SC_iiiiiiiiiiiDpT3_,"axG",@progbits,_ZL19k_bin_bcast_unravelIXadL_ZL6op_addffEE6__halffS0_JPKfS2_S2_S2_S2_S2_S2_S2_EEvPKT0_PKT1_PT2_15HIP_vector_typeIjLj3EESC_SC_jSC_SC_SC_SC_SC_SC_iiiiiiiiiiiDpT3_,comdat
	.globl	_ZL19k_bin_bcast_unravelIXadL_ZL6op_addffEE6__halffS0_JPKfS2_S2_S2_S2_S2_S2_S2_EEvPKT0_PKT1_PT2_15HIP_vector_typeIjLj3EESC_SC_jSC_SC_SC_SC_SC_SC_iiiiiiiiiiiDpT3_ ; -- Begin function _ZL19k_bin_bcast_unravelIXadL_ZL6op_addffEE6__halffS0_JPKfS2_S2_S2_S2_S2_S2_S2_EEvPKT0_PKT1_PT2_15HIP_vector_typeIjLj3EESC_SC_jSC_SC_SC_SC_SC_SC_iiiiiiiiiiiDpT3_
	.p2align	8
	.type	_ZL19k_bin_bcast_unravelIXadL_ZL6op_addffEE6__halffS0_JPKfS2_S2_S2_S2_S2_S2_S2_EEvPKT0_PKT1_PT2_15HIP_vector_typeIjLj3EESC_SC_jSC_SC_SC_SC_SC_SC_iiiiiiiiiiiDpT3_,@function
_ZL19k_bin_bcast_unravelIXadL_ZL6op_addffEE6__halffS0_JPKfS2_S2_S2_S2_S2_S2_S2_EEvPKT0_PKT1_PT2_15HIP_vector_typeIjLj3EESC_SC_jSC_SC_SC_SC_SC_SC_iiiiiiiiiiiDpT3_: ; @_ZL19k_bin_bcast_unravelIXadL_ZL6op_addffEE6__halffS0_JPKfS2_S2_S2_S2_S2_S2_S2_EEvPKT0_PKT1_PT2_15HIP_vector_typeIjLj3EESC_SC_jSC_SC_SC_SC_SC_SC_iiiiiiiiiiiDpT3_
; %bb.0:
	s_load_b32 s2, s[0:1], 0x104
	s_bfe_u32 s3, ttmp6, 0x4000c
	s_load_b256 s[4:11], s[0:1], 0x38
	s_add_co_i32 s3, s3, 1
	s_and_b32 s12, ttmp6, 15
	s_mul_i32 s3, ttmp9, s3
	s_getreg_b32 s13, hwreg(HW_REG_IB_STS2, 6, 4)
	s_add_co_i32 s12, s12, s3
	s_wait_kmcnt 0x0
	s_and_b32 s2, s2, 0xffff
	s_cmp_eq_u32 s13, 0
	s_cselect_b32 s3, ttmp9, s12
	s_delay_alu instid0(SALU_CYCLE_1) | instskip(SKIP_1) | instid1(VALU_DEP_1)
	v_mad_u32 v0, s3, s2, v0
	s_load_b32 s2, s[0:1], 0x2c
	v_mul_hi_u32 v1, v0, s6
	s_delay_alu instid0(VALU_DEP_1) | instskip(NEXT) | instid1(VALU_DEP_1)
	v_add_nc_u32_e32 v1, v0, v1
	v_lshrrev_b32_e32 v1, s7, v1
	s_delay_alu instid0(VALU_DEP_1) | instskip(NEXT) | instid1(VALU_DEP_1)
	v_mul_lo_u32 v2, v1, s8
	v_sub_nc_u32_e32 v0, v0, v2
	s_delay_alu instid0(VALU_DEP_1) | instskip(NEXT) | instid1(VALU_DEP_1)
	v_mul_hi_u32 v2, v0, s9
	v_add_nc_u32_e32 v2, v0, v2
	s_delay_alu instid0(VALU_DEP_1) | instskip(SKIP_1) | instid1(VALU_DEP_1)
	v_lshrrev_b32_e32 v2, s10, v2
	s_load_b96 s[8:10], s[0:1], 0x18
	v_mul_lo_u32 v3, v2, s11
	s_delay_alu instid0(VALU_DEP_1) | instskip(SKIP_3) | instid1(VALU_DEP_3)
	v_sub_nc_u32_e32 v0, v0, v3
	v_cmp_gt_u32_e64 s3, s4, v2
	v_cmp_gt_u32_e64 s4, s5, v1
	s_wait_kmcnt 0x0
	v_mul_hi_u32 v3, v0, s8
	s_delay_alu instid0(VALU_DEP_1) | instskip(NEXT) | instid1(VALU_DEP_1)
	v_add_nc_u32_e32 v3, v0, v3
	v_lshrrev_b32_e32 v4, s9, v3
	s_delay_alu instid0(VALU_DEP_1) | instskip(NEXT) | instid1(VALU_DEP_1)
	v_mul_lo_u32 v3, v4, s10
	v_sub_nc_u32_e32 v0, v0, v3
	v_cmp_gt_u32_e64 s2, s2, v4
	s_delay_alu instid0(VALU_DEP_2) | instskip(SKIP_1) | instid1(SALU_CYCLE_1)
	v_cmp_gt_u32_e32 vcc_lo, s10, v0
	s_and_b32 s2, vcc_lo, s2
	s_and_b32 s2, s2, s3
	s_delay_alu instid0(SALU_CYCLE_1) | instskip(NEXT) | instid1(SALU_CYCLE_1)
	s_and_b32 s2, s4, s2
	s_and_saveexec_b32 s3, s2
	s_cbranch_execz .LBB92_4
; %bb.1:
	s_clause 0x4
	s_load_b64 s[2:3], s[0:1], 0x0
	s_load_b96 s[16:18], s[0:1], 0xa8
	s_load_b256 s[20:27], s[0:1], 0x88
	s_load_b128 s[12:15], s[0:1], 0x78
	s_load_b256 s[4:11], s[0:1], 0x58
	v_dual_mov_b32 v3, 0 :: v_dual_mov_b32 v5, 0
	s_wait_kmcnt 0x0
	s_cmp_eq_u64 s[2:3], 0
	s_cbranch_scc1 .LBB92_3
; %bb.2:
	v_mul_lo_u32 v5, v1, s26
	v_mov_b32_e32 v7, 0
	s_delay_alu instid0(VALU_DEP_2) | instskip(NEXT) | instid1(VALU_DEP_1)
	v_mad_u32 v5, v2, s25, v5
	v_mad_u32 v6, v4, s24, v5
	s_delay_alu instid0(VALU_DEP_1) | instskip(SKIP_1) | instid1(VALU_DEP_1)
	v_lshl_add_u64 v[8:9], v[6:7], 1, s[2:3]
	v_mul_lo_u32 v6, v0, s23
	v_lshl_add_u64 v[6:7], v[6:7], 1, v[8:9]
	global_load_u16 v5, v[6:7], off
	s_wait_loadcnt 0x0
	v_cvt_f32_f16_e32 v5, v5
.LBB92_3:
	v_mul_hi_u32 v6, s13, v1
	v_mul_hi_u32 v7, s10, v2
	;; [unrolled: 1-line block ×4, first 2 shown]
	s_delay_alu instid0(VALU_DEP_3) | instskip(NEXT) | instid1(VALU_DEP_1)
	v_dual_add_nc_u32 v6, v1, v6 :: v_dual_add_nc_u32 v7, v2, v7
	v_dual_lshrrev_b32 v6, s14, v6 :: v_dual_lshrrev_b32 v7, s11, v7
	s_delay_alu instid0(VALU_DEP_1) | instskip(SKIP_1) | instid1(VALU_DEP_3)
	v_mul_lo_u32 v6, v6, s15
	v_add_nc_u32_e32 v8, v4, v8
	v_mul_lo_u32 v7, v7, s12
	s_delay_alu instid0(VALU_DEP_3) | instskip(NEXT) | instid1(VALU_DEP_3)
	v_dual_sub_nc_u32 v6, v1, v6 :: v_dual_add_nc_u32 v9, v0, v9
	v_lshrrev_b32_e32 v8, s8, v8
	v_mul_lo_u32 v1, v1, s22
	s_delay_alu instid0(VALU_DEP_4) | instskip(NEXT) | instid1(VALU_DEP_4)
	v_sub_nc_u32_e32 v7, v2, v7
	v_mul_lo_u32 v6, v6, s18
	v_lshrrev_b32_e32 v9, s5, v9
	v_mul_lo_u32 v8, v8, s9
	s_delay_alu instid0(VALU_DEP_2) | instskip(SKIP_2) | instid1(VALU_DEP_4)
	v_mul_lo_u32 v9, v9, s6
	v_mad_u32 v1, v2, s21, v1
	v_mad_u32 v7, v7, s17, v6
	v_sub_nc_u32_e32 v8, v4, v8
	s_delay_alu instid0(VALU_DEP_1) | instskip(SKIP_2) | instid1(VALU_DEP_2)
	v_mad_u32 v8, v8, s16, v7
	v_sub_nc_u32_e32 v6, v0, v9
	s_load_b512 s[4:19], s[0:1], 0xb8
	v_ashrrev_i32_e32 v9, 31, v8
	s_delay_alu instid0(VALU_DEP_2) | instskip(SKIP_2) | instid1(VALU_DEP_1)
	v_mul_lo_u32 v6, v6, s27
	s_wait_xcnt 0x0
	s_load_b64 s[0:1], s[0:1], 0x10
	v_ashrrev_i32_e32 v7, 31, v6
	s_delay_alu instid0(VALU_DEP_1) | instskip(NEXT) | instid1(VALU_DEP_1)
	v_add_nc_u64_e32 v[6:7], v[6:7], v[8:9]
	v_lshlrev_b64_e32 v[6:7], 2, v[6:7]
	s_wait_kmcnt 0x0
	s_delay_alu instid0(VALU_DEP_1)
	v_add_nc_u64_e32 v[8:9], s[4:5], v[6:7]
	v_add_nc_u64_e32 v[10:11], s[6:7], v[6:7]
	global_load_b32 v12, v[8:9], off
	s_wait_xcnt 0x0
	v_add_nc_u64_e32 v[8:9], s[8:9], v[6:7]
	global_load_b32 v13, v[10:11], off
	s_wait_xcnt 0x0
	v_add_nc_u64_e32 v[10:11], s[10:11], v[6:7]
	global_load_b32 v14, v[8:9], off
	s_wait_xcnt 0x0
	v_add_nc_u64_e32 v[8:9], s[12:13], v[6:7]
	global_load_b32 v15, v[10:11], off
	s_wait_xcnt 0x0
	v_add_nc_u64_e32 v[10:11], s[14:15], v[6:7]
	global_load_b32 v16, v[8:9], off
	s_wait_xcnt 0x0
	v_add_nc_u64_e32 v[8:9], s[16:17], v[6:7]
	global_load_b32 v10, v[10:11], off
	v_add_nc_u64_e32 v[6:7], s[18:19], v[6:7]
	global_load_b32 v11, v[8:9], off
	global_load_b32 v17, v[6:7], off
	s_wait_loadcnt 0x7
	v_add_f32_e32 v5, v5, v12
	s_wait_loadcnt 0x6
	s_delay_alu instid0(VALU_DEP_1) | instskip(SKIP_1) | instid1(VALU_DEP_1)
	v_add_f32_e32 v5, v5, v13
	s_wait_loadcnt 0x5
	v_add_f32_e32 v5, v5, v14
	s_wait_loadcnt 0x4
	s_delay_alu instid0(VALU_DEP_1) | instskip(SKIP_1) | instid1(VALU_DEP_1)
	v_add_f32_e32 v2, v5, v15
	s_wait_loadcnt 0x3
	v_add_f32_e32 v5, v2, v16
	v_mad_u32 v2, v4, s20, v1
	s_wait_loadcnt 0x2
	s_delay_alu instid0(VALU_DEP_2) | instskip(SKIP_1) | instid1(VALU_DEP_1)
	v_add_f32_e32 v1, v5, v10
	s_wait_loadcnt 0x1
	v_dual_add_f32 v4, v1, v11 :: v_dual_mov_b32 v1, v3
	s_delay_alu instid0(VALU_DEP_3) | instskip(SKIP_1) | instid1(VALU_DEP_2)
	v_lshl_add_u64 v[2:3], v[2:3], 1, s[0:1]
	s_wait_loadcnt 0x0
	v_add_f32_e32 v4, v4, v17
	s_delay_alu instid0(VALU_DEP_2) | instskip(NEXT) | instid1(VALU_DEP_2)
	v_lshl_add_u64 v[0:1], v[0:1], 1, v[2:3]
	v_cvt_f16_f32_e32 v4, v4
	global_store_b16 v[0:1], v4, off
.LBB92_4:
	s_endpgm
	.section	.rodata,"a",@progbits
	.p2align	6, 0x0
	.amdhsa_kernel _ZL19k_bin_bcast_unravelIXadL_ZL6op_addffEE6__halffS0_JPKfS2_S2_S2_S2_S2_S2_S2_EEvPKT0_PKT1_PT2_15HIP_vector_typeIjLj3EESC_SC_jSC_SC_SC_SC_SC_SC_iiiiiiiiiiiDpT3_
		.amdhsa_group_segment_fixed_size 0
		.amdhsa_private_segment_fixed_size 0
		.amdhsa_kernarg_size 504
		.amdhsa_user_sgpr_count 2
		.amdhsa_user_sgpr_dispatch_ptr 0
		.amdhsa_user_sgpr_queue_ptr 0
		.amdhsa_user_sgpr_kernarg_segment_ptr 1
		.amdhsa_user_sgpr_dispatch_id 0
		.amdhsa_user_sgpr_kernarg_preload_length 0
		.amdhsa_user_sgpr_kernarg_preload_offset 0
		.amdhsa_user_sgpr_private_segment_size 0
		.amdhsa_wavefront_size32 1
		.amdhsa_uses_dynamic_stack 0
		.amdhsa_enable_private_segment 0
		.amdhsa_system_sgpr_workgroup_id_x 1
		.amdhsa_system_sgpr_workgroup_id_y 0
		.amdhsa_system_sgpr_workgroup_id_z 0
		.amdhsa_system_sgpr_workgroup_info 0
		.amdhsa_system_vgpr_workitem_id 0
		.amdhsa_next_free_vgpr 18
		.amdhsa_next_free_sgpr 28
		.amdhsa_named_barrier_count 0
		.amdhsa_reserve_vcc 1
		.amdhsa_float_round_mode_32 0
		.amdhsa_float_round_mode_16_64 0
		.amdhsa_float_denorm_mode_32 3
		.amdhsa_float_denorm_mode_16_64 3
		.amdhsa_fp16_overflow 0
		.amdhsa_memory_ordered 1
		.amdhsa_forward_progress 1
		.amdhsa_inst_pref_size 8
		.amdhsa_round_robin_scheduling 0
		.amdhsa_exception_fp_ieee_invalid_op 0
		.amdhsa_exception_fp_denorm_src 0
		.amdhsa_exception_fp_ieee_div_zero 0
		.amdhsa_exception_fp_ieee_overflow 0
		.amdhsa_exception_fp_ieee_underflow 0
		.amdhsa_exception_fp_ieee_inexact 0
		.amdhsa_exception_int_div_zero 0
	.end_amdhsa_kernel
	.section	.text._ZL19k_bin_bcast_unravelIXadL_ZL6op_addffEE6__halffS0_JPKfS2_S2_S2_S2_S2_S2_S2_EEvPKT0_PKT1_PT2_15HIP_vector_typeIjLj3EESC_SC_jSC_SC_SC_SC_SC_SC_iiiiiiiiiiiDpT3_,"axG",@progbits,_ZL19k_bin_bcast_unravelIXadL_ZL6op_addffEE6__halffS0_JPKfS2_S2_S2_S2_S2_S2_S2_EEvPKT0_PKT1_PT2_15HIP_vector_typeIjLj3EESC_SC_jSC_SC_SC_SC_SC_SC_iiiiiiiiiiiDpT3_,comdat
.Lfunc_end92:
	.size	_ZL19k_bin_bcast_unravelIXadL_ZL6op_addffEE6__halffS0_JPKfS2_S2_S2_S2_S2_S2_S2_EEvPKT0_PKT1_PT2_15HIP_vector_typeIjLj3EESC_SC_jSC_SC_SC_SC_SC_SC_iiiiiiiiiiiDpT3_, .Lfunc_end92-_ZL19k_bin_bcast_unravelIXadL_ZL6op_addffEE6__halffS0_JPKfS2_S2_S2_S2_S2_S2_S2_EEvPKT0_PKT1_PT2_15HIP_vector_typeIjLj3EESC_SC_jSC_SC_SC_SC_SC_SC_iiiiiiiiiiiDpT3_
                                        ; -- End function
	.set _ZL19k_bin_bcast_unravelIXadL_ZL6op_addffEE6__halffS0_JPKfS2_S2_S2_S2_S2_S2_S2_EEvPKT0_PKT1_PT2_15HIP_vector_typeIjLj3EESC_SC_jSC_SC_SC_SC_SC_SC_iiiiiiiiiiiDpT3_.num_vgpr, 18
	.set _ZL19k_bin_bcast_unravelIXadL_ZL6op_addffEE6__halffS0_JPKfS2_S2_S2_S2_S2_S2_S2_EEvPKT0_PKT1_PT2_15HIP_vector_typeIjLj3EESC_SC_jSC_SC_SC_SC_SC_SC_iiiiiiiiiiiDpT3_.num_agpr, 0
	.set _ZL19k_bin_bcast_unravelIXadL_ZL6op_addffEE6__halffS0_JPKfS2_S2_S2_S2_S2_S2_S2_EEvPKT0_PKT1_PT2_15HIP_vector_typeIjLj3EESC_SC_jSC_SC_SC_SC_SC_SC_iiiiiiiiiiiDpT3_.numbered_sgpr, 28
	.set _ZL19k_bin_bcast_unravelIXadL_ZL6op_addffEE6__halffS0_JPKfS2_S2_S2_S2_S2_S2_S2_EEvPKT0_PKT1_PT2_15HIP_vector_typeIjLj3EESC_SC_jSC_SC_SC_SC_SC_SC_iiiiiiiiiiiDpT3_.num_named_barrier, 0
	.set _ZL19k_bin_bcast_unravelIXadL_ZL6op_addffEE6__halffS0_JPKfS2_S2_S2_S2_S2_S2_S2_EEvPKT0_PKT1_PT2_15HIP_vector_typeIjLj3EESC_SC_jSC_SC_SC_SC_SC_SC_iiiiiiiiiiiDpT3_.private_seg_size, 0
	.set _ZL19k_bin_bcast_unravelIXadL_ZL6op_addffEE6__halffS0_JPKfS2_S2_S2_S2_S2_S2_S2_EEvPKT0_PKT1_PT2_15HIP_vector_typeIjLj3EESC_SC_jSC_SC_SC_SC_SC_SC_iiiiiiiiiiiDpT3_.uses_vcc, 1
	.set _ZL19k_bin_bcast_unravelIXadL_ZL6op_addffEE6__halffS0_JPKfS2_S2_S2_S2_S2_S2_S2_EEvPKT0_PKT1_PT2_15HIP_vector_typeIjLj3EESC_SC_jSC_SC_SC_SC_SC_SC_iiiiiiiiiiiDpT3_.uses_flat_scratch, 0
	.set _ZL19k_bin_bcast_unravelIXadL_ZL6op_addffEE6__halffS0_JPKfS2_S2_S2_S2_S2_S2_S2_EEvPKT0_PKT1_PT2_15HIP_vector_typeIjLj3EESC_SC_jSC_SC_SC_SC_SC_SC_iiiiiiiiiiiDpT3_.has_dyn_sized_stack, 0
	.set _ZL19k_bin_bcast_unravelIXadL_ZL6op_addffEE6__halffS0_JPKfS2_S2_S2_S2_S2_S2_S2_EEvPKT0_PKT1_PT2_15HIP_vector_typeIjLj3EESC_SC_jSC_SC_SC_SC_SC_SC_iiiiiiiiiiiDpT3_.has_recursion, 0
	.set _ZL19k_bin_bcast_unravelIXadL_ZL6op_addffEE6__halffS0_JPKfS2_S2_S2_S2_S2_S2_S2_EEvPKT0_PKT1_PT2_15HIP_vector_typeIjLj3EESC_SC_jSC_SC_SC_SC_SC_SC_iiiiiiiiiiiDpT3_.has_indirect_call, 0
	.section	.AMDGPU.csdata,"",@progbits
; Kernel info:
; codeLenInByte = 940
; TotalNumSgprs: 30
; NumVgprs: 18
; ScratchSize: 0
; MemoryBound: 0
; FloatMode: 240
; IeeeMode: 1
; LDSByteSize: 0 bytes/workgroup (compile time only)
; SGPRBlocks: 0
; VGPRBlocks: 1
; NumSGPRsForWavesPerEU: 30
; NumVGPRsForWavesPerEU: 18
; NamedBarCnt: 0
; Occupancy: 16
; WaveLimiterHint : 1
; COMPUTE_PGM_RSRC2:SCRATCH_EN: 0
; COMPUTE_PGM_RSRC2:USER_SGPR: 2
; COMPUTE_PGM_RSRC2:TRAP_HANDLER: 0
; COMPUTE_PGM_RSRC2:TGID_X_EN: 1
; COMPUTE_PGM_RSRC2:TGID_Y_EN: 0
; COMPUTE_PGM_RSRC2:TGID_Z_EN: 0
; COMPUTE_PGM_RSRC2:TIDIG_COMP_CNT: 0
	.section	.text._ZL11k_bin_bcastIXadL_ZL6op_addffEE6__halffS0_JPKfS2_S2_S2_S2_S2_S2_S2_EEvPKT0_PKT1_PT2_iii15HIP_vector_typeIjLj3EESC_SC_SC_SC_iiiiiiiiiiiDpT3_,"axG",@progbits,_ZL11k_bin_bcastIXadL_ZL6op_addffEE6__halffS0_JPKfS2_S2_S2_S2_S2_S2_S2_EEvPKT0_PKT1_PT2_iii15HIP_vector_typeIjLj3EESC_SC_SC_SC_iiiiiiiiiiiDpT3_,comdat
	.globl	_ZL11k_bin_bcastIXadL_ZL6op_addffEE6__halffS0_JPKfS2_S2_S2_S2_S2_S2_S2_EEvPKT0_PKT1_PT2_iii15HIP_vector_typeIjLj3EESC_SC_SC_SC_iiiiiiiiiiiDpT3_ ; -- Begin function _ZL11k_bin_bcastIXadL_ZL6op_addffEE6__halffS0_JPKfS2_S2_S2_S2_S2_S2_S2_EEvPKT0_PKT1_PT2_iii15HIP_vector_typeIjLj3EESC_SC_SC_SC_iiiiiiiiiiiDpT3_
	.p2align	8
	.type	_ZL11k_bin_bcastIXadL_ZL6op_addffEE6__halffS0_JPKfS2_S2_S2_S2_S2_S2_S2_EEvPKT0_PKT1_PT2_iii15HIP_vector_typeIjLj3EESC_SC_SC_SC_iiiiiiiiiiiDpT3_,@function
_ZL11k_bin_bcastIXadL_ZL6op_addffEE6__halffS0_JPKfS2_S2_S2_S2_S2_S2_S2_EEvPKT0_PKT1_PT2_iii15HIP_vector_typeIjLj3EESC_SC_SC_SC_iiiiiiiiiiiDpT3_: ; @_ZL11k_bin_bcastIXadL_ZL6op_addffEE6__halffS0_JPKfS2_S2_S2_S2_S2_S2_S2_EEvPKT0_PKT1_PT2_iii15HIP_vector_typeIjLj3EESC_SC_SC_SC_iiiiiiiiiiiDpT3_
; %bb.0:
	s_load_b64 s[2:3], s[0:1], 0xdc
	s_bfe_u32 s5, ttmp6, 0x40014
	s_bfe_u32 s8, ttmp6, 0x40010
	;; [unrolled: 1-line block ×3, first 2 shown]
	s_lshr_b32 s4, ttmp7, 16
	s_add_co_i32 s5, s5, 1
	s_and_b32 s7, ttmp7, 0xffff
	s_load_b256 s[20:27], s[0:1], 0x18
	s_add_co_i32 s8, s8, 1
	s_add_co_i32 s11, s11, 1
	s_bfe_u32 s6, ttmp6, 0x40008
	s_mul_i32 s5, s4, s5
	s_bfe_u32 s9, ttmp6, 0x40004
	s_and_b32 s10, ttmp6, 15
	s_mul_i32 s8, s7, s8
	s_mul_i32 s11, ttmp9, s11
	s_add_co_i32 s6, s6, s5
	s_add_co_i32 s9, s9, s8
	;; [unrolled: 1-line block ×3, first 2 shown]
	v_bfe_u32 v1, v0, 20, 10
	s_wait_kmcnt 0x0
	s_lshr_b32 s5, s2, 16
	s_and_b32 s28, s2, 0xffff
	s_getreg_b32 s2, hwreg(HW_REG_IB_STS2, 6, 4)
	s_and_b32 s3, s3, 0xffff
	s_cmp_eq_u32 s2, 0
	v_and_b32_e32 v2, 0x3ff, v0
	s_cselect_b32 s2, s4, s6
	v_bfe_u32 v4, v0, 10, 10
	v_mad_u32 v3, s2, s3, v1
	s_cselect_b32 s2, ttmp9, s10
	s_cselect_b32 s3, s7, s9
	v_mad_u32 v0, s2, s28, v2
	v_mad_u32 v2, s3, s5, v4
	s_delay_alu instid0(VALU_DEP_3) | instskip(NEXT) | instid1(VALU_DEP_3)
	v_mul_hi_u32 v1, v3, s23
	v_cmp_gt_u32_e32 vcc_lo, s20, v0
	s_delay_alu instid0(VALU_DEP_3) | instskip(SKIP_2) | instid1(VALU_DEP_1)
	v_cmp_gt_u32_e64 s2, s21, v2
	s_and_b32 s2, vcc_lo, s2
	v_add_nc_u32_e32 v1, v3, v1
	v_lshrrev_b32_e32 v1, s24, v1
	s_delay_alu instid0(VALU_DEP_1) | instskip(SKIP_3) | instid1(VALU_DEP_1)
	v_mul_lo_u32 v5, v1, s25
	v_cmp_gt_u32_e64 s3, s22, v1
	s_and_b32 s2, s2, s3
	v_sub_nc_u32_e32 v3, v3, v5
	v_cmp_gt_u32_e64 s4, s25, v3
	s_and_b32 s2, s2, s4
	s_delay_alu instid0(SALU_CYCLE_1)
	s_and_saveexec_b32 s3, s2
	s_cbranch_execz .LBB93_6
; %bb.1:
	v_cmp_gt_i32_e32 vcc_lo, s20, v0
	s_and_b32 exec_lo, exec_lo, vcc_lo
	s_cbranch_execz .LBB93_6
; %bb.2:
	s_clause 0x4
	s_load_b256 s[4:11], s[0:1], 0x3c
	s_load_b32 s2, s[0:1], 0x5c
	s_load_b256 s[36:43], s[0:1], 0x60
	s_load_b96 s[44:46], s[0:1], 0x80
	s_load_b64 s[22:23], s[0:1], 0x10
	s_wait_kmcnt 0x0
	v_mul_hi_u32 v4, s10, v3
	v_mul_hi_u32 v5, s7, v1
	;; [unrolled: 1-line block ×3, first 2 shown]
	v_mul_lo_u32 v7, v2, s40
	v_mul_lo_u32 v8, v2, s36
	s_delay_alu instid0(VALU_DEP_4) | instskip(NEXT) | instid1(VALU_DEP_3)
	v_dual_add_nc_u32 v4, v3, v4 :: v_dual_add_nc_u32 v5, v1, v5
	v_mad_u32 v7, v1, s41, v7
	s_delay_alu instid0(VALU_DEP_3) | instskip(NEXT) | instid1(VALU_DEP_3)
	v_mad_u32 v8, v1, s37, v8
	v_dual_lshrrev_b32 v4, s11, v4 :: v_dual_lshrrev_b32 v5, s8, v5
	s_delay_alu instid0(VALU_DEP_1) | instskip(SKIP_1) | instid1(VALU_DEP_3)
	v_mul_lo_u32 v4, v4, s2
	v_add_nc_u32_e32 v6, v2, v6
	v_mul_lo_u32 v5, v5, s9
	s_load_b64 s[2:3], s[0:1], 0x0
	v_mad_u32 v8, v3, s38, v8
	s_delay_alu instid0(VALU_DEP_3) | instskip(NEXT) | instid1(VALU_DEP_3)
	v_dual_sub_nc_u32 v4, v3, v4 :: v_dual_lshrrev_b32 v6, s5, v6
	v_sub_nc_u32_e32 v5, v1, v5
	s_add_nc_u64 s[4:5], s[0:1], 0xd0
	s_load_b32 s21, s[4:5], 0x0
	s_load_b32 s24, s[0:1], 0x38
	v_mul_lo_u32 v9, v4, s46
	v_mul_lo_u32 v6, v6, s6
	v_mad_u32 v4, v3, s42, v7
	s_wait_xcnt 0x0
	s_load_b512 s[4:19], s[0:1], 0x90
	v_mov_b32_e32 v1, 0
	s_wait_xcnt 0x0
	s_mov_b32 s1, 0
	s_wait_kmcnt 0x0
	s_cmp_lg_u64 s[2:3], 0
	s_mov_b32 s0, s26
	v_mad_u32 v7, v5, s45, v9
	v_sub_nc_u32_e32 v2, v2, v6
	v_mul_lo_u32 v6, s39, v0
	v_dual_mov_b32 v5, v1 :: v_dual_mov_b32 v9, v1
	v_mov_b32_e32 v3, v1
	s_delay_alu instid0(VALU_DEP_2) | instskip(NEXT) | instid1(VALU_DEP_3)
	v_lshl_add_u64 v[4:5], v[4:5], 1, s[2:3]
	v_lshl_add_u64 v[8:9], v[8:9], 1, s[22:23]
	s_mul_i32 s2, s21, s28
	v_mad_u32 v2, v2, s44, v7
	s_cselect_b32 s3, -1, 0
	s_mul_i32 s21, s2, s39
	s_sub_co_i32 s22, 0, s24
	s_mov_b32 s23, s1
	s_branch .LBB93_4
.LBB93_3:                               ;   in Loop: Header=BB93_4 Depth=1
	s_wait_xcnt 0x0
	v_mul_u64_e32 v[10:11], s[0:1], v[0:1]
	s_delay_alu instid0(VALU_DEP_1) | instskip(NEXT) | instid1(VALU_DEP_1)
	v_dual_add_nc_u32 v6, s21, v6 :: v_dual_add_nc_u32 v10, v0, v11
	v_dual_mov_b32 v11, v1 :: v_dual_lshrrev_b32 v10, s27, v10
	s_delay_alu instid0(VALU_DEP_1) | instskip(NEXT) | instid1(VALU_DEP_1)
	v_mad_u32 v10, s22, v10, v0
	v_mul_lo_u32 v10, v10, s43
	s_delay_alu instid0(VALU_DEP_1) | instskip(NEXT) | instid1(VALU_DEP_1)
	v_add_nc_u64_e32 v[10:11], v[10:11], v[2:3]
	v_lshlrev_b64_e32 v[10:11], 2, v[10:11]
	s_delay_alu instid0(VALU_DEP_1)
	v_add_nc_u64_e32 v[12:13], s[4:5], v[10:11]
	v_add_nc_u64_e32 v[14:15], s[6:7], v[10:11]
	global_load_b32 v16, v[12:13], off
	s_wait_xcnt 0x0
	v_add_nc_u64_e32 v[12:13], s[8:9], v[10:11]
	global_load_b32 v17, v[14:15], off
	s_wait_xcnt 0x0
	;; [unrolled: 3-line block ×5, first 2 shown]
	v_add_nc_u64_e32 v[12:13], s[16:17], v[10:11]
	global_load_b32 v14, v[14:15], off
	v_add_nc_u64_e32 v[10:11], s[18:19], v[10:11]
	global_load_b32 v15, v[12:13], off
	global_load_b32 v21, v[10:11], off
	s_wait_xcnt 0x0
	v_dual_mov_b32 v10, v0 :: v_dual_ashrrev_i32 v11, 31, v0
	v_add_nc_u32_e32 v0, s2, v0
	s_delay_alu instid0(VALU_DEP_2) | instskip(NEXT) | instid1(VALU_DEP_2)
	v_lshl_add_u64 v[10:11], v[10:11], 1, v[8:9]
	v_cmp_le_i32_e32 vcc_lo, s20, v0
	s_or_b32 s23, vcc_lo, s23
	s_wait_loadcnt 0x7
	v_add_f32_e32 v7, v7, v16
	s_wait_loadcnt 0x6
	s_delay_alu instid0(VALU_DEP_1) | instskip(SKIP_1) | instid1(VALU_DEP_1)
	v_add_f32_e32 v7, v7, v17
	s_wait_loadcnt 0x5
	v_add_f32_e32 v7, v7, v18
	s_wait_loadcnt 0x4
	s_delay_alu instid0(VALU_DEP_1) | instskip(SKIP_1) | instid1(VALU_DEP_1)
	v_add_f32_e32 v7, v7, v19
	s_wait_loadcnt 0x3
	v_add_f32_e32 v7, v7, v20
	s_wait_loadcnt 0x2
	s_delay_alu instid0(VALU_DEP_1) | instskip(SKIP_1) | instid1(VALU_DEP_1)
	v_add_f32_e32 v7, v7, v14
	s_wait_loadcnt 0x1
	v_add_f32_e32 v7, v7, v15
	s_wait_loadcnt 0x0
	s_delay_alu instid0(VALU_DEP_1) | instskip(NEXT) | instid1(VALU_DEP_1)
	v_add_f32_e32 v7, v7, v21
	v_cvt_f16_f32_e32 v7, v7
	global_store_b16 v[10:11], v7, off
	s_wait_xcnt 0x0
	s_and_not1_b32 exec_lo, exec_lo, s23
	s_cbranch_execz .LBB93_6
.LBB93_4:                               ; =>This Inner Loop Header: Depth=1
	v_mov_b32_e32 v7, 0
	s_and_not1_b32 vcc_lo, exec_lo, s3
	s_cbranch_vccnz .LBB93_3
; %bb.5:                                ;   in Loop: Header=BB93_4 Depth=1
	v_ashrrev_i32_e32 v7, 31, v6
	s_delay_alu instid0(VALU_DEP_1)
	v_lshl_add_u64 v[10:11], v[6:7], 1, v[4:5]
	global_load_u16 v7, v[10:11], off
	s_wait_loadcnt 0x0
	v_cvt_f32_f16_e32 v7, v7
	s_branch .LBB93_3
.LBB93_6:
	s_endpgm
	.section	.rodata,"a",@progbits
	.p2align	6, 0x0
	.amdhsa_kernel _ZL11k_bin_bcastIXadL_ZL6op_addffEE6__halffS0_JPKfS2_S2_S2_S2_S2_S2_S2_EEvPKT0_PKT1_PT2_iii15HIP_vector_typeIjLj3EESC_SC_SC_SC_iiiiiiiiiiiDpT3_
		.amdhsa_group_segment_fixed_size 0
		.amdhsa_private_segment_fixed_size 0
		.amdhsa_kernarg_size 464
		.amdhsa_user_sgpr_count 2
		.amdhsa_user_sgpr_dispatch_ptr 0
		.amdhsa_user_sgpr_queue_ptr 0
		.amdhsa_user_sgpr_kernarg_segment_ptr 1
		.amdhsa_user_sgpr_dispatch_id 0
		.amdhsa_user_sgpr_kernarg_preload_length 0
		.amdhsa_user_sgpr_kernarg_preload_offset 0
		.amdhsa_user_sgpr_private_segment_size 0
		.amdhsa_wavefront_size32 1
		.amdhsa_uses_dynamic_stack 0
		.amdhsa_enable_private_segment 0
		.amdhsa_system_sgpr_workgroup_id_x 1
		.amdhsa_system_sgpr_workgroup_id_y 1
		.amdhsa_system_sgpr_workgroup_id_z 1
		.amdhsa_system_sgpr_workgroup_info 0
		.amdhsa_system_vgpr_workitem_id 2
		.amdhsa_next_free_vgpr 22
		.amdhsa_next_free_sgpr 47
		.amdhsa_named_barrier_count 0
		.amdhsa_reserve_vcc 1
		.amdhsa_float_round_mode_32 0
		.amdhsa_float_round_mode_16_64 0
		.amdhsa_float_denorm_mode_32 3
		.amdhsa_float_denorm_mode_16_64 3
		.amdhsa_fp16_overflow 0
		.amdhsa_memory_ordered 1
		.amdhsa_forward_progress 1
		.amdhsa_inst_pref_size 9
		.amdhsa_round_robin_scheduling 0
		.amdhsa_exception_fp_ieee_invalid_op 0
		.amdhsa_exception_fp_denorm_src 0
		.amdhsa_exception_fp_ieee_div_zero 0
		.amdhsa_exception_fp_ieee_overflow 0
		.amdhsa_exception_fp_ieee_underflow 0
		.amdhsa_exception_fp_ieee_inexact 0
		.amdhsa_exception_int_div_zero 0
	.end_amdhsa_kernel
	.section	.text._ZL11k_bin_bcastIXadL_ZL6op_addffEE6__halffS0_JPKfS2_S2_S2_S2_S2_S2_S2_EEvPKT0_PKT1_PT2_iii15HIP_vector_typeIjLj3EESC_SC_SC_SC_iiiiiiiiiiiDpT3_,"axG",@progbits,_ZL11k_bin_bcastIXadL_ZL6op_addffEE6__halffS0_JPKfS2_S2_S2_S2_S2_S2_S2_EEvPKT0_PKT1_PT2_iii15HIP_vector_typeIjLj3EESC_SC_SC_SC_iiiiiiiiiiiDpT3_,comdat
.Lfunc_end93:
	.size	_ZL11k_bin_bcastIXadL_ZL6op_addffEE6__halffS0_JPKfS2_S2_S2_S2_S2_S2_S2_EEvPKT0_PKT1_PT2_iii15HIP_vector_typeIjLj3EESC_SC_SC_SC_iiiiiiiiiiiDpT3_, .Lfunc_end93-_ZL11k_bin_bcastIXadL_ZL6op_addffEE6__halffS0_JPKfS2_S2_S2_S2_S2_S2_S2_EEvPKT0_PKT1_PT2_iii15HIP_vector_typeIjLj3EESC_SC_SC_SC_iiiiiiiiiiiDpT3_
                                        ; -- End function
	.set _ZL11k_bin_bcastIXadL_ZL6op_addffEE6__halffS0_JPKfS2_S2_S2_S2_S2_S2_S2_EEvPKT0_PKT1_PT2_iii15HIP_vector_typeIjLj3EESC_SC_SC_SC_iiiiiiiiiiiDpT3_.num_vgpr, 22
	.set _ZL11k_bin_bcastIXadL_ZL6op_addffEE6__halffS0_JPKfS2_S2_S2_S2_S2_S2_S2_EEvPKT0_PKT1_PT2_iii15HIP_vector_typeIjLj3EESC_SC_SC_SC_iiiiiiiiiiiDpT3_.num_agpr, 0
	.set _ZL11k_bin_bcastIXadL_ZL6op_addffEE6__halffS0_JPKfS2_S2_S2_S2_S2_S2_S2_EEvPKT0_PKT1_PT2_iii15HIP_vector_typeIjLj3EESC_SC_SC_SC_iiiiiiiiiiiDpT3_.numbered_sgpr, 47
	.set _ZL11k_bin_bcastIXadL_ZL6op_addffEE6__halffS0_JPKfS2_S2_S2_S2_S2_S2_S2_EEvPKT0_PKT1_PT2_iii15HIP_vector_typeIjLj3EESC_SC_SC_SC_iiiiiiiiiiiDpT3_.num_named_barrier, 0
	.set _ZL11k_bin_bcastIXadL_ZL6op_addffEE6__halffS0_JPKfS2_S2_S2_S2_S2_S2_S2_EEvPKT0_PKT1_PT2_iii15HIP_vector_typeIjLj3EESC_SC_SC_SC_iiiiiiiiiiiDpT3_.private_seg_size, 0
	.set _ZL11k_bin_bcastIXadL_ZL6op_addffEE6__halffS0_JPKfS2_S2_S2_S2_S2_S2_S2_EEvPKT0_PKT1_PT2_iii15HIP_vector_typeIjLj3EESC_SC_SC_SC_iiiiiiiiiiiDpT3_.uses_vcc, 1
	.set _ZL11k_bin_bcastIXadL_ZL6op_addffEE6__halffS0_JPKfS2_S2_S2_S2_S2_S2_S2_EEvPKT0_PKT1_PT2_iii15HIP_vector_typeIjLj3EESC_SC_SC_SC_iiiiiiiiiiiDpT3_.uses_flat_scratch, 0
	.set _ZL11k_bin_bcastIXadL_ZL6op_addffEE6__halffS0_JPKfS2_S2_S2_S2_S2_S2_S2_EEvPKT0_PKT1_PT2_iii15HIP_vector_typeIjLj3EESC_SC_SC_SC_iiiiiiiiiiiDpT3_.has_dyn_sized_stack, 0
	.set _ZL11k_bin_bcastIXadL_ZL6op_addffEE6__halffS0_JPKfS2_S2_S2_S2_S2_S2_S2_EEvPKT0_PKT1_PT2_iii15HIP_vector_typeIjLj3EESC_SC_SC_SC_iiiiiiiiiiiDpT3_.has_recursion, 0
	.set _ZL11k_bin_bcastIXadL_ZL6op_addffEE6__halffS0_JPKfS2_S2_S2_S2_S2_S2_S2_EEvPKT0_PKT1_PT2_iii15HIP_vector_typeIjLj3EESC_SC_SC_SC_iiiiiiiiiiiDpT3_.has_indirect_call, 0
	.section	.AMDGPU.csdata,"",@progbits
; Kernel info:
; codeLenInByte = 1088
; TotalNumSgprs: 49
; NumVgprs: 22
; ScratchSize: 0
; MemoryBound: 0
; FloatMode: 240
; IeeeMode: 1
; LDSByteSize: 0 bytes/workgroup (compile time only)
; SGPRBlocks: 0
; VGPRBlocks: 1
; NumSGPRsForWavesPerEU: 49
; NumVGPRsForWavesPerEU: 22
; NamedBarCnt: 0
; Occupancy: 16
; WaveLimiterHint : 1
; COMPUTE_PGM_RSRC2:SCRATCH_EN: 0
; COMPUTE_PGM_RSRC2:USER_SGPR: 2
; COMPUTE_PGM_RSRC2:TRAP_HANDLER: 0
; COMPUTE_PGM_RSRC2:TGID_X_EN: 1
; COMPUTE_PGM_RSRC2:TGID_Y_EN: 1
; COMPUTE_PGM_RSRC2:TGID_Z_EN: 1
; COMPUTE_PGM_RSRC2:TIDIG_COMP_CNT: 2
	.section	.text._ZL19k_bin_bcast_unravelIXadL_ZL6op_addffEE6__halfffJPKfS2_S2_S2_S2_S2_S2_S2_EEvPKT0_PKT1_PT2_15HIP_vector_typeIjLj3EESC_SC_jSC_SC_SC_SC_SC_SC_iiiiiiiiiiiDpT3_,"axG",@progbits,_ZL19k_bin_bcast_unravelIXadL_ZL6op_addffEE6__halfffJPKfS2_S2_S2_S2_S2_S2_S2_EEvPKT0_PKT1_PT2_15HIP_vector_typeIjLj3EESC_SC_jSC_SC_SC_SC_SC_SC_iiiiiiiiiiiDpT3_,comdat
	.globl	_ZL19k_bin_bcast_unravelIXadL_ZL6op_addffEE6__halfffJPKfS2_S2_S2_S2_S2_S2_S2_EEvPKT0_PKT1_PT2_15HIP_vector_typeIjLj3EESC_SC_jSC_SC_SC_SC_SC_SC_iiiiiiiiiiiDpT3_ ; -- Begin function _ZL19k_bin_bcast_unravelIXadL_ZL6op_addffEE6__halfffJPKfS2_S2_S2_S2_S2_S2_S2_EEvPKT0_PKT1_PT2_15HIP_vector_typeIjLj3EESC_SC_jSC_SC_SC_SC_SC_SC_iiiiiiiiiiiDpT3_
	.p2align	8
	.type	_ZL19k_bin_bcast_unravelIXadL_ZL6op_addffEE6__halfffJPKfS2_S2_S2_S2_S2_S2_S2_EEvPKT0_PKT1_PT2_15HIP_vector_typeIjLj3EESC_SC_jSC_SC_SC_SC_SC_SC_iiiiiiiiiiiDpT3_,@function
_ZL19k_bin_bcast_unravelIXadL_ZL6op_addffEE6__halfffJPKfS2_S2_S2_S2_S2_S2_S2_EEvPKT0_PKT1_PT2_15HIP_vector_typeIjLj3EESC_SC_jSC_SC_SC_SC_SC_SC_iiiiiiiiiiiDpT3_: ; @_ZL19k_bin_bcast_unravelIXadL_ZL6op_addffEE6__halfffJPKfS2_S2_S2_S2_S2_S2_S2_EEvPKT0_PKT1_PT2_15HIP_vector_typeIjLj3EESC_SC_jSC_SC_SC_SC_SC_SC_iiiiiiiiiiiDpT3_
; %bb.0:
	s_load_b32 s2, s[0:1], 0x104
	s_bfe_u32 s3, ttmp6, 0x4000c
	s_load_b256 s[4:11], s[0:1], 0x38
	s_add_co_i32 s3, s3, 1
	s_and_b32 s12, ttmp6, 15
	s_mul_i32 s3, ttmp9, s3
	s_getreg_b32 s13, hwreg(HW_REG_IB_STS2, 6, 4)
	s_add_co_i32 s12, s12, s3
	s_wait_kmcnt 0x0
	s_and_b32 s2, s2, 0xffff
	s_cmp_eq_u32 s13, 0
	s_cselect_b32 s3, ttmp9, s12
	s_delay_alu instid0(SALU_CYCLE_1) | instskip(SKIP_1) | instid1(VALU_DEP_1)
	v_mad_u32 v0, s3, s2, v0
	s_load_b32 s2, s[0:1], 0x2c
	v_mul_hi_u32 v1, v0, s6
	s_delay_alu instid0(VALU_DEP_1) | instskip(NEXT) | instid1(VALU_DEP_1)
	v_add_nc_u32_e32 v1, v0, v1
	v_lshrrev_b32_e32 v1, s7, v1
	s_delay_alu instid0(VALU_DEP_1) | instskip(NEXT) | instid1(VALU_DEP_1)
	v_mul_lo_u32 v2, v1, s8
	v_sub_nc_u32_e32 v0, v0, v2
	s_delay_alu instid0(VALU_DEP_1) | instskip(NEXT) | instid1(VALU_DEP_1)
	v_mul_hi_u32 v2, v0, s9
	v_add_nc_u32_e32 v2, v0, v2
	s_delay_alu instid0(VALU_DEP_1) | instskip(SKIP_1) | instid1(VALU_DEP_1)
	v_lshrrev_b32_e32 v2, s10, v2
	s_load_b96 s[8:10], s[0:1], 0x18
	v_mul_lo_u32 v3, v2, s11
	s_delay_alu instid0(VALU_DEP_1) | instskip(SKIP_3) | instid1(VALU_DEP_3)
	v_sub_nc_u32_e32 v0, v0, v3
	v_cmp_gt_u32_e64 s3, s4, v2
	v_cmp_gt_u32_e64 s4, s5, v1
	s_wait_kmcnt 0x0
	v_mul_hi_u32 v3, v0, s8
	s_delay_alu instid0(VALU_DEP_1) | instskip(NEXT) | instid1(VALU_DEP_1)
	v_add_nc_u32_e32 v3, v0, v3
	v_lshrrev_b32_e32 v4, s9, v3
	s_delay_alu instid0(VALU_DEP_1) | instskip(NEXT) | instid1(VALU_DEP_1)
	v_mul_lo_u32 v3, v4, s10
	v_sub_nc_u32_e32 v0, v0, v3
	v_cmp_gt_u32_e64 s2, s2, v4
	s_delay_alu instid0(VALU_DEP_2) | instskip(SKIP_1) | instid1(SALU_CYCLE_1)
	v_cmp_gt_u32_e32 vcc_lo, s10, v0
	s_and_b32 s2, vcc_lo, s2
	s_and_b32 s2, s2, s3
	s_delay_alu instid0(SALU_CYCLE_1) | instskip(NEXT) | instid1(SALU_CYCLE_1)
	s_and_b32 s2, s4, s2
	s_and_saveexec_b32 s3, s2
	s_cbranch_execz .LBB94_4
; %bb.1:
	s_clause 0x4
	s_load_b64 s[2:3], s[0:1], 0x0
	s_load_b96 s[16:18], s[0:1], 0xa8
	s_load_b256 s[20:27], s[0:1], 0x88
	s_load_b128 s[12:15], s[0:1], 0x78
	s_load_b256 s[4:11], s[0:1], 0x58
	v_dual_mov_b32 v3, 0 :: v_dual_mov_b32 v5, 0
	s_wait_kmcnt 0x0
	s_cmp_eq_u64 s[2:3], 0
	s_cbranch_scc1 .LBB94_3
; %bb.2:
	v_mul_lo_u32 v5, v1, s26
	v_mov_b32_e32 v7, 0
	s_delay_alu instid0(VALU_DEP_2) | instskip(NEXT) | instid1(VALU_DEP_1)
	v_mad_u32 v5, v2, s25, v5
	v_mad_u32 v6, v4, s24, v5
	s_delay_alu instid0(VALU_DEP_1) | instskip(SKIP_1) | instid1(VALU_DEP_1)
	v_lshl_add_u64 v[8:9], v[6:7], 1, s[2:3]
	v_mul_lo_u32 v6, v0, s23
	v_lshl_add_u64 v[6:7], v[6:7], 1, v[8:9]
	global_load_u16 v5, v[6:7], off
	s_wait_loadcnt 0x0
	v_cvt_f32_f16_e32 v5, v5
.LBB94_3:
	v_mul_hi_u32 v6, s13, v1
	v_mul_hi_u32 v7, s10, v2
	;; [unrolled: 1-line block ×4, first 2 shown]
	s_delay_alu instid0(VALU_DEP_3) | instskip(NEXT) | instid1(VALU_DEP_1)
	v_dual_add_nc_u32 v6, v1, v6 :: v_dual_add_nc_u32 v7, v2, v7
	v_dual_lshrrev_b32 v6, s14, v6 :: v_dual_lshrrev_b32 v7, s11, v7
	s_delay_alu instid0(VALU_DEP_1) | instskip(SKIP_1) | instid1(VALU_DEP_3)
	v_mul_lo_u32 v6, v6, s15
	v_add_nc_u32_e32 v8, v4, v8
	v_mul_lo_u32 v7, v7, s12
	s_delay_alu instid0(VALU_DEP_3) | instskip(NEXT) | instid1(VALU_DEP_3)
	v_dual_sub_nc_u32 v6, v1, v6 :: v_dual_add_nc_u32 v9, v0, v9
	v_lshrrev_b32_e32 v8, s8, v8
	v_mul_lo_u32 v1, v1, s22
	s_delay_alu instid0(VALU_DEP_4) | instskip(NEXT) | instid1(VALU_DEP_4)
	v_sub_nc_u32_e32 v7, v2, v7
	v_mul_lo_u32 v6, v6, s18
	v_lshrrev_b32_e32 v9, s5, v9
	v_mul_lo_u32 v8, v8, s9
	s_delay_alu instid0(VALU_DEP_2) | instskip(SKIP_2) | instid1(VALU_DEP_4)
	v_mul_lo_u32 v9, v9, s6
	v_mad_u32 v1, v2, s21, v1
	v_mad_u32 v7, v7, s17, v6
	v_sub_nc_u32_e32 v8, v4, v8
	s_delay_alu instid0(VALU_DEP_1) | instskip(SKIP_2) | instid1(VALU_DEP_2)
	v_mad_u32 v8, v8, s16, v7
	v_sub_nc_u32_e32 v6, v0, v9
	s_load_b512 s[4:19], s[0:1], 0xb8
	v_ashrrev_i32_e32 v9, 31, v8
	s_delay_alu instid0(VALU_DEP_2) | instskip(SKIP_2) | instid1(VALU_DEP_1)
	v_mul_lo_u32 v6, v6, s27
	s_wait_xcnt 0x0
	s_load_b64 s[0:1], s[0:1], 0x10
	v_ashrrev_i32_e32 v7, 31, v6
	s_delay_alu instid0(VALU_DEP_1) | instskip(NEXT) | instid1(VALU_DEP_1)
	v_add_nc_u64_e32 v[6:7], v[6:7], v[8:9]
	v_lshlrev_b64_e32 v[6:7], 2, v[6:7]
	s_wait_kmcnt 0x0
	s_delay_alu instid0(VALU_DEP_1)
	v_add_nc_u64_e32 v[8:9], s[4:5], v[6:7]
	v_add_nc_u64_e32 v[10:11], s[6:7], v[6:7]
	global_load_b32 v12, v[8:9], off
	s_wait_xcnt 0x0
	v_add_nc_u64_e32 v[8:9], s[8:9], v[6:7]
	global_load_b32 v13, v[10:11], off
	s_wait_xcnt 0x0
	;; [unrolled: 3-line block ×5, first 2 shown]
	v_add_nc_u64_e32 v[8:9], s[16:17], v[6:7]
	global_load_b32 v10, v[10:11], off
	v_add_nc_u64_e32 v[6:7], s[18:19], v[6:7]
	global_load_b32 v11, v[8:9], off
	global_load_b32 v17, v[6:7], off
	s_wait_loadcnt 0x7
	v_add_f32_e32 v5, v5, v12
	s_wait_loadcnt 0x6
	s_delay_alu instid0(VALU_DEP_1) | instskip(SKIP_1) | instid1(VALU_DEP_1)
	v_add_f32_e32 v5, v5, v13
	s_wait_loadcnt 0x5
	v_add_f32_e32 v2, v5, v14
	s_wait_loadcnt 0x4
	s_delay_alu instid0(VALU_DEP_1) | instskip(SKIP_2) | instid1(VALU_DEP_2)
	v_add_f32_e32 v5, v2, v15
	v_mad_u32 v2, v4, s20, v1
	s_wait_loadcnt 0x3
	v_add_f32_e32 v1, v5, v16
	s_wait_loadcnt 0x2
	s_delay_alu instid0(VALU_DEP_1) | instskip(NEXT) | instid1(VALU_DEP_3)
	v_dual_add_f32 v4, v1, v10 :: v_dual_mov_b32 v1, v3
	v_lshl_add_u64 v[2:3], v[2:3], 2, s[0:1]
	s_wait_loadcnt 0x1
	s_delay_alu instid0(VALU_DEP_2) | instskip(NEXT) | instid1(VALU_DEP_2)
	v_add_f32_e32 v4, v4, v11
	v_lshl_add_u64 v[0:1], v[0:1], 2, v[2:3]
	s_wait_loadcnt 0x0
	s_delay_alu instid0(VALU_DEP_2)
	v_add_f32_e32 v4, v4, v17
	global_store_b32 v[0:1], v4, off
.LBB94_4:
	s_endpgm
	.section	.rodata,"a",@progbits
	.p2align	6, 0x0
	.amdhsa_kernel _ZL19k_bin_bcast_unravelIXadL_ZL6op_addffEE6__halfffJPKfS2_S2_S2_S2_S2_S2_S2_EEvPKT0_PKT1_PT2_15HIP_vector_typeIjLj3EESC_SC_jSC_SC_SC_SC_SC_SC_iiiiiiiiiiiDpT3_
		.amdhsa_group_segment_fixed_size 0
		.amdhsa_private_segment_fixed_size 0
		.amdhsa_kernarg_size 504
		.amdhsa_user_sgpr_count 2
		.amdhsa_user_sgpr_dispatch_ptr 0
		.amdhsa_user_sgpr_queue_ptr 0
		.amdhsa_user_sgpr_kernarg_segment_ptr 1
		.amdhsa_user_sgpr_dispatch_id 0
		.amdhsa_user_sgpr_kernarg_preload_length 0
		.amdhsa_user_sgpr_kernarg_preload_offset 0
		.amdhsa_user_sgpr_private_segment_size 0
		.amdhsa_wavefront_size32 1
		.amdhsa_uses_dynamic_stack 0
		.amdhsa_enable_private_segment 0
		.amdhsa_system_sgpr_workgroup_id_x 1
		.amdhsa_system_sgpr_workgroup_id_y 0
		.amdhsa_system_sgpr_workgroup_id_z 0
		.amdhsa_system_sgpr_workgroup_info 0
		.amdhsa_system_vgpr_workitem_id 0
		.amdhsa_next_free_vgpr 18
		.amdhsa_next_free_sgpr 28
		.amdhsa_named_barrier_count 0
		.amdhsa_reserve_vcc 1
		.amdhsa_float_round_mode_32 0
		.amdhsa_float_round_mode_16_64 0
		.amdhsa_float_denorm_mode_32 3
		.amdhsa_float_denorm_mode_16_64 3
		.amdhsa_fp16_overflow 0
		.amdhsa_memory_ordered 1
		.amdhsa_forward_progress 1
		.amdhsa_inst_pref_size 8
		.amdhsa_round_robin_scheduling 0
		.amdhsa_exception_fp_ieee_invalid_op 0
		.amdhsa_exception_fp_denorm_src 0
		.amdhsa_exception_fp_ieee_div_zero 0
		.amdhsa_exception_fp_ieee_overflow 0
		.amdhsa_exception_fp_ieee_underflow 0
		.amdhsa_exception_fp_ieee_inexact 0
		.amdhsa_exception_int_div_zero 0
	.end_amdhsa_kernel
	.section	.text._ZL19k_bin_bcast_unravelIXadL_ZL6op_addffEE6__halfffJPKfS2_S2_S2_S2_S2_S2_S2_EEvPKT0_PKT1_PT2_15HIP_vector_typeIjLj3EESC_SC_jSC_SC_SC_SC_SC_SC_iiiiiiiiiiiDpT3_,"axG",@progbits,_ZL19k_bin_bcast_unravelIXadL_ZL6op_addffEE6__halfffJPKfS2_S2_S2_S2_S2_S2_S2_EEvPKT0_PKT1_PT2_15HIP_vector_typeIjLj3EESC_SC_jSC_SC_SC_SC_SC_SC_iiiiiiiiiiiDpT3_,comdat
.Lfunc_end94:
	.size	_ZL19k_bin_bcast_unravelIXadL_ZL6op_addffEE6__halfffJPKfS2_S2_S2_S2_S2_S2_S2_EEvPKT0_PKT1_PT2_15HIP_vector_typeIjLj3EESC_SC_jSC_SC_SC_SC_SC_SC_iiiiiiiiiiiDpT3_, .Lfunc_end94-_ZL19k_bin_bcast_unravelIXadL_ZL6op_addffEE6__halfffJPKfS2_S2_S2_S2_S2_S2_S2_EEvPKT0_PKT1_PT2_15HIP_vector_typeIjLj3EESC_SC_jSC_SC_SC_SC_SC_SC_iiiiiiiiiiiDpT3_
                                        ; -- End function
	.set _ZL19k_bin_bcast_unravelIXadL_ZL6op_addffEE6__halfffJPKfS2_S2_S2_S2_S2_S2_S2_EEvPKT0_PKT1_PT2_15HIP_vector_typeIjLj3EESC_SC_jSC_SC_SC_SC_SC_SC_iiiiiiiiiiiDpT3_.num_vgpr, 18
	.set _ZL19k_bin_bcast_unravelIXadL_ZL6op_addffEE6__halfffJPKfS2_S2_S2_S2_S2_S2_S2_EEvPKT0_PKT1_PT2_15HIP_vector_typeIjLj3EESC_SC_jSC_SC_SC_SC_SC_SC_iiiiiiiiiiiDpT3_.num_agpr, 0
	.set _ZL19k_bin_bcast_unravelIXadL_ZL6op_addffEE6__halfffJPKfS2_S2_S2_S2_S2_S2_S2_EEvPKT0_PKT1_PT2_15HIP_vector_typeIjLj3EESC_SC_jSC_SC_SC_SC_SC_SC_iiiiiiiiiiiDpT3_.numbered_sgpr, 28
	.set _ZL19k_bin_bcast_unravelIXadL_ZL6op_addffEE6__halfffJPKfS2_S2_S2_S2_S2_S2_S2_EEvPKT0_PKT1_PT2_15HIP_vector_typeIjLj3EESC_SC_jSC_SC_SC_SC_SC_SC_iiiiiiiiiiiDpT3_.num_named_barrier, 0
	.set _ZL19k_bin_bcast_unravelIXadL_ZL6op_addffEE6__halfffJPKfS2_S2_S2_S2_S2_S2_S2_EEvPKT0_PKT1_PT2_15HIP_vector_typeIjLj3EESC_SC_jSC_SC_SC_SC_SC_SC_iiiiiiiiiiiDpT3_.private_seg_size, 0
	.set _ZL19k_bin_bcast_unravelIXadL_ZL6op_addffEE6__halfffJPKfS2_S2_S2_S2_S2_S2_S2_EEvPKT0_PKT1_PT2_15HIP_vector_typeIjLj3EESC_SC_jSC_SC_SC_SC_SC_SC_iiiiiiiiiiiDpT3_.uses_vcc, 1
	.set _ZL19k_bin_bcast_unravelIXadL_ZL6op_addffEE6__halfffJPKfS2_S2_S2_S2_S2_S2_S2_EEvPKT0_PKT1_PT2_15HIP_vector_typeIjLj3EESC_SC_jSC_SC_SC_SC_SC_SC_iiiiiiiiiiiDpT3_.uses_flat_scratch, 0
	.set _ZL19k_bin_bcast_unravelIXadL_ZL6op_addffEE6__halfffJPKfS2_S2_S2_S2_S2_S2_S2_EEvPKT0_PKT1_PT2_15HIP_vector_typeIjLj3EESC_SC_jSC_SC_SC_SC_SC_SC_iiiiiiiiiiiDpT3_.has_dyn_sized_stack, 0
	.set _ZL19k_bin_bcast_unravelIXadL_ZL6op_addffEE6__halfffJPKfS2_S2_S2_S2_S2_S2_S2_EEvPKT0_PKT1_PT2_15HIP_vector_typeIjLj3EESC_SC_jSC_SC_SC_SC_SC_SC_iiiiiiiiiiiDpT3_.has_recursion, 0
	.set _ZL19k_bin_bcast_unravelIXadL_ZL6op_addffEE6__halfffJPKfS2_S2_S2_S2_S2_S2_S2_EEvPKT0_PKT1_PT2_15HIP_vector_typeIjLj3EESC_SC_jSC_SC_SC_SC_SC_SC_iiiiiiiiiiiDpT3_.has_indirect_call, 0
	.section	.AMDGPU.csdata,"",@progbits
; Kernel info:
; codeLenInByte = 936
; TotalNumSgprs: 30
; NumVgprs: 18
; ScratchSize: 0
; MemoryBound: 0
; FloatMode: 240
; IeeeMode: 1
; LDSByteSize: 0 bytes/workgroup (compile time only)
; SGPRBlocks: 0
; VGPRBlocks: 1
; NumSGPRsForWavesPerEU: 30
; NumVGPRsForWavesPerEU: 18
; NamedBarCnt: 0
; Occupancy: 16
; WaveLimiterHint : 1
; COMPUTE_PGM_RSRC2:SCRATCH_EN: 0
; COMPUTE_PGM_RSRC2:USER_SGPR: 2
; COMPUTE_PGM_RSRC2:TRAP_HANDLER: 0
; COMPUTE_PGM_RSRC2:TGID_X_EN: 1
; COMPUTE_PGM_RSRC2:TGID_Y_EN: 0
; COMPUTE_PGM_RSRC2:TGID_Z_EN: 0
; COMPUTE_PGM_RSRC2:TIDIG_COMP_CNT: 0
	.section	.text._ZL11k_bin_bcastIXadL_ZL6op_addffEE6__halfffJPKfS2_S2_S2_S2_S2_S2_S2_EEvPKT0_PKT1_PT2_iii15HIP_vector_typeIjLj3EESC_SC_SC_SC_iiiiiiiiiiiDpT3_,"axG",@progbits,_ZL11k_bin_bcastIXadL_ZL6op_addffEE6__halfffJPKfS2_S2_S2_S2_S2_S2_S2_EEvPKT0_PKT1_PT2_iii15HIP_vector_typeIjLj3EESC_SC_SC_SC_iiiiiiiiiiiDpT3_,comdat
	.globl	_ZL11k_bin_bcastIXadL_ZL6op_addffEE6__halfffJPKfS2_S2_S2_S2_S2_S2_S2_EEvPKT0_PKT1_PT2_iii15HIP_vector_typeIjLj3EESC_SC_SC_SC_iiiiiiiiiiiDpT3_ ; -- Begin function _ZL11k_bin_bcastIXadL_ZL6op_addffEE6__halfffJPKfS2_S2_S2_S2_S2_S2_S2_EEvPKT0_PKT1_PT2_iii15HIP_vector_typeIjLj3EESC_SC_SC_SC_iiiiiiiiiiiDpT3_
	.p2align	8
	.type	_ZL11k_bin_bcastIXadL_ZL6op_addffEE6__halfffJPKfS2_S2_S2_S2_S2_S2_S2_EEvPKT0_PKT1_PT2_iii15HIP_vector_typeIjLj3EESC_SC_SC_SC_iiiiiiiiiiiDpT3_,@function
_ZL11k_bin_bcastIXadL_ZL6op_addffEE6__halfffJPKfS2_S2_S2_S2_S2_S2_S2_EEvPKT0_PKT1_PT2_iii15HIP_vector_typeIjLj3EESC_SC_SC_SC_iiiiiiiiiiiDpT3_: ; @_ZL11k_bin_bcastIXadL_ZL6op_addffEE6__halfffJPKfS2_S2_S2_S2_S2_S2_S2_EEvPKT0_PKT1_PT2_iii15HIP_vector_typeIjLj3EESC_SC_SC_SC_iiiiiiiiiiiDpT3_
; %bb.0:
	s_load_b64 s[2:3], s[0:1], 0xdc
	s_bfe_u32 s5, ttmp6, 0x40014
	s_bfe_u32 s8, ttmp6, 0x40010
	;; [unrolled: 1-line block ×3, first 2 shown]
	s_lshr_b32 s4, ttmp7, 16
	s_add_co_i32 s5, s5, 1
	s_and_b32 s7, ttmp7, 0xffff
	s_load_b256 s[20:27], s[0:1], 0x18
	s_add_co_i32 s8, s8, 1
	s_add_co_i32 s11, s11, 1
	s_bfe_u32 s6, ttmp6, 0x40008
	s_mul_i32 s5, s4, s5
	s_bfe_u32 s9, ttmp6, 0x40004
	s_and_b32 s10, ttmp6, 15
	s_mul_i32 s8, s7, s8
	s_mul_i32 s11, ttmp9, s11
	s_add_co_i32 s6, s6, s5
	s_add_co_i32 s9, s9, s8
	;; [unrolled: 1-line block ×3, first 2 shown]
	v_bfe_u32 v1, v0, 20, 10
	s_wait_kmcnt 0x0
	s_lshr_b32 s5, s2, 16
	s_and_b32 s28, s2, 0xffff
	s_getreg_b32 s2, hwreg(HW_REG_IB_STS2, 6, 4)
	s_and_b32 s3, s3, 0xffff
	s_cmp_eq_u32 s2, 0
	v_and_b32_e32 v2, 0x3ff, v0
	s_cselect_b32 s2, s4, s6
	v_bfe_u32 v4, v0, 10, 10
	v_mad_u32 v3, s2, s3, v1
	s_cselect_b32 s2, ttmp9, s10
	s_cselect_b32 s3, s7, s9
	v_mad_u32 v0, s2, s28, v2
	v_mad_u32 v2, s3, s5, v4
	s_delay_alu instid0(VALU_DEP_3) | instskip(NEXT) | instid1(VALU_DEP_3)
	v_mul_hi_u32 v1, v3, s23
	v_cmp_gt_u32_e32 vcc_lo, s20, v0
	s_delay_alu instid0(VALU_DEP_3) | instskip(SKIP_2) | instid1(VALU_DEP_1)
	v_cmp_gt_u32_e64 s2, s21, v2
	s_and_b32 s2, vcc_lo, s2
	v_add_nc_u32_e32 v1, v3, v1
	v_lshrrev_b32_e32 v1, s24, v1
	s_delay_alu instid0(VALU_DEP_1) | instskip(SKIP_3) | instid1(VALU_DEP_1)
	v_mul_lo_u32 v5, v1, s25
	v_cmp_gt_u32_e64 s3, s22, v1
	s_and_b32 s2, s2, s3
	v_sub_nc_u32_e32 v3, v3, v5
	v_cmp_gt_u32_e64 s4, s25, v3
	s_and_b32 s2, s2, s4
	s_delay_alu instid0(SALU_CYCLE_1)
	s_and_saveexec_b32 s3, s2
	s_cbranch_execz .LBB95_6
; %bb.1:
	v_cmp_gt_i32_e32 vcc_lo, s20, v0
	s_and_b32 exec_lo, exec_lo, vcc_lo
	s_cbranch_execz .LBB95_6
; %bb.2:
	s_clause 0x4
	s_load_b256 s[4:11], s[0:1], 0x3c
	s_load_b32 s2, s[0:1], 0x5c
	s_load_b256 s[36:43], s[0:1], 0x60
	s_load_b96 s[44:46], s[0:1], 0x80
	s_load_b64 s[22:23], s[0:1], 0x10
	s_wait_kmcnt 0x0
	v_mul_hi_u32 v4, s10, v3
	v_mul_hi_u32 v5, s7, v1
	;; [unrolled: 1-line block ×3, first 2 shown]
	v_mul_lo_u32 v7, v2, s40
	v_mul_lo_u32 v8, v2, s36
	s_delay_alu instid0(VALU_DEP_4) | instskip(NEXT) | instid1(VALU_DEP_3)
	v_dual_add_nc_u32 v4, v3, v4 :: v_dual_add_nc_u32 v5, v1, v5
	v_mad_u32 v7, v1, s41, v7
	s_delay_alu instid0(VALU_DEP_3) | instskip(NEXT) | instid1(VALU_DEP_3)
	v_mad_u32 v8, v1, s37, v8
	v_dual_lshrrev_b32 v4, s11, v4 :: v_dual_lshrrev_b32 v5, s8, v5
	s_delay_alu instid0(VALU_DEP_1) | instskip(SKIP_1) | instid1(VALU_DEP_3)
	v_mul_lo_u32 v4, v4, s2
	v_add_nc_u32_e32 v6, v2, v6
	v_mul_lo_u32 v5, v5, s9
	s_load_b64 s[2:3], s[0:1], 0x0
	v_mad_u32 v8, v3, s38, v8
	s_delay_alu instid0(VALU_DEP_3) | instskip(NEXT) | instid1(VALU_DEP_3)
	v_dual_sub_nc_u32 v4, v3, v4 :: v_dual_lshrrev_b32 v6, s5, v6
	v_sub_nc_u32_e32 v5, v1, v5
	s_add_nc_u64 s[4:5], s[0:1], 0xd0
	s_load_b32 s21, s[4:5], 0x0
	s_load_b32 s24, s[0:1], 0x38
	v_mul_lo_u32 v9, v4, s46
	v_mul_lo_u32 v6, v6, s6
	v_mad_u32 v4, v3, s42, v7
	s_wait_xcnt 0x0
	s_load_b512 s[4:19], s[0:1], 0x90
	v_mov_b32_e32 v1, 0
	s_wait_xcnt 0x0
	s_mov_b32 s1, 0
	s_wait_kmcnt 0x0
	s_cmp_lg_u64 s[2:3], 0
	s_mov_b32 s0, s26
	v_mad_u32 v7, v5, s45, v9
	v_sub_nc_u32_e32 v2, v2, v6
	v_mul_lo_u32 v6, s39, v0
	v_dual_mov_b32 v5, v1 :: v_dual_mov_b32 v9, v1
	v_mov_b32_e32 v3, v1
	s_delay_alu instid0(VALU_DEP_2) | instskip(NEXT) | instid1(VALU_DEP_3)
	v_lshl_add_u64 v[4:5], v[4:5], 1, s[2:3]
	v_lshl_add_u64 v[8:9], v[8:9], 2, s[22:23]
	s_mul_i32 s2, s21, s28
	v_mad_u32 v2, v2, s44, v7
	s_cselect_b32 s3, -1, 0
	s_mul_i32 s21, s2, s39
	s_sub_co_i32 s22, 0, s24
	s_mov_b32 s23, s1
	s_branch .LBB95_4
.LBB95_3:                               ;   in Loop: Header=BB95_4 Depth=1
	s_wait_xcnt 0x0
	v_mul_u64_e32 v[10:11], s[0:1], v[0:1]
	s_delay_alu instid0(VALU_DEP_1) | instskip(NEXT) | instid1(VALU_DEP_1)
	v_dual_add_nc_u32 v6, s21, v6 :: v_dual_add_nc_u32 v10, v0, v11
	v_dual_mov_b32 v11, v1 :: v_dual_lshrrev_b32 v10, s27, v10
	s_delay_alu instid0(VALU_DEP_1) | instskip(NEXT) | instid1(VALU_DEP_1)
	v_mad_u32 v10, s22, v10, v0
	v_mul_lo_u32 v10, v10, s43
	s_delay_alu instid0(VALU_DEP_1) | instskip(NEXT) | instid1(VALU_DEP_1)
	v_add_nc_u64_e32 v[10:11], v[10:11], v[2:3]
	v_lshlrev_b64_e32 v[10:11], 2, v[10:11]
	s_delay_alu instid0(VALU_DEP_1)
	v_add_nc_u64_e32 v[12:13], s[4:5], v[10:11]
	v_add_nc_u64_e32 v[14:15], s[6:7], v[10:11]
	global_load_b32 v16, v[12:13], off
	s_wait_xcnt 0x0
	v_add_nc_u64_e32 v[12:13], s[8:9], v[10:11]
	global_load_b32 v17, v[14:15], off
	s_wait_xcnt 0x0
	;; [unrolled: 3-line block ×5, first 2 shown]
	v_add_nc_u64_e32 v[12:13], s[16:17], v[10:11]
	global_load_b32 v14, v[14:15], off
	v_add_nc_u64_e32 v[10:11], s[18:19], v[10:11]
	global_load_b32 v15, v[12:13], off
	global_load_b32 v21, v[10:11], off
	s_wait_xcnt 0x0
	v_dual_mov_b32 v10, v0 :: v_dual_ashrrev_i32 v11, 31, v0
	v_add_nc_u32_e32 v0, s2, v0
	s_delay_alu instid0(VALU_DEP_2) | instskip(NEXT) | instid1(VALU_DEP_2)
	v_lshl_add_u64 v[10:11], v[10:11], 2, v[8:9]
	v_cmp_le_i32_e32 vcc_lo, s20, v0
	s_or_b32 s23, vcc_lo, s23
	s_wait_loadcnt 0x7
	v_add_f32_e32 v7, v7, v16
	s_wait_loadcnt 0x6
	s_delay_alu instid0(VALU_DEP_1) | instskip(SKIP_1) | instid1(VALU_DEP_1)
	v_add_f32_e32 v7, v7, v17
	s_wait_loadcnt 0x5
	v_add_f32_e32 v7, v7, v18
	s_wait_loadcnt 0x4
	s_delay_alu instid0(VALU_DEP_1) | instskip(SKIP_1) | instid1(VALU_DEP_1)
	v_add_f32_e32 v7, v7, v19
	;; [unrolled: 5-line block ×3, first 2 shown]
	s_wait_loadcnt 0x1
	v_add_f32_e32 v7, v7, v15
	s_wait_loadcnt 0x0
	s_delay_alu instid0(VALU_DEP_1)
	v_add_f32_e32 v7, v7, v21
	global_store_b32 v[10:11], v7, off
	s_wait_xcnt 0x0
	s_and_not1_b32 exec_lo, exec_lo, s23
	s_cbranch_execz .LBB95_6
.LBB95_4:                               ; =>This Inner Loop Header: Depth=1
	v_mov_b32_e32 v7, 0
	s_and_not1_b32 vcc_lo, exec_lo, s3
	s_cbranch_vccnz .LBB95_3
; %bb.5:                                ;   in Loop: Header=BB95_4 Depth=1
	v_ashrrev_i32_e32 v7, 31, v6
	s_delay_alu instid0(VALU_DEP_1)
	v_lshl_add_u64 v[10:11], v[6:7], 1, v[4:5]
	global_load_u16 v7, v[10:11], off
	s_wait_loadcnt 0x0
	v_cvt_f32_f16_e32 v7, v7
	s_branch .LBB95_3
.LBB95_6:
	s_endpgm
	.section	.rodata,"a",@progbits
	.p2align	6, 0x0
	.amdhsa_kernel _ZL11k_bin_bcastIXadL_ZL6op_addffEE6__halfffJPKfS2_S2_S2_S2_S2_S2_S2_EEvPKT0_PKT1_PT2_iii15HIP_vector_typeIjLj3EESC_SC_SC_SC_iiiiiiiiiiiDpT3_
		.amdhsa_group_segment_fixed_size 0
		.amdhsa_private_segment_fixed_size 0
		.amdhsa_kernarg_size 464
		.amdhsa_user_sgpr_count 2
		.amdhsa_user_sgpr_dispatch_ptr 0
		.amdhsa_user_sgpr_queue_ptr 0
		.amdhsa_user_sgpr_kernarg_segment_ptr 1
		.amdhsa_user_sgpr_dispatch_id 0
		.amdhsa_user_sgpr_kernarg_preload_length 0
		.amdhsa_user_sgpr_kernarg_preload_offset 0
		.amdhsa_user_sgpr_private_segment_size 0
		.amdhsa_wavefront_size32 1
		.amdhsa_uses_dynamic_stack 0
		.amdhsa_enable_private_segment 0
		.amdhsa_system_sgpr_workgroup_id_x 1
		.amdhsa_system_sgpr_workgroup_id_y 1
		.amdhsa_system_sgpr_workgroup_id_z 1
		.amdhsa_system_sgpr_workgroup_info 0
		.amdhsa_system_vgpr_workitem_id 2
		.amdhsa_next_free_vgpr 22
		.amdhsa_next_free_sgpr 47
		.amdhsa_named_barrier_count 0
		.amdhsa_reserve_vcc 1
		.amdhsa_float_round_mode_32 0
		.amdhsa_float_round_mode_16_64 0
		.amdhsa_float_denorm_mode_32 3
		.amdhsa_float_denorm_mode_16_64 3
		.amdhsa_fp16_overflow 0
		.amdhsa_memory_ordered 1
		.amdhsa_forward_progress 1
		.amdhsa_inst_pref_size 9
		.amdhsa_round_robin_scheduling 0
		.amdhsa_exception_fp_ieee_invalid_op 0
		.amdhsa_exception_fp_denorm_src 0
		.amdhsa_exception_fp_ieee_div_zero 0
		.amdhsa_exception_fp_ieee_overflow 0
		.amdhsa_exception_fp_ieee_underflow 0
		.amdhsa_exception_fp_ieee_inexact 0
		.amdhsa_exception_int_div_zero 0
	.end_amdhsa_kernel
	.section	.text._ZL11k_bin_bcastIXadL_ZL6op_addffEE6__halfffJPKfS2_S2_S2_S2_S2_S2_S2_EEvPKT0_PKT1_PT2_iii15HIP_vector_typeIjLj3EESC_SC_SC_SC_iiiiiiiiiiiDpT3_,"axG",@progbits,_ZL11k_bin_bcastIXadL_ZL6op_addffEE6__halfffJPKfS2_S2_S2_S2_S2_S2_S2_EEvPKT0_PKT1_PT2_iii15HIP_vector_typeIjLj3EESC_SC_SC_SC_iiiiiiiiiiiDpT3_,comdat
.Lfunc_end95:
	.size	_ZL11k_bin_bcastIXadL_ZL6op_addffEE6__halfffJPKfS2_S2_S2_S2_S2_S2_S2_EEvPKT0_PKT1_PT2_iii15HIP_vector_typeIjLj3EESC_SC_SC_SC_iiiiiiiiiiiDpT3_, .Lfunc_end95-_ZL11k_bin_bcastIXadL_ZL6op_addffEE6__halfffJPKfS2_S2_S2_S2_S2_S2_S2_EEvPKT0_PKT1_PT2_iii15HIP_vector_typeIjLj3EESC_SC_SC_SC_iiiiiiiiiiiDpT3_
                                        ; -- End function
	.set _ZL11k_bin_bcastIXadL_ZL6op_addffEE6__halfffJPKfS2_S2_S2_S2_S2_S2_S2_EEvPKT0_PKT1_PT2_iii15HIP_vector_typeIjLj3EESC_SC_SC_SC_iiiiiiiiiiiDpT3_.num_vgpr, 22
	.set _ZL11k_bin_bcastIXadL_ZL6op_addffEE6__halfffJPKfS2_S2_S2_S2_S2_S2_S2_EEvPKT0_PKT1_PT2_iii15HIP_vector_typeIjLj3EESC_SC_SC_SC_iiiiiiiiiiiDpT3_.num_agpr, 0
	.set _ZL11k_bin_bcastIXadL_ZL6op_addffEE6__halfffJPKfS2_S2_S2_S2_S2_S2_S2_EEvPKT0_PKT1_PT2_iii15HIP_vector_typeIjLj3EESC_SC_SC_SC_iiiiiiiiiiiDpT3_.numbered_sgpr, 47
	.set _ZL11k_bin_bcastIXadL_ZL6op_addffEE6__halfffJPKfS2_S2_S2_S2_S2_S2_S2_EEvPKT0_PKT1_PT2_iii15HIP_vector_typeIjLj3EESC_SC_SC_SC_iiiiiiiiiiiDpT3_.num_named_barrier, 0
	.set _ZL11k_bin_bcastIXadL_ZL6op_addffEE6__halfffJPKfS2_S2_S2_S2_S2_S2_S2_EEvPKT0_PKT1_PT2_iii15HIP_vector_typeIjLj3EESC_SC_SC_SC_iiiiiiiiiiiDpT3_.private_seg_size, 0
	.set _ZL11k_bin_bcastIXadL_ZL6op_addffEE6__halfffJPKfS2_S2_S2_S2_S2_S2_S2_EEvPKT0_PKT1_PT2_iii15HIP_vector_typeIjLj3EESC_SC_SC_SC_iiiiiiiiiiiDpT3_.uses_vcc, 1
	.set _ZL11k_bin_bcastIXadL_ZL6op_addffEE6__halfffJPKfS2_S2_S2_S2_S2_S2_S2_EEvPKT0_PKT1_PT2_iii15HIP_vector_typeIjLj3EESC_SC_SC_SC_iiiiiiiiiiiDpT3_.uses_flat_scratch, 0
	.set _ZL11k_bin_bcastIXadL_ZL6op_addffEE6__halfffJPKfS2_S2_S2_S2_S2_S2_S2_EEvPKT0_PKT1_PT2_iii15HIP_vector_typeIjLj3EESC_SC_SC_SC_iiiiiiiiiiiDpT3_.has_dyn_sized_stack, 0
	.set _ZL11k_bin_bcastIXadL_ZL6op_addffEE6__halfffJPKfS2_S2_S2_S2_S2_S2_S2_EEvPKT0_PKT1_PT2_iii15HIP_vector_typeIjLj3EESC_SC_SC_SC_iiiiiiiiiiiDpT3_.has_recursion, 0
	.set _ZL11k_bin_bcastIXadL_ZL6op_addffEE6__halfffJPKfS2_S2_S2_S2_S2_S2_S2_EEvPKT0_PKT1_PT2_iii15HIP_vector_typeIjLj3EESC_SC_SC_SC_iiiiiiiiiiiDpT3_.has_indirect_call, 0
	.section	.AMDGPU.csdata,"",@progbits
; Kernel info:
; codeLenInByte = 1084
; TotalNumSgprs: 49
; NumVgprs: 22
; ScratchSize: 0
; MemoryBound: 0
; FloatMode: 240
; IeeeMode: 1
; LDSByteSize: 0 bytes/workgroup (compile time only)
; SGPRBlocks: 0
; VGPRBlocks: 1
; NumSGPRsForWavesPerEU: 49
; NumVGPRsForWavesPerEU: 22
; NamedBarCnt: 0
; Occupancy: 16
; WaveLimiterHint : 1
; COMPUTE_PGM_RSRC2:SCRATCH_EN: 0
; COMPUTE_PGM_RSRC2:USER_SGPR: 2
; COMPUTE_PGM_RSRC2:TRAP_HANDLER: 0
; COMPUTE_PGM_RSRC2:TGID_X_EN: 1
; COMPUTE_PGM_RSRC2:TGID_Y_EN: 1
; COMPUTE_PGM_RSRC2:TGID_Z_EN: 1
; COMPUTE_PGM_RSRC2:TIDIG_COMP_CNT: 2
	.section	.text._ZL19k_bin_bcast_unravelIXadL_ZL6op_mulffEEfffJPKfS1_EEvPKT0_PKT1_PT2_15HIP_vector_typeIjLj3EESB_SB_jSB_SB_SB_SB_SB_SB_iiiiiiiiiiiDpT3_,"axG",@progbits,_ZL19k_bin_bcast_unravelIXadL_ZL6op_mulffEEfffJPKfS1_EEvPKT0_PKT1_PT2_15HIP_vector_typeIjLj3EESB_SB_jSB_SB_SB_SB_SB_SB_iiiiiiiiiiiDpT3_,comdat
	.globl	_ZL19k_bin_bcast_unravelIXadL_ZL6op_mulffEEfffJPKfS1_EEvPKT0_PKT1_PT2_15HIP_vector_typeIjLj3EESB_SB_jSB_SB_SB_SB_SB_SB_iiiiiiiiiiiDpT3_ ; -- Begin function _ZL19k_bin_bcast_unravelIXadL_ZL6op_mulffEEfffJPKfS1_EEvPKT0_PKT1_PT2_15HIP_vector_typeIjLj3EESB_SB_jSB_SB_SB_SB_SB_SB_iiiiiiiiiiiDpT3_
	.p2align	8
	.type	_ZL19k_bin_bcast_unravelIXadL_ZL6op_mulffEEfffJPKfS1_EEvPKT0_PKT1_PT2_15HIP_vector_typeIjLj3EESB_SB_jSB_SB_SB_SB_SB_SB_iiiiiiiiiiiDpT3_,@function
_ZL19k_bin_bcast_unravelIXadL_ZL6op_mulffEEfffJPKfS1_EEvPKT0_PKT1_PT2_15HIP_vector_typeIjLj3EESB_SB_jSB_SB_SB_SB_SB_SB_iiiiiiiiiiiDpT3_: ; @_ZL19k_bin_bcast_unravelIXadL_ZL6op_mulffEEfffJPKfS1_EEvPKT0_PKT1_PT2_15HIP_vector_typeIjLj3EESB_SB_jSB_SB_SB_SB_SB_SB_iiiiiiiiiiiDpT3_
; %bb.0:
	s_load_b32 s2, s[0:1], 0xd4
	s_bfe_u32 s3, ttmp6, 0x4000c
	s_load_b256 s[4:11], s[0:1], 0x38
	s_add_co_i32 s3, s3, 1
	s_and_b32 s12, ttmp6, 15
	s_mul_i32 s3, ttmp9, s3
	s_getreg_b32 s13, hwreg(HW_REG_IB_STS2, 6, 4)
	s_add_co_i32 s12, s12, s3
	s_wait_kmcnt 0x0
	s_and_b32 s2, s2, 0xffff
	s_cmp_eq_u32 s13, 0
	s_cselect_b32 s3, ttmp9, s12
	s_delay_alu instid0(SALU_CYCLE_1) | instskip(SKIP_1) | instid1(VALU_DEP_1)
	v_mad_u32 v0, s3, s2, v0
	s_load_b32 s2, s[0:1], 0x2c
	v_mul_hi_u32 v1, v0, s6
	s_delay_alu instid0(VALU_DEP_1) | instskip(NEXT) | instid1(VALU_DEP_1)
	v_add_nc_u32_e32 v1, v0, v1
	v_lshrrev_b32_e32 v1, s7, v1
	s_delay_alu instid0(VALU_DEP_1) | instskip(NEXT) | instid1(VALU_DEP_1)
	v_mul_lo_u32 v2, v1, s8
	v_sub_nc_u32_e32 v0, v0, v2
	s_delay_alu instid0(VALU_DEP_1) | instskip(NEXT) | instid1(VALU_DEP_1)
	v_mul_hi_u32 v2, v0, s9
	v_add_nc_u32_e32 v2, v0, v2
	s_delay_alu instid0(VALU_DEP_1) | instskip(SKIP_1) | instid1(VALU_DEP_1)
	v_lshrrev_b32_e32 v2, s10, v2
	s_load_b96 s[8:10], s[0:1], 0x18
	v_mul_lo_u32 v3, v2, s11
	s_delay_alu instid0(VALU_DEP_1) | instskip(SKIP_3) | instid1(VALU_DEP_3)
	v_sub_nc_u32_e32 v0, v0, v3
	v_cmp_gt_u32_e64 s3, s4, v2
	v_cmp_gt_u32_e64 s4, s5, v1
	s_wait_kmcnt 0x0
	v_mul_hi_u32 v3, v0, s8
	s_delay_alu instid0(VALU_DEP_1) | instskip(NEXT) | instid1(VALU_DEP_1)
	v_add_nc_u32_e32 v3, v0, v3
	v_lshrrev_b32_e32 v4, s9, v3
	s_delay_alu instid0(VALU_DEP_1) | instskip(NEXT) | instid1(VALU_DEP_1)
	v_mul_lo_u32 v3, v4, s10
	v_sub_nc_u32_e32 v0, v0, v3
	v_cmp_gt_u32_e64 s2, s2, v4
	s_delay_alu instid0(VALU_DEP_2) | instskip(SKIP_1) | instid1(SALU_CYCLE_1)
	v_cmp_gt_u32_e32 vcc_lo, s10, v0
	s_and_b32 s2, vcc_lo, s2
	s_and_b32 s2, s2, s3
	s_delay_alu instid0(SALU_CYCLE_1) | instskip(NEXT) | instid1(SALU_CYCLE_1)
	s_and_b32 s2, s4, s2
	s_and_saveexec_b32 s3, s2
	s_cbranch_execz .LBB96_4
; %bb.1:
	s_clause 0x4
	s_load_b64 s[2:3], s[0:1], 0x0
	s_load_b96 s[24:26], s[0:1], 0xa8
	s_load_b256 s[4:11], s[0:1], 0x88
	s_load_b128 s[20:23], s[0:1], 0x78
	s_load_b256 s[12:19], s[0:1], 0x58
	v_dual_mov_b32 v3, 0 :: v_dual_mov_b32 v5, 0
	s_wait_kmcnt 0x0
	s_cmp_eq_u64 s[2:3], 0
	s_cbranch_scc1 .LBB96_3
; %bb.2:
	v_mul_lo_u32 v5, v1, s10
	v_mov_b32_e32 v7, 0
	s_delay_alu instid0(VALU_DEP_2) | instskip(NEXT) | instid1(VALU_DEP_1)
	v_mad_u32 v5, v2, s9, v5
	v_mad_u32 v6, v4, s8, v5
	s_delay_alu instid0(VALU_DEP_1) | instskip(SKIP_1) | instid1(VALU_DEP_1)
	v_lshl_add_u64 v[8:9], v[6:7], 2, s[2:3]
	v_mul_lo_u32 v6, v0, s7
	v_lshl_add_u64 v[6:7], v[6:7], 2, v[8:9]
	global_load_b32 v5, v[6:7], off
.LBB96_3:
	s_wait_xcnt 0x0
	v_mul_hi_u32 v6, s21, v1
	v_mul_hi_u32 v7, s18, v2
	;; [unrolled: 1-line block ×4, first 2 shown]
	s_delay_alu instid0(VALU_DEP_3) | instskip(NEXT) | instid1(VALU_DEP_1)
	v_dual_add_nc_u32 v6, v1, v6 :: v_dual_add_nc_u32 v7, v2, v7
	v_dual_lshrrev_b32 v6, s22, v6 :: v_dual_lshrrev_b32 v7, s19, v7
	s_delay_alu instid0(VALU_DEP_1) | instskip(SKIP_1) | instid1(VALU_DEP_3)
	v_mul_lo_u32 v6, v6, s23
	v_add_nc_u32_e32 v8, v4, v8
	v_mul_lo_u32 v7, v7, s20
	s_delay_alu instid0(VALU_DEP_3) | instskip(NEXT) | instid1(VALU_DEP_3)
	v_dual_sub_nc_u32 v6, v1, v6 :: v_dual_add_nc_u32 v9, v0, v9
	v_lshrrev_b32_e32 v8, s16, v8
	v_mul_lo_u32 v1, v1, s6
	s_delay_alu instid0(VALU_DEP_4) | instskip(NEXT) | instid1(VALU_DEP_4)
	v_sub_nc_u32_e32 v7, v2, v7
	v_mul_lo_u32 v6, v6, s26
	v_lshrrev_b32_e32 v9, s13, v9
	v_mul_lo_u32 v8, v8, s17
	s_delay_alu instid0(VALU_DEP_2) | instskip(SKIP_2) | instid1(VALU_DEP_4)
	v_mul_lo_u32 v9, v9, s14
	v_mad_u32 v1, v2, s5, v1
	v_mad_u32 v7, v7, s25, v6
	v_sub_nc_u32_e32 v8, v4, v8
	s_delay_alu instid0(VALU_DEP_3) | instskip(NEXT) | instid1(VALU_DEP_2)
	v_mad_u32 v2, v4, s4, v1
	v_mad_u32 v8, v8, s24, v7
	s_delay_alu instid0(VALU_DEP_1) | instskip(NEXT) | instid1(VALU_DEP_1)
	v_dual_sub_nc_u32 v6, v0, v9 :: v_dual_ashrrev_i32 v9, 31, v8
	v_mul_lo_u32 v6, v6, s11
	s_load_b128 s[8:11], s[0:1], 0xb8
	s_delay_alu instid0(VALU_DEP_1) | instskip(SKIP_2) | instid1(VALU_DEP_1)
	v_ashrrev_i32_e32 v7, 31, v6
	s_wait_xcnt 0x0
	s_load_b64 s[0:1], s[0:1], 0x10
	v_add_nc_u64_e32 v[6:7], v[6:7], v[8:9]
	s_delay_alu instid0(VALU_DEP_1) | instskip(SKIP_1) | instid1(VALU_DEP_1)
	v_lshlrev_b64_e32 v[6:7], 2, v[6:7]
	s_wait_kmcnt 0x0
	v_add_nc_u64_e32 v[8:9], s[8:9], v[6:7]
	v_add_nc_u64_e32 v[6:7], s[10:11], v[6:7]
	global_load_b32 v10, v[8:9], off
	global_load_b32 v11, v[6:7], off
	v_mov_b32_e32 v1, v3
	v_lshl_add_u64 v[2:3], v[2:3], 2, s[0:1]
	s_wait_loadcnt 0x1
	v_mul_f32_e32 v4, v5, v10
	s_delay_alu instid0(VALU_DEP_2) | instskip(SKIP_1) | instid1(VALU_DEP_2)
	v_lshl_add_u64 v[0:1], v[0:1], 2, v[2:3]
	s_wait_loadcnt 0x0
	v_mul_f32_e32 v4, v4, v11
	global_store_b32 v[0:1], v4, off
.LBB96_4:
	s_endpgm
	.section	.rodata,"a",@progbits
	.p2align	6, 0x0
	.amdhsa_kernel _ZL19k_bin_bcast_unravelIXadL_ZL6op_mulffEEfffJPKfS1_EEvPKT0_PKT1_PT2_15HIP_vector_typeIjLj3EESB_SB_jSB_SB_SB_SB_SB_SB_iiiiiiiiiiiDpT3_
		.amdhsa_group_segment_fixed_size 0
		.amdhsa_private_segment_fixed_size 0
		.amdhsa_kernarg_size 456
		.amdhsa_user_sgpr_count 2
		.amdhsa_user_sgpr_dispatch_ptr 0
		.amdhsa_user_sgpr_queue_ptr 0
		.amdhsa_user_sgpr_kernarg_segment_ptr 1
		.amdhsa_user_sgpr_dispatch_id 0
		.amdhsa_user_sgpr_kernarg_preload_length 0
		.amdhsa_user_sgpr_kernarg_preload_offset 0
		.amdhsa_user_sgpr_private_segment_size 0
		.amdhsa_wavefront_size32 1
		.amdhsa_uses_dynamic_stack 0
		.amdhsa_enable_private_segment 0
		.amdhsa_system_sgpr_workgroup_id_x 1
		.amdhsa_system_sgpr_workgroup_id_y 0
		.amdhsa_system_sgpr_workgroup_id_z 0
		.amdhsa_system_sgpr_workgroup_info 0
		.amdhsa_system_vgpr_workitem_id 0
		.amdhsa_next_free_vgpr 12
		.amdhsa_next_free_sgpr 27
		.amdhsa_named_barrier_count 0
		.amdhsa_reserve_vcc 1
		.amdhsa_float_round_mode_32 0
		.amdhsa_float_round_mode_16_64 0
		.amdhsa_float_denorm_mode_32 3
		.amdhsa_float_denorm_mode_16_64 3
		.amdhsa_fp16_overflow 0
		.amdhsa_memory_ordered 1
		.amdhsa_forward_progress 1
		.amdhsa_inst_pref_size 6
		.amdhsa_round_robin_scheduling 0
		.amdhsa_exception_fp_ieee_invalid_op 0
		.amdhsa_exception_fp_denorm_src 0
		.amdhsa_exception_fp_ieee_div_zero 0
		.amdhsa_exception_fp_ieee_overflow 0
		.amdhsa_exception_fp_ieee_underflow 0
		.amdhsa_exception_fp_ieee_inexact 0
		.amdhsa_exception_int_div_zero 0
	.end_amdhsa_kernel
	.section	.text._ZL19k_bin_bcast_unravelIXadL_ZL6op_mulffEEfffJPKfS1_EEvPKT0_PKT1_PT2_15HIP_vector_typeIjLj3EESB_SB_jSB_SB_SB_SB_SB_SB_iiiiiiiiiiiDpT3_,"axG",@progbits,_ZL19k_bin_bcast_unravelIXadL_ZL6op_mulffEEfffJPKfS1_EEvPKT0_PKT1_PT2_15HIP_vector_typeIjLj3EESB_SB_jSB_SB_SB_SB_SB_SB_iiiiiiiiiiiDpT3_,comdat
.Lfunc_end96:
	.size	_ZL19k_bin_bcast_unravelIXadL_ZL6op_mulffEEfffJPKfS1_EEvPKT0_PKT1_PT2_15HIP_vector_typeIjLj3EESB_SB_jSB_SB_SB_SB_SB_SB_iiiiiiiiiiiDpT3_, .Lfunc_end96-_ZL19k_bin_bcast_unravelIXadL_ZL6op_mulffEEfffJPKfS1_EEvPKT0_PKT1_PT2_15HIP_vector_typeIjLj3EESB_SB_jSB_SB_SB_SB_SB_SB_iiiiiiiiiiiDpT3_
                                        ; -- End function
	.set _ZL19k_bin_bcast_unravelIXadL_ZL6op_mulffEEfffJPKfS1_EEvPKT0_PKT1_PT2_15HIP_vector_typeIjLj3EESB_SB_jSB_SB_SB_SB_SB_SB_iiiiiiiiiiiDpT3_.num_vgpr, 12
	.set _ZL19k_bin_bcast_unravelIXadL_ZL6op_mulffEEfffJPKfS1_EEvPKT0_PKT1_PT2_15HIP_vector_typeIjLj3EESB_SB_jSB_SB_SB_SB_SB_SB_iiiiiiiiiiiDpT3_.num_agpr, 0
	.set _ZL19k_bin_bcast_unravelIXadL_ZL6op_mulffEEfffJPKfS1_EEvPKT0_PKT1_PT2_15HIP_vector_typeIjLj3EESB_SB_jSB_SB_SB_SB_SB_SB_iiiiiiiiiiiDpT3_.numbered_sgpr, 27
	.set _ZL19k_bin_bcast_unravelIXadL_ZL6op_mulffEEfffJPKfS1_EEvPKT0_PKT1_PT2_15HIP_vector_typeIjLj3EESB_SB_jSB_SB_SB_SB_SB_SB_iiiiiiiiiiiDpT3_.num_named_barrier, 0
	.set _ZL19k_bin_bcast_unravelIXadL_ZL6op_mulffEEfffJPKfS1_EEvPKT0_PKT1_PT2_15HIP_vector_typeIjLj3EESB_SB_jSB_SB_SB_SB_SB_SB_iiiiiiiiiiiDpT3_.private_seg_size, 0
	.set _ZL19k_bin_bcast_unravelIXadL_ZL6op_mulffEEfffJPKfS1_EEvPKT0_PKT1_PT2_15HIP_vector_typeIjLj3EESB_SB_jSB_SB_SB_SB_SB_SB_iiiiiiiiiiiDpT3_.uses_vcc, 1
	.set _ZL19k_bin_bcast_unravelIXadL_ZL6op_mulffEEfffJPKfS1_EEvPKT0_PKT1_PT2_15HIP_vector_typeIjLj3EESB_SB_jSB_SB_SB_SB_SB_SB_iiiiiiiiiiiDpT3_.uses_flat_scratch, 0
	.set _ZL19k_bin_bcast_unravelIXadL_ZL6op_mulffEEfffJPKfS1_EEvPKT0_PKT1_PT2_15HIP_vector_typeIjLj3EESB_SB_jSB_SB_SB_SB_SB_SB_iiiiiiiiiiiDpT3_.has_dyn_sized_stack, 0
	.set _ZL19k_bin_bcast_unravelIXadL_ZL6op_mulffEEfffJPKfS1_EEvPKT0_PKT1_PT2_15HIP_vector_typeIjLj3EESB_SB_jSB_SB_SB_SB_SB_SB_iiiiiiiiiiiDpT3_.has_recursion, 0
	.set _ZL19k_bin_bcast_unravelIXadL_ZL6op_mulffEEfffJPKfS1_EEvPKT0_PKT1_PT2_15HIP_vector_typeIjLj3EESB_SB_jSB_SB_SB_SB_SB_SB_iiiiiiiiiiiDpT3_.has_indirect_call, 0
	.section	.AMDGPU.csdata,"",@progbits
; Kernel info:
; codeLenInByte = 756
; TotalNumSgprs: 29
; NumVgprs: 12
; ScratchSize: 0
; MemoryBound: 0
; FloatMode: 240
; IeeeMode: 1
; LDSByteSize: 0 bytes/workgroup (compile time only)
; SGPRBlocks: 0
; VGPRBlocks: 0
; NumSGPRsForWavesPerEU: 29
; NumVGPRsForWavesPerEU: 12
; NamedBarCnt: 0
; Occupancy: 16
; WaveLimiterHint : 1
; COMPUTE_PGM_RSRC2:SCRATCH_EN: 0
; COMPUTE_PGM_RSRC2:USER_SGPR: 2
; COMPUTE_PGM_RSRC2:TRAP_HANDLER: 0
; COMPUTE_PGM_RSRC2:TGID_X_EN: 1
; COMPUTE_PGM_RSRC2:TGID_Y_EN: 0
; COMPUTE_PGM_RSRC2:TGID_Z_EN: 0
; COMPUTE_PGM_RSRC2:TIDIG_COMP_CNT: 0
	.section	.text._ZL11k_bin_bcastIXadL_ZL6op_mulffEEfffJPKfS1_EEvPKT0_PKT1_PT2_iii15HIP_vector_typeIjLj3EESB_SB_SB_SB_iiiiiiiiiiiDpT3_,"axG",@progbits,_ZL11k_bin_bcastIXadL_ZL6op_mulffEEfffJPKfS1_EEvPKT0_PKT1_PT2_iii15HIP_vector_typeIjLj3EESB_SB_SB_SB_iiiiiiiiiiiDpT3_,comdat
	.globl	_ZL11k_bin_bcastIXadL_ZL6op_mulffEEfffJPKfS1_EEvPKT0_PKT1_PT2_iii15HIP_vector_typeIjLj3EESB_SB_SB_SB_iiiiiiiiiiiDpT3_ ; -- Begin function _ZL11k_bin_bcastIXadL_ZL6op_mulffEEfffJPKfS1_EEvPKT0_PKT1_PT2_iii15HIP_vector_typeIjLj3EESB_SB_SB_SB_iiiiiiiiiiiDpT3_
	.p2align	8
	.type	_ZL11k_bin_bcastIXadL_ZL6op_mulffEEfffJPKfS1_EEvPKT0_PKT1_PT2_iii15HIP_vector_typeIjLj3EESB_SB_SB_SB_iiiiiiiiiiiDpT3_,@function
_ZL11k_bin_bcastIXadL_ZL6op_mulffEEfffJPKfS1_EEvPKT0_PKT1_PT2_iii15HIP_vector_typeIjLj3EESB_SB_SB_SB_iiiiiiiiiiiDpT3_: ; @_ZL11k_bin_bcastIXadL_ZL6op_mulffEEfffJPKfS1_EEvPKT0_PKT1_PT2_iii15HIP_vector_typeIjLj3EESB_SB_SB_SB_iiiiiiiiiiiDpT3_
; %bb.0:
	s_load_b64 s[2:3], s[0:1], 0xac
	s_bfe_u32 s5, ttmp6, 0x40014
	s_bfe_u32 s16, ttmp6, 0x40010
	;; [unrolled: 1-line block ×3, first 2 shown]
	s_lshr_b32 s4, ttmp7, 16
	s_add_co_i32 s5, s5, 1
	s_and_b32 s7, ttmp7, 0xffff
	s_load_b256 s[8:15], s[0:1], 0x18
	s_add_co_i32 s16, s16, 1
	s_add_co_i32 s19, s19, 1
	s_bfe_u32 s6, ttmp6, 0x40008
	s_mul_i32 s5, s4, s5
	s_bfe_u32 s17, ttmp6, 0x40004
	s_and_b32 s18, ttmp6, 15
	s_mul_i32 s16, s7, s16
	s_mul_i32 s19, ttmp9, s19
	s_add_co_i32 s6, s6, s5
	s_add_co_i32 s17, s17, s16
	;; [unrolled: 1-line block ×3, first 2 shown]
	v_bfe_u32 v1, v0, 20, 10
	s_wait_kmcnt 0x0
	s_lshr_b32 s5, s2, 16
	s_and_b32 s33, s2, 0xffff
	s_getreg_b32 s2, hwreg(HW_REG_IB_STS2, 6, 4)
	s_and_b32 s3, s3, 0xffff
	s_cmp_eq_u32 s2, 0
	v_and_b32_e32 v2, 0x3ff, v0
	s_cselect_b32 s2, s4, s6
	v_bfe_u32 v4, v0, 10, 10
	v_mad_u32 v3, s2, s3, v1
	s_cselect_b32 s2, ttmp9, s18
	s_cselect_b32 s3, s7, s17
	v_mad_u32 v0, s2, s33, v2
	v_mad_u32 v2, s3, s5, v4
	s_delay_alu instid0(VALU_DEP_3) | instskip(NEXT) | instid1(VALU_DEP_3)
	v_mul_hi_u32 v1, v3, s11
	v_cmp_gt_u32_e32 vcc_lo, s8, v0
	s_delay_alu instid0(VALU_DEP_3) | instskip(SKIP_2) | instid1(VALU_DEP_1)
	v_cmp_gt_u32_e64 s2, s9, v2
	s_and_b32 s2, vcc_lo, s2
	v_add_nc_u32_e32 v1, v3, v1
	v_lshrrev_b32_e32 v1, s12, v1
	s_delay_alu instid0(VALU_DEP_1) | instskip(SKIP_3) | instid1(VALU_DEP_1)
	v_mul_lo_u32 v5, v1, s13
	v_cmp_gt_u32_e64 s3, s10, v1
	s_and_b32 s2, s2, s3
	v_sub_nc_u32_e32 v3, v3, v5
	v_cmp_gt_u32_e64 s4, s13, v3
	s_and_b32 s2, s2, s4
	s_delay_alu instid0(SALU_CYCLE_1)
	s_and_saveexec_b32 s3, s2
	s_cbranch_execz .LBB97_6
; %bb.1:
	v_cmp_gt_i32_e32 vcc_lo, s8, v0
	s_and_b32 exec_lo, exec_lo, vcc_lo
	s_cbranch_execz .LBB97_6
; %bb.2:
	s_clause 0x4
	s_load_b256 s[24:31], s[0:1], 0x3c
	s_load_b32 s2, s[0:1], 0x5c
	s_load_b256 s[16:23], s[0:1], 0x60
	s_load_b96 s[36:38], s[0:1], 0x80
	s_load_b128 s[4:7], s[0:1], 0x90
	s_add_nc_u64 s[10:11], s[0:1], 0xa0
	s_load_b64 s[12:13], s[0:1], 0x10
	s_wait_kmcnt 0x0
	v_mul_hi_u32 v4, s30, v3
	v_mul_hi_u32 v5, s27, v1
	;; [unrolled: 1-line block ×3, first 2 shown]
	v_mul_lo_u32 v7, v2, s20
	v_mul_lo_u32 v8, v2, s16
	s_load_b32 s9, s[10:11], 0x0
	s_load_b32 s16, s[0:1], 0x38
	s_delay_alu instid0(VALU_DEP_4) | instskip(NEXT) | instid1(VALU_DEP_3)
	v_dual_add_nc_u32 v4, v3, v4 :: v_dual_add_nc_u32 v5, v1, v5
	v_mad_u32 v7, v1, s21, v7
	s_delay_alu instid0(VALU_DEP_3) | instskip(NEXT) | instid1(VALU_DEP_3)
	v_mad_u32 v8, v1, s17, v8
	v_dual_lshrrev_b32 v4, s31, v4 :: v_dual_lshrrev_b32 v5, s28, v5
	s_delay_alu instid0(VALU_DEP_1) | instskip(SKIP_1) | instid1(VALU_DEP_3)
	v_mul_lo_u32 v4, v4, s2
	v_add_nc_u32_e32 v6, v2, v6
	v_mul_lo_u32 v5, v5, s29
	s_load_b64 s[2:3], s[0:1], 0x0
	s_wait_xcnt 0x0
	s_mov_b32 s1, 0
	v_mad_u32 v8, v3, s18, v8
	s_mov_b32 s0, s14
	s_mov_b32 s11, s1
	s_delay_alu instid0(VALU_DEP_4) | instskip(NEXT) | instid1(VALU_DEP_3)
	v_dual_sub_nc_u32 v4, v3, v4 :: v_dual_lshrrev_b32 v6, s25, v6
	v_sub_nc_u32_e32 v5, v1, v5
	s_delay_alu instid0(VALU_DEP_2) | instskip(NEXT) | instid1(VALU_DEP_3)
	v_mul_lo_u32 v9, v4, s38
	v_mul_lo_u32 v6, v6, s26
	v_mad_u32 v4, v3, s22, v7
	v_mov_b32_e32 v1, 0
	s_wait_kmcnt 0x0
	s_cmp_lg_u64 s[2:3], 0
	s_delay_alu instid0(VALU_DEP_4) | instskip(NEXT) | instid1(VALU_DEP_4)
	v_mad_u32 v7, v5, s37, v9
	v_sub_nc_u32_e32 v2, v2, v6
	v_mul_lo_u32 v6, s19, v0
	v_dual_mov_b32 v5, v1 :: v_dual_mov_b32 v9, v1
	v_mov_b32_e32 v3, v1
	s_delay_alu instid0(VALU_DEP_2) | instskip(NEXT) | instid1(VALU_DEP_3)
	v_lshl_add_u64 v[4:5], v[4:5], 2, s[2:3]
	v_lshl_add_u64 v[8:9], v[8:9], 2, s[12:13]
	s_mul_i32 s2, s9, s33
	v_mad_u32 v2, v2, s36, v7
	s_cselect_b32 s3, -1, 0
	s_mul_i32 s9, s2, s19
	s_sub_co_i32 s10, 0, s16
	s_branch .LBB97_4
.LBB97_3:                               ;   in Loop: Header=BB97_4 Depth=1
	s_wait_xcnt 0x0
	v_mul_u64_e32 v[10:11], s[0:1], v[0:1]
	s_delay_alu instid0(VALU_DEP_1) | instskip(NEXT) | instid1(VALU_DEP_1)
	v_dual_add_nc_u32 v6, s9, v6 :: v_dual_add_nc_u32 v10, v0, v11
	v_dual_mov_b32 v11, v1 :: v_dual_lshrrev_b32 v10, s15, v10
	s_delay_alu instid0(VALU_DEP_1) | instskip(NEXT) | instid1(VALU_DEP_1)
	v_mad_u32 v10, s10, v10, v0
	v_mul_lo_u32 v10, v10, s23
	s_delay_alu instid0(VALU_DEP_1) | instskip(NEXT) | instid1(VALU_DEP_1)
	v_add_nc_u64_e32 v[10:11], v[10:11], v[2:3]
	v_lshlrev_b64_e32 v[10:11], 2, v[10:11]
	s_delay_alu instid0(VALU_DEP_1)
	v_add_nc_u64_e32 v[12:13], s[4:5], v[10:11]
	v_add_nc_u64_e32 v[10:11], s[6:7], v[10:11]
	global_load_b32 v14, v[12:13], off
	global_load_b32 v15, v[10:11], off
	s_wait_xcnt 0x0
	v_dual_mov_b32 v10, v0 :: v_dual_ashrrev_i32 v11, 31, v0
	v_add_nc_u32_e32 v0, s2, v0
	s_delay_alu instid0(VALU_DEP_2) | instskip(NEXT) | instid1(VALU_DEP_2)
	v_lshl_add_u64 v[10:11], v[10:11], 2, v[8:9]
	v_cmp_le_i32_e32 vcc_lo, s8, v0
	s_or_b32 s11, vcc_lo, s11
	s_wait_loadcnt 0x1
	v_mul_f32_e32 v7, v7, v14
	s_wait_loadcnt 0x0
	s_delay_alu instid0(VALU_DEP_1)
	v_mul_f32_e32 v7, v7, v15
	global_store_b32 v[10:11], v7, off
	s_wait_xcnt 0x0
	s_and_not1_b32 exec_lo, exec_lo, s11
	s_cbranch_execz .LBB97_6
.LBB97_4:                               ; =>This Inner Loop Header: Depth=1
	v_mov_b32_e32 v7, 0
	s_and_not1_b32 vcc_lo, exec_lo, s3
	s_cbranch_vccnz .LBB97_3
; %bb.5:                                ;   in Loop: Header=BB97_4 Depth=1
	v_ashrrev_i32_e32 v7, 31, v6
	s_delay_alu instid0(VALU_DEP_1)
	v_lshl_add_u64 v[10:11], v[6:7], 2, v[4:5]
	global_load_b32 v7, v[10:11], off
	s_branch .LBB97_3
.LBB97_6:
	s_endpgm
	.section	.rodata,"a",@progbits
	.p2align	6, 0x0
	.amdhsa_kernel _ZL11k_bin_bcastIXadL_ZL6op_mulffEEfffJPKfS1_EEvPKT0_PKT1_PT2_iii15HIP_vector_typeIjLj3EESB_SB_SB_SB_iiiiiiiiiiiDpT3_
		.amdhsa_group_segment_fixed_size 0
		.amdhsa_private_segment_fixed_size 0
		.amdhsa_kernarg_size 416
		.amdhsa_user_sgpr_count 2
		.amdhsa_user_sgpr_dispatch_ptr 0
		.amdhsa_user_sgpr_queue_ptr 0
		.amdhsa_user_sgpr_kernarg_segment_ptr 1
		.amdhsa_user_sgpr_dispatch_id 0
		.amdhsa_user_sgpr_kernarg_preload_length 0
		.amdhsa_user_sgpr_kernarg_preload_offset 0
		.amdhsa_user_sgpr_private_segment_size 0
		.amdhsa_wavefront_size32 1
		.amdhsa_uses_dynamic_stack 0
		.amdhsa_enable_private_segment 0
		.amdhsa_system_sgpr_workgroup_id_x 1
		.amdhsa_system_sgpr_workgroup_id_y 1
		.amdhsa_system_sgpr_workgroup_id_z 1
		.amdhsa_system_sgpr_workgroup_info 0
		.amdhsa_system_vgpr_workitem_id 2
		.amdhsa_next_free_vgpr 16
		.amdhsa_next_free_sgpr 39
		.amdhsa_named_barrier_count 0
		.amdhsa_reserve_vcc 1
		.amdhsa_float_round_mode_32 0
		.amdhsa_float_round_mode_16_64 0
		.amdhsa_float_denorm_mode_32 3
		.amdhsa_float_denorm_mode_16_64 3
		.amdhsa_fp16_overflow 0
		.amdhsa_memory_ordered 1
		.amdhsa_forward_progress 1
		.amdhsa_inst_pref_size 8
		.amdhsa_round_robin_scheduling 0
		.amdhsa_exception_fp_ieee_invalid_op 0
		.amdhsa_exception_fp_denorm_src 0
		.amdhsa_exception_fp_ieee_div_zero 0
		.amdhsa_exception_fp_ieee_overflow 0
		.amdhsa_exception_fp_ieee_underflow 0
		.amdhsa_exception_fp_ieee_inexact 0
		.amdhsa_exception_int_div_zero 0
	.end_amdhsa_kernel
	.section	.text._ZL11k_bin_bcastIXadL_ZL6op_mulffEEfffJPKfS1_EEvPKT0_PKT1_PT2_iii15HIP_vector_typeIjLj3EESB_SB_SB_SB_iiiiiiiiiiiDpT3_,"axG",@progbits,_ZL11k_bin_bcastIXadL_ZL6op_mulffEEfffJPKfS1_EEvPKT0_PKT1_PT2_iii15HIP_vector_typeIjLj3EESB_SB_SB_SB_iiiiiiiiiiiDpT3_,comdat
.Lfunc_end97:
	.size	_ZL11k_bin_bcastIXadL_ZL6op_mulffEEfffJPKfS1_EEvPKT0_PKT1_PT2_iii15HIP_vector_typeIjLj3EESB_SB_SB_SB_iiiiiiiiiiiDpT3_, .Lfunc_end97-_ZL11k_bin_bcastIXadL_ZL6op_mulffEEfffJPKfS1_EEvPKT0_PKT1_PT2_iii15HIP_vector_typeIjLj3EESB_SB_SB_SB_iiiiiiiiiiiDpT3_
                                        ; -- End function
	.set _ZL11k_bin_bcastIXadL_ZL6op_mulffEEfffJPKfS1_EEvPKT0_PKT1_PT2_iii15HIP_vector_typeIjLj3EESB_SB_SB_SB_iiiiiiiiiiiDpT3_.num_vgpr, 16
	.set _ZL11k_bin_bcastIXadL_ZL6op_mulffEEfffJPKfS1_EEvPKT0_PKT1_PT2_iii15HIP_vector_typeIjLj3EESB_SB_SB_SB_iiiiiiiiiiiDpT3_.num_agpr, 0
	.set _ZL11k_bin_bcastIXadL_ZL6op_mulffEEfffJPKfS1_EEvPKT0_PKT1_PT2_iii15HIP_vector_typeIjLj3EESB_SB_SB_SB_iiiiiiiiiiiDpT3_.numbered_sgpr, 39
	.set _ZL11k_bin_bcastIXadL_ZL6op_mulffEEfffJPKfS1_EEvPKT0_PKT1_PT2_iii15HIP_vector_typeIjLj3EESB_SB_SB_SB_iiiiiiiiiiiDpT3_.num_named_barrier, 0
	.set _ZL11k_bin_bcastIXadL_ZL6op_mulffEEfffJPKfS1_EEvPKT0_PKT1_PT2_iii15HIP_vector_typeIjLj3EESB_SB_SB_SB_iiiiiiiiiiiDpT3_.private_seg_size, 0
	.set _ZL11k_bin_bcastIXadL_ZL6op_mulffEEfffJPKfS1_EEvPKT0_PKT1_PT2_iii15HIP_vector_typeIjLj3EESB_SB_SB_SB_iiiiiiiiiiiDpT3_.uses_vcc, 1
	.set _ZL11k_bin_bcastIXadL_ZL6op_mulffEEfffJPKfS1_EEvPKT0_PKT1_PT2_iii15HIP_vector_typeIjLj3EESB_SB_SB_SB_iiiiiiiiiiiDpT3_.uses_flat_scratch, 0
	.set _ZL11k_bin_bcastIXadL_ZL6op_mulffEEfffJPKfS1_EEvPKT0_PKT1_PT2_iii15HIP_vector_typeIjLj3EESB_SB_SB_SB_iiiiiiiiiiiDpT3_.has_dyn_sized_stack, 0
	.set _ZL11k_bin_bcastIXadL_ZL6op_mulffEEfffJPKfS1_EEvPKT0_PKT1_PT2_iii15HIP_vector_typeIjLj3EESB_SB_SB_SB_iiiiiiiiiiiDpT3_.has_recursion, 0
	.set _ZL11k_bin_bcastIXadL_ZL6op_mulffEEfffJPKfS1_EEvPKT0_PKT1_PT2_iii15HIP_vector_typeIjLj3EESB_SB_SB_SB_iiiiiiiiiiiDpT3_.has_indirect_call, 0
	.section	.AMDGPU.csdata,"",@progbits
; Kernel info:
; codeLenInByte = 904
; TotalNumSgprs: 41
; NumVgprs: 16
; ScratchSize: 0
; MemoryBound: 0
; FloatMode: 240
; IeeeMode: 1
; LDSByteSize: 0 bytes/workgroup (compile time only)
; SGPRBlocks: 0
; VGPRBlocks: 0
; NumSGPRsForWavesPerEU: 41
; NumVGPRsForWavesPerEU: 16
; NamedBarCnt: 0
; Occupancy: 16
; WaveLimiterHint : 1
; COMPUTE_PGM_RSRC2:SCRATCH_EN: 0
; COMPUTE_PGM_RSRC2:USER_SGPR: 2
; COMPUTE_PGM_RSRC2:TRAP_HANDLER: 0
; COMPUTE_PGM_RSRC2:TGID_X_EN: 1
; COMPUTE_PGM_RSRC2:TGID_Y_EN: 1
; COMPUTE_PGM_RSRC2:TGID_Z_EN: 1
; COMPUTE_PGM_RSRC2:TIDIG_COMP_CNT: 2
	.section	.text._ZL19k_bin_bcast_unravelIXadL_ZL6op_mulffEE6__halfS0_S0_JPKS0_S2_EEvPKT0_PKT1_PT2_15HIP_vector_typeIjLj3EESC_SC_jSC_SC_SC_SC_SC_SC_iiiiiiiiiiiDpT3_,"axG",@progbits,_ZL19k_bin_bcast_unravelIXadL_ZL6op_mulffEE6__halfS0_S0_JPKS0_S2_EEvPKT0_PKT1_PT2_15HIP_vector_typeIjLj3EESC_SC_jSC_SC_SC_SC_SC_SC_iiiiiiiiiiiDpT3_,comdat
	.globl	_ZL19k_bin_bcast_unravelIXadL_ZL6op_mulffEE6__halfS0_S0_JPKS0_S2_EEvPKT0_PKT1_PT2_15HIP_vector_typeIjLj3EESC_SC_jSC_SC_SC_SC_SC_SC_iiiiiiiiiiiDpT3_ ; -- Begin function _ZL19k_bin_bcast_unravelIXadL_ZL6op_mulffEE6__halfS0_S0_JPKS0_S2_EEvPKT0_PKT1_PT2_15HIP_vector_typeIjLj3EESC_SC_jSC_SC_SC_SC_SC_SC_iiiiiiiiiiiDpT3_
	.p2align	8
	.type	_ZL19k_bin_bcast_unravelIXadL_ZL6op_mulffEE6__halfS0_S0_JPKS0_S2_EEvPKT0_PKT1_PT2_15HIP_vector_typeIjLj3EESC_SC_jSC_SC_SC_SC_SC_SC_iiiiiiiiiiiDpT3_,@function
_ZL19k_bin_bcast_unravelIXadL_ZL6op_mulffEE6__halfS0_S0_JPKS0_S2_EEvPKT0_PKT1_PT2_15HIP_vector_typeIjLj3EESC_SC_jSC_SC_SC_SC_SC_SC_iiiiiiiiiiiDpT3_: ; @_ZL19k_bin_bcast_unravelIXadL_ZL6op_mulffEE6__halfS0_S0_JPKS0_S2_EEvPKT0_PKT1_PT2_15HIP_vector_typeIjLj3EESC_SC_jSC_SC_SC_SC_SC_SC_iiiiiiiiiiiDpT3_
; %bb.0:
	s_load_b32 s2, s[0:1], 0xd4
	s_bfe_u32 s3, ttmp6, 0x4000c
	s_load_b256 s[4:11], s[0:1], 0x38
	s_add_co_i32 s3, s3, 1
	s_and_b32 s12, ttmp6, 15
	s_mul_i32 s3, ttmp9, s3
	s_getreg_b32 s13, hwreg(HW_REG_IB_STS2, 6, 4)
	s_add_co_i32 s12, s12, s3
	s_wait_kmcnt 0x0
	s_and_b32 s2, s2, 0xffff
	s_cmp_eq_u32 s13, 0
	s_cselect_b32 s3, ttmp9, s12
	s_delay_alu instid0(SALU_CYCLE_1) | instskip(SKIP_1) | instid1(VALU_DEP_1)
	v_mad_u32 v0, s3, s2, v0
	s_load_b32 s2, s[0:1], 0x2c
	v_mul_hi_u32 v1, v0, s6
	s_delay_alu instid0(VALU_DEP_1) | instskip(NEXT) | instid1(VALU_DEP_1)
	v_add_nc_u32_e32 v1, v0, v1
	v_lshrrev_b32_e32 v1, s7, v1
	s_delay_alu instid0(VALU_DEP_1) | instskip(NEXT) | instid1(VALU_DEP_1)
	v_mul_lo_u32 v2, v1, s8
	v_sub_nc_u32_e32 v0, v0, v2
	s_delay_alu instid0(VALU_DEP_1) | instskip(NEXT) | instid1(VALU_DEP_1)
	v_mul_hi_u32 v2, v0, s9
	v_add_nc_u32_e32 v2, v0, v2
	s_delay_alu instid0(VALU_DEP_1) | instskip(SKIP_1) | instid1(VALU_DEP_1)
	v_lshrrev_b32_e32 v2, s10, v2
	s_load_b96 s[8:10], s[0:1], 0x18
	v_mul_lo_u32 v3, v2, s11
	s_delay_alu instid0(VALU_DEP_1) | instskip(SKIP_3) | instid1(VALU_DEP_3)
	v_sub_nc_u32_e32 v0, v0, v3
	v_cmp_gt_u32_e64 s3, s4, v2
	v_cmp_gt_u32_e64 s4, s5, v1
	s_wait_kmcnt 0x0
	v_mul_hi_u32 v3, v0, s8
	s_delay_alu instid0(VALU_DEP_1) | instskip(NEXT) | instid1(VALU_DEP_1)
	v_add_nc_u32_e32 v3, v0, v3
	v_lshrrev_b32_e32 v4, s9, v3
	s_delay_alu instid0(VALU_DEP_1) | instskip(NEXT) | instid1(VALU_DEP_1)
	v_mul_lo_u32 v3, v4, s10
	v_sub_nc_u32_e32 v0, v0, v3
	v_cmp_gt_u32_e64 s2, s2, v4
	s_delay_alu instid0(VALU_DEP_2) | instskip(SKIP_1) | instid1(SALU_CYCLE_1)
	v_cmp_gt_u32_e32 vcc_lo, s10, v0
	s_and_b32 s2, vcc_lo, s2
	s_and_b32 s2, s2, s3
	s_delay_alu instid0(SALU_CYCLE_1) | instskip(NEXT) | instid1(SALU_CYCLE_1)
	s_and_b32 s2, s4, s2
	s_and_saveexec_b32 s3, s2
	s_cbranch_execz .LBB98_4
; %bb.1:
	s_clause 0x4
	s_load_b64 s[2:3], s[0:1], 0x0
	s_load_b96 s[24:26], s[0:1], 0xa8
	s_load_b256 s[4:11], s[0:1], 0x88
	s_load_b128 s[20:23], s[0:1], 0x78
	s_load_b256 s[12:19], s[0:1], 0x58
	v_dual_mov_b32 v3, 0 :: v_dual_mov_b32 v5, 0
	s_wait_kmcnt 0x0
	s_cmp_eq_u64 s[2:3], 0
	s_cbranch_scc1 .LBB98_3
; %bb.2:
	v_mul_lo_u32 v5, v1, s10
	v_mov_b32_e32 v7, 0
	s_delay_alu instid0(VALU_DEP_2) | instskip(NEXT) | instid1(VALU_DEP_1)
	v_mad_u32 v5, v2, s9, v5
	v_mad_u32 v6, v4, s8, v5
	s_delay_alu instid0(VALU_DEP_1) | instskip(SKIP_1) | instid1(VALU_DEP_1)
	v_lshl_add_u64 v[8:9], v[6:7], 1, s[2:3]
	v_mul_lo_u32 v6, v0, s7
	v_lshl_add_u64 v[6:7], v[6:7], 1, v[8:9]
	global_load_u16 v5, v[6:7], off
	s_wait_loadcnt 0x0
	v_cvt_f32_f16_e32 v5, v5
.LBB98_3:
	v_mul_hi_u32 v6, s21, v1
	v_mul_hi_u32 v7, s18, v2
	;; [unrolled: 1-line block ×4, first 2 shown]
	s_delay_alu instid0(VALU_DEP_3) | instskip(NEXT) | instid1(VALU_DEP_1)
	v_dual_add_nc_u32 v6, v1, v6 :: v_dual_add_nc_u32 v7, v2, v7
	v_dual_lshrrev_b32 v6, s22, v6 :: v_dual_lshrrev_b32 v7, s19, v7
	s_delay_alu instid0(VALU_DEP_1) | instskip(SKIP_1) | instid1(VALU_DEP_3)
	v_mul_lo_u32 v6, v6, s23
	v_add_nc_u32_e32 v8, v4, v8
	v_mul_lo_u32 v7, v7, s20
	s_delay_alu instid0(VALU_DEP_3) | instskip(NEXT) | instid1(VALU_DEP_3)
	v_dual_sub_nc_u32 v6, v1, v6 :: v_dual_add_nc_u32 v9, v0, v9
	v_lshrrev_b32_e32 v8, s16, v8
	v_mul_lo_u32 v1, v1, s6
	s_delay_alu instid0(VALU_DEP_4) | instskip(NEXT) | instid1(VALU_DEP_4)
	v_sub_nc_u32_e32 v7, v2, v7
	v_mul_lo_u32 v6, v6, s26
	v_lshrrev_b32_e32 v9, s13, v9
	v_mul_lo_u32 v8, v8, s17
	s_delay_alu instid0(VALU_DEP_2) | instskip(SKIP_2) | instid1(VALU_DEP_4)
	v_mul_lo_u32 v9, v9, s14
	v_mad_u32 v1, v2, s5, v1
	v_mad_u32 v7, v7, s25, v6
	v_sub_nc_u32_e32 v8, v4, v8
	s_delay_alu instid0(VALU_DEP_3) | instskip(NEXT) | instid1(VALU_DEP_2)
	v_mad_u32 v2, v4, s4, v1
	v_mad_u32 v8, v8, s24, v7
	s_delay_alu instid0(VALU_DEP_1) | instskip(NEXT) | instid1(VALU_DEP_1)
	v_dual_sub_nc_u32 v6, v0, v9 :: v_dual_ashrrev_i32 v9, 31, v8
	v_mul_lo_u32 v6, v6, s11
	s_load_b128 s[8:11], s[0:1], 0xb8
	s_delay_alu instid0(VALU_DEP_1) | instskip(SKIP_2) | instid1(VALU_DEP_1)
	v_ashrrev_i32_e32 v7, 31, v6
	s_wait_xcnt 0x0
	s_load_b64 s[0:1], s[0:1], 0x10
	v_add_nc_u64_e32 v[6:7], v[6:7], v[8:9]
	s_delay_alu instid0(VALU_DEP_1) | instskip(SKIP_1) | instid1(VALU_DEP_1)
	v_lshlrev_b64_e32 v[6:7], 1, v[6:7]
	s_wait_kmcnt 0x0
	v_add_nc_u64_e32 v[8:9], s[8:9], v[6:7]
	v_add_nc_u64_e32 v[6:7], s[10:11], v[6:7]
	global_load_u16 v8, v[8:9], off
	global_load_u16 v6, v[6:7], off
	s_wait_loadcnt 0x1
	v_cvt_f32_f16_e32 v4, v8
	v_mov_b32_e32 v1, v3
	v_lshl_add_u64 v[2:3], v[2:3], 1, s[0:1]
	s_delay_alu instid0(VALU_DEP_3) | instskip(NEXT) | instid1(VALU_DEP_2)
	v_mul_f32_e32 v4, v5, v4
	v_lshl_add_u64 v[0:1], v[0:1], 1, v[2:3]
	s_wait_loadcnt 0x0
	s_delay_alu instid0(VALU_DEP_2)
	v_fma_mixlo_f16 v4, v4, v6, 0 op_sel_hi:[0,1,0]
	global_store_b16 v[0:1], v4, off
.LBB98_4:
	s_endpgm
	.section	.rodata,"a",@progbits
	.p2align	6, 0x0
	.amdhsa_kernel _ZL19k_bin_bcast_unravelIXadL_ZL6op_mulffEE6__halfS0_S0_JPKS0_S2_EEvPKT0_PKT1_PT2_15HIP_vector_typeIjLj3EESC_SC_jSC_SC_SC_SC_SC_SC_iiiiiiiiiiiDpT3_
		.amdhsa_group_segment_fixed_size 0
		.amdhsa_private_segment_fixed_size 0
		.amdhsa_kernarg_size 456
		.amdhsa_user_sgpr_count 2
		.amdhsa_user_sgpr_dispatch_ptr 0
		.amdhsa_user_sgpr_queue_ptr 0
		.amdhsa_user_sgpr_kernarg_segment_ptr 1
		.amdhsa_user_sgpr_dispatch_id 0
		.amdhsa_user_sgpr_kernarg_preload_length 0
		.amdhsa_user_sgpr_kernarg_preload_offset 0
		.amdhsa_user_sgpr_private_segment_size 0
		.amdhsa_wavefront_size32 1
		.amdhsa_uses_dynamic_stack 0
		.amdhsa_enable_private_segment 0
		.amdhsa_system_sgpr_workgroup_id_x 1
		.amdhsa_system_sgpr_workgroup_id_y 0
		.amdhsa_system_sgpr_workgroup_id_z 0
		.amdhsa_system_sgpr_workgroup_info 0
		.amdhsa_system_vgpr_workitem_id 0
		.amdhsa_next_free_vgpr 10
		.amdhsa_next_free_sgpr 27
		.amdhsa_named_barrier_count 0
		.amdhsa_reserve_vcc 1
		.amdhsa_float_round_mode_32 0
		.amdhsa_float_round_mode_16_64 0
		.amdhsa_float_denorm_mode_32 3
		.amdhsa_float_denorm_mode_16_64 3
		.amdhsa_fp16_overflow 0
		.amdhsa_memory_ordered 1
		.amdhsa_forward_progress 1
		.amdhsa_inst_pref_size 7
		.amdhsa_round_robin_scheduling 0
		.amdhsa_exception_fp_ieee_invalid_op 0
		.amdhsa_exception_fp_denorm_src 0
		.amdhsa_exception_fp_ieee_div_zero 0
		.amdhsa_exception_fp_ieee_overflow 0
		.amdhsa_exception_fp_ieee_underflow 0
		.amdhsa_exception_fp_ieee_inexact 0
		.amdhsa_exception_int_div_zero 0
	.end_amdhsa_kernel
	.section	.text._ZL19k_bin_bcast_unravelIXadL_ZL6op_mulffEE6__halfS0_S0_JPKS0_S2_EEvPKT0_PKT1_PT2_15HIP_vector_typeIjLj3EESC_SC_jSC_SC_SC_SC_SC_SC_iiiiiiiiiiiDpT3_,"axG",@progbits,_ZL19k_bin_bcast_unravelIXadL_ZL6op_mulffEE6__halfS0_S0_JPKS0_S2_EEvPKT0_PKT1_PT2_15HIP_vector_typeIjLj3EESC_SC_jSC_SC_SC_SC_SC_SC_iiiiiiiiiiiDpT3_,comdat
.Lfunc_end98:
	.size	_ZL19k_bin_bcast_unravelIXadL_ZL6op_mulffEE6__halfS0_S0_JPKS0_S2_EEvPKT0_PKT1_PT2_15HIP_vector_typeIjLj3EESC_SC_jSC_SC_SC_SC_SC_SC_iiiiiiiiiiiDpT3_, .Lfunc_end98-_ZL19k_bin_bcast_unravelIXadL_ZL6op_mulffEE6__halfS0_S0_JPKS0_S2_EEvPKT0_PKT1_PT2_15HIP_vector_typeIjLj3EESC_SC_jSC_SC_SC_SC_SC_SC_iiiiiiiiiiiDpT3_
                                        ; -- End function
	.set _ZL19k_bin_bcast_unravelIXadL_ZL6op_mulffEE6__halfS0_S0_JPKS0_S2_EEvPKT0_PKT1_PT2_15HIP_vector_typeIjLj3EESC_SC_jSC_SC_SC_SC_SC_SC_iiiiiiiiiiiDpT3_.num_vgpr, 10
	.set _ZL19k_bin_bcast_unravelIXadL_ZL6op_mulffEE6__halfS0_S0_JPKS0_S2_EEvPKT0_PKT1_PT2_15HIP_vector_typeIjLj3EESC_SC_jSC_SC_SC_SC_SC_SC_iiiiiiiiiiiDpT3_.num_agpr, 0
	.set _ZL19k_bin_bcast_unravelIXadL_ZL6op_mulffEE6__halfS0_S0_JPKS0_S2_EEvPKT0_PKT1_PT2_15HIP_vector_typeIjLj3EESC_SC_jSC_SC_SC_SC_SC_SC_iiiiiiiiiiiDpT3_.numbered_sgpr, 27
	.set _ZL19k_bin_bcast_unravelIXadL_ZL6op_mulffEE6__halfS0_S0_JPKS0_S2_EEvPKT0_PKT1_PT2_15HIP_vector_typeIjLj3EESC_SC_jSC_SC_SC_SC_SC_SC_iiiiiiiiiiiDpT3_.num_named_barrier, 0
	.set _ZL19k_bin_bcast_unravelIXadL_ZL6op_mulffEE6__halfS0_S0_JPKS0_S2_EEvPKT0_PKT1_PT2_15HIP_vector_typeIjLj3EESC_SC_jSC_SC_SC_SC_SC_SC_iiiiiiiiiiiDpT3_.private_seg_size, 0
	.set _ZL19k_bin_bcast_unravelIXadL_ZL6op_mulffEE6__halfS0_S0_JPKS0_S2_EEvPKT0_PKT1_PT2_15HIP_vector_typeIjLj3EESC_SC_jSC_SC_SC_SC_SC_SC_iiiiiiiiiiiDpT3_.uses_vcc, 1
	.set _ZL19k_bin_bcast_unravelIXadL_ZL6op_mulffEE6__halfS0_S0_JPKS0_S2_EEvPKT0_PKT1_PT2_15HIP_vector_typeIjLj3EESC_SC_jSC_SC_SC_SC_SC_SC_iiiiiiiiiiiDpT3_.uses_flat_scratch, 0
	.set _ZL19k_bin_bcast_unravelIXadL_ZL6op_mulffEE6__halfS0_S0_JPKS0_S2_EEvPKT0_PKT1_PT2_15HIP_vector_typeIjLj3EESC_SC_jSC_SC_SC_SC_SC_SC_iiiiiiiiiiiDpT3_.has_dyn_sized_stack, 0
	.set _ZL19k_bin_bcast_unravelIXadL_ZL6op_mulffEE6__halfS0_S0_JPKS0_S2_EEvPKT0_PKT1_PT2_15HIP_vector_typeIjLj3EESC_SC_jSC_SC_SC_SC_SC_SC_iiiiiiiiiiiDpT3_.has_recursion, 0
	.set _ZL19k_bin_bcast_unravelIXadL_ZL6op_mulffEE6__halfS0_S0_JPKS0_S2_EEvPKT0_PKT1_PT2_15HIP_vector_typeIjLj3EESC_SC_jSC_SC_SC_SC_SC_SC_iiiiiiiiiiiDpT3_.has_indirect_call, 0
	.section	.AMDGPU.csdata,"",@progbits
; Kernel info:
; codeLenInByte = 772
; TotalNumSgprs: 29
; NumVgprs: 10
; ScratchSize: 0
; MemoryBound: 0
; FloatMode: 240
; IeeeMode: 1
; LDSByteSize: 0 bytes/workgroup (compile time only)
; SGPRBlocks: 0
; VGPRBlocks: 0
; NumSGPRsForWavesPerEU: 29
; NumVGPRsForWavesPerEU: 10
; NamedBarCnt: 0
; Occupancy: 16
; WaveLimiterHint : 1
; COMPUTE_PGM_RSRC2:SCRATCH_EN: 0
; COMPUTE_PGM_RSRC2:USER_SGPR: 2
; COMPUTE_PGM_RSRC2:TRAP_HANDLER: 0
; COMPUTE_PGM_RSRC2:TGID_X_EN: 1
; COMPUTE_PGM_RSRC2:TGID_Y_EN: 0
; COMPUTE_PGM_RSRC2:TGID_Z_EN: 0
; COMPUTE_PGM_RSRC2:TIDIG_COMP_CNT: 0
	.section	.text._ZL11k_bin_bcastIXadL_ZL6op_mulffEE6__halfS0_S0_JPKS0_S2_EEvPKT0_PKT1_PT2_iii15HIP_vector_typeIjLj3EESC_SC_SC_SC_iiiiiiiiiiiDpT3_,"axG",@progbits,_ZL11k_bin_bcastIXadL_ZL6op_mulffEE6__halfS0_S0_JPKS0_S2_EEvPKT0_PKT1_PT2_iii15HIP_vector_typeIjLj3EESC_SC_SC_SC_iiiiiiiiiiiDpT3_,comdat
	.globl	_ZL11k_bin_bcastIXadL_ZL6op_mulffEE6__halfS0_S0_JPKS0_S2_EEvPKT0_PKT1_PT2_iii15HIP_vector_typeIjLj3EESC_SC_SC_SC_iiiiiiiiiiiDpT3_ ; -- Begin function _ZL11k_bin_bcastIXadL_ZL6op_mulffEE6__halfS0_S0_JPKS0_S2_EEvPKT0_PKT1_PT2_iii15HIP_vector_typeIjLj3EESC_SC_SC_SC_iiiiiiiiiiiDpT3_
	.p2align	8
	.type	_ZL11k_bin_bcastIXadL_ZL6op_mulffEE6__halfS0_S0_JPKS0_S2_EEvPKT0_PKT1_PT2_iii15HIP_vector_typeIjLj3EESC_SC_SC_SC_iiiiiiiiiiiDpT3_,@function
_ZL11k_bin_bcastIXadL_ZL6op_mulffEE6__halfS0_S0_JPKS0_S2_EEvPKT0_PKT1_PT2_iii15HIP_vector_typeIjLj3EESC_SC_SC_SC_iiiiiiiiiiiDpT3_: ; @_ZL11k_bin_bcastIXadL_ZL6op_mulffEE6__halfS0_S0_JPKS0_S2_EEvPKT0_PKT1_PT2_iii15HIP_vector_typeIjLj3EESC_SC_SC_SC_iiiiiiiiiiiDpT3_
; %bb.0:
	s_load_b64 s[2:3], s[0:1], 0xac
	s_bfe_u32 s5, ttmp6, 0x40014
	s_bfe_u32 s16, ttmp6, 0x40010
	s_bfe_u32 s19, ttmp6, 0x4000c
	s_lshr_b32 s4, ttmp7, 16
	s_add_co_i32 s5, s5, 1
	s_and_b32 s7, ttmp7, 0xffff
	s_load_b256 s[8:15], s[0:1], 0x18
	s_add_co_i32 s16, s16, 1
	s_add_co_i32 s19, s19, 1
	s_bfe_u32 s6, ttmp6, 0x40008
	s_mul_i32 s5, s4, s5
	s_bfe_u32 s17, ttmp6, 0x40004
	s_and_b32 s18, ttmp6, 15
	s_mul_i32 s16, s7, s16
	s_mul_i32 s19, ttmp9, s19
	s_add_co_i32 s6, s6, s5
	s_add_co_i32 s17, s17, s16
	;; [unrolled: 1-line block ×3, first 2 shown]
	v_bfe_u32 v1, v0, 20, 10
	s_wait_kmcnt 0x0
	s_lshr_b32 s5, s2, 16
	s_and_b32 s33, s2, 0xffff
	s_getreg_b32 s2, hwreg(HW_REG_IB_STS2, 6, 4)
	s_and_b32 s3, s3, 0xffff
	s_cmp_eq_u32 s2, 0
	v_and_b32_e32 v2, 0x3ff, v0
	s_cselect_b32 s2, s4, s6
	v_bfe_u32 v4, v0, 10, 10
	v_mad_u32 v3, s2, s3, v1
	s_cselect_b32 s2, ttmp9, s18
	s_cselect_b32 s3, s7, s17
	v_mad_u32 v0, s2, s33, v2
	v_mad_u32 v2, s3, s5, v4
	s_delay_alu instid0(VALU_DEP_3) | instskip(NEXT) | instid1(VALU_DEP_3)
	v_mul_hi_u32 v1, v3, s11
	v_cmp_gt_u32_e32 vcc_lo, s8, v0
	s_delay_alu instid0(VALU_DEP_3) | instskip(SKIP_2) | instid1(VALU_DEP_1)
	v_cmp_gt_u32_e64 s2, s9, v2
	s_and_b32 s2, vcc_lo, s2
	v_add_nc_u32_e32 v1, v3, v1
	v_lshrrev_b32_e32 v1, s12, v1
	s_delay_alu instid0(VALU_DEP_1) | instskip(SKIP_3) | instid1(VALU_DEP_1)
	v_mul_lo_u32 v5, v1, s13
	v_cmp_gt_u32_e64 s3, s10, v1
	s_and_b32 s2, s2, s3
	v_sub_nc_u32_e32 v3, v3, v5
	v_cmp_gt_u32_e64 s4, s13, v3
	s_and_b32 s2, s2, s4
	s_delay_alu instid0(SALU_CYCLE_1)
	s_and_saveexec_b32 s3, s2
	s_cbranch_execz .LBB99_6
; %bb.1:
	v_cmp_gt_i32_e32 vcc_lo, s8, v0
	s_and_b32 exec_lo, exec_lo, vcc_lo
	s_cbranch_execz .LBB99_6
; %bb.2:
	s_clause 0x4
	s_load_b256 s[24:31], s[0:1], 0x3c
	s_load_b32 s2, s[0:1], 0x5c
	s_load_b256 s[16:23], s[0:1], 0x60
	s_load_b96 s[36:38], s[0:1], 0x80
	s_load_b128 s[4:7], s[0:1], 0x90
	s_add_nc_u64 s[10:11], s[0:1], 0xa0
	s_load_b64 s[12:13], s[0:1], 0x10
	s_wait_kmcnt 0x0
	v_mul_hi_u32 v4, s30, v3
	v_mul_hi_u32 v5, s27, v1
	;; [unrolled: 1-line block ×3, first 2 shown]
	v_mul_lo_u32 v7, v2, s20
	v_mul_lo_u32 v8, v2, s16
	s_load_b32 s9, s[10:11], 0x0
	s_load_b32 s16, s[0:1], 0x38
	s_delay_alu instid0(VALU_DEP_4) | instskip(NEXT) | instid1(VALU_DEP_3)
	v_dual_add_nc_u32 v4, v3, v4 :: v_dual_add_nc_u32 v5, v1, v5
	v_mad_u32 v7, v1, s21, v7
	s_delay_alu instid0(VALU_DEP_3) | instskip(NEXT) | instid1(VALU_DEP_3)
	v_mad_u32 v8, v1, s17, v8
	v_dual_lshrrev_b32 v4, s31, v4 :: v_dual_lshrrev_b32 v5, s28, v5
	s_delay_alu instid0(VALU_DEP_1) | instskip(SKIP_1) | instid1(VALU_DEP_3)
	v_mul_lo_u32 v4, v4, s2
	v_add_nc_u32_e32 v6, v2, v6
	v_mul_lo_u32 v5, v5, s29
	s_load_b64 s[2:3], s[0:1], 0x0
	s_wait_xcnt 0x0
	s_mov_b32 s1, 0
	v_mad_u32 v8, v3, s18, v8
	s_mov_b32 s0, s14
	s_mov_b32 s11, s1
	s_delay_alu instid0(VALU_DEP_4) | instskip(NEXT) | instid1(VALU_DEP_3)
	v_dual_sub_nc_u32 v4, v3, v4 :: v_dual_lshrrev_b32 v6, s25, v6
	v_sub_nc_u32_e32 v5, v1, v5
	s_delay_alu instid0(VALU_DEP_2) | instskip(NEXT) | instid1(VALU_DEP_3)
	v_mul_lo_u32 v9, v4, s38
	v_mul_lo_u32 v6, v6, s26
	v_mad_u32 v4, v3, s22, v7
	v_mov_b32_e32 v1, 0
	s_wait_kmcnt 0x0
	s_cmp_lg_u64 s[2:3], 0
	s_delay_alu instid0(VALU_DEP_4) | instskip(NEXT) | instid1(VALU_DEP_4)
	v_mad_u32 v7, v5, s37, v9
	v_sub_nc_u32_e32 v2, v2, v6
	v_mul_lo_u32 v6, s19, v0
	v_dual_mov_b32 v5, v1 :: v_dual_mov_b32 v9, v1
	v_mov_b32_e32 v3, v1
	s_delay_alu instid0(VALU_DEP_2) | instskip(NEXT) | instid1(VALU_DEP_3)
	v_lshl_add_u64 v[4:5], v[4:5], 1, s[2:3]
	v_lshl_add_u64 v[8:9], v[8:9], 1, s[12:13]
	s_mul_i32 s2, s9, s33
	v_mad_u32 v2, v2, s36, v7
	s_cselect_b32 s3, -1, 0
	s_mul_i32 s9, s2, s19
	s_sub_co_i32 s10, 0, s16
	s_branch .LBB99_4
.LBB99_3:                               ;   in Loop: Header=BB99_4 Depth=1
	s_wait_xcnt 0x0
	v_mul_u64_e32 v[10:11], s[0:1], v[0:1]
	s_delay_alu instid0(VALU_DEP_1) | instskip(NEXT) | instid1(VALU_DEP_1)
	v_dual_add_nc_u32 v6, s9, v6 :: v_dual_add_nc_u32 v10, v0, v11
	v_dual_mov_b32 v11, v1 :: v_dual_lshrrev_b32 v10, s15, v10
	s_delay_alu instid0(VALU_DEP_1) | instskip(NEXT) | instid1(VALU_DEP_1)
	v_mad_u32 v10, s10, v10, v0
	v_mul_lo_u32 v10, v10, s23
	s_delay_alu instid0(VALU_DEP_1) | instskip(NEXT) | instid1(VALU_DEP_1)
	v_add_nc_u64_e32 v[10:11], v[10:11], v[2:3]
	v_lshlrev_b64_e32 v[10:11], 1, v[10:11]
	s_delay_alu instid0(VALU_DEP_1)
	v_add_nc_u64_e32 v[12:13], s[4:5], v[10:11]
	v_add_nc_u64_e32 v[10:11], s[6:7], v[10:11]
	global_load_u16 v12, v[12:13], off
	global_load_u16 v13, v[10:11], off
	s_wait_xcnt 0x0
	v_dual_mov_b32 v10, v0 :: v_dual_ashrrev_i32 v11, 31, v0
	v_add_nc_u32_e32 v0, s2, v0
	s_delay_alu instid0(VALU_DEP_2) | instskip(NEXT) | instid1(VALU_DEP_2)
	v_lshl_add_u64 v[10:11], v[10:11], 1, v[8:9]
	v_cmp_le_i32_e32 vcc_lo, s8, v0
	s_or_b32 s11, vcc_lo, s11
	s_wait_loadcnt 0x1
	v_cvt_f32_f16_e32 v12, v12
	s_delay_alu instid0(VALU_DEP_1) | instskip(SKIP_1) | instid1(VALU_DEP_1)
	v_mul_f32_e32 v7, v7, v12
	s_wait_loadcnt 0x0
	v_fma_mixlo_f16 v7, v7, v13, 0 op_sel_hi:[0,1,0]
	global_store_b16 v[10:11], v7, off
	s_wait_xcnt 0x0
	s_and_not1_b32 exec_lo, exec_lo, s11
	s_cbranch_execz .LBB99_6
.LBB99_4:                               ; =>This Inner Loop Header: Depth=1
	v_mov_b32_e32 v7, 0
	s_and_not1_b32 vcc_lo, exec_lo, s3
	s_cbranch_vccnz .LBB99_3
; %bb.5:                                ;   in Loop: Header=BB99_4 Depth=1
	v_ashrrev_i32_e32 v7, 31, v6
	s_delay_alu instid0(VALU_DEP_1)
	v_lshl_add_u64 v[10:11], v[6:7], 1, v[4:5]
	global_load_u16 v7, v[10:11], off
	s_wait_loadcnt 0x0
	v_cvt_f32_f16_e32 v7, v7
	s_branch .LBB99_3
.LBB99_6:
	s_endpgm
	.section	.rodata,"a",@progbits
	.p2align	6, 0x0
	.amdhsa_kernel _ZL11k_bin_bcastIXadL_ZL6op_mulffEE6__halfS0_S0_JPKS0_S2_EEvPKT0_PKT1_PT2_iii15HIP_vector_typeIjLj3EESC_SC_SC_SC_iiiiiiiiiiiDpT3_
		.amdhsa_group_segment_fixed_size 0
		.amdhsa_private_segment_fixed_size 0
		.amdhsa_kernarg_size 416
		.amdhsa_user_sgpr_count 2
		.amdhsa_user_sgpr_dispatch_ptr 0
		.amdhsa_user_sgpr_queue_ptr 0
		.amdhsa_user_sgpr_kernarg_segment_ptr 1
		.amdhsa_user_sgpr_dispatch_id 0
		.amdhsa_user_sgpr_kernarg_preload_length 0
		.amdhsa_user_sgpr_kernarg_preload_offset 0
		.amdhsa_user_sgpr_private_segment_size 0
		.amdhsa_wavefront_size32 1
		.amdhsa_uses_dynamic_stack 0
		.amdhsa_enable_private_segment 0
		.amdhsa_system_sgpr_workgroup_id_x 1
		.amdhsa_system_sgpr_workgroup_id_y 1
		.amdhsa_system_sgpr_workgroup_id_z 1
		.amdhsa_system_sgpr_workgroup_info 0
		.amdhsa_system_vgpr_workitem_id 2
		.amdhsa_next_free_vgpr 14
		.amdhsa_next_free_sgpr 39
		.amdhsa_named_barrier_count 0
		.amdhsa_reserve_vcc 1
		.amdhsa_float_round_mode_32 0
		.amdhsa_float_round_mode_16_64 0
		.amdhsa_float_denorm_mode_32 3
		.amdhsa_float_denorm_mode_16_64 3
		.amdhsa_fp16_overflow 0
		.amdhsa_memory_ordered 1
		.amdhsa_forward_progress 1
		.amdhsa_inst_pref_size 8
		.amdhsa_round_robin_scheduling 0
		.amdhsa_exception_fp_ieee_invalid_op 0
		.amdhsa_exception_fp_denorm_src 0
		.amdhsa_exception_fp_ieee_div_zero 0
		.amdhsa_exception_fp_ieee_overflow 0
		.amdhsa_exception_fp_ieee_underflow 0
		.amdhsa_exception_fp_ieee_inexact 0
		.amdhsa_exception_int_div_zero 0
	.end_amdhsa_kernel
	.section	.text._ZL11k_bin_bcastIXadL_ZL6op_mulffEE6__halfS0_S0_JPKS0_S2_EEvPKT0_PKT1_PT2_iii15HIP_vector_typeIjLj3EESC_SC_SC_SC_iiiiiiiiiiiDpT3_,"axG",@progbits,_ZL11k_bin_bcastIXadL_ZL6op_mulffEE6__halfS0_S0_JPKS0_S2_EEvPKT0_PKT1_PT2_iii15HIP_vector_typeIjLj3EESC_SC_SC_SC_iiiiiiiiiiiDpT3_,comdat
.Lfunc_end99:
	.size	_ZL11k_bin_bcastIXadL_ZL6op_mulffEE6__halfS0_S0_JPKS0_S2_EEvPKT0_PKT1_PT2_iii15HIP_vector_typeIjLj3EESC_SC_SC_SC_iiiiiiiiiiiDpT3_, .Lfunc_end99-_ZL11k_bin_bcastIXadL_ZL6op_mulffEE6__halfS0_S0_JPKS0_S2_EEvPKT0_PKT1_PT2_iii15HIP_vector_typeIjLj3EESC_SC_SC_SC_iiiiiiiiiiiDpT3_
                                        ; -- End function
	.set _ZL11k_bin_bcastIXadL_ZL6op_mulffEE6__halfS0_S0_JPKS0_S2_EEvPKT0_PKT1_PT2_iii15HIP_vector_typeIjLj3EESC_SC_SC_SC_iiiiiiiiiiiDpT3_.num_vgpr, 14
	.set _ZL11k_bin_bcastIXadL_ZL6op_mulffEE6__halfS0_S0_JPKS0_S2_EEvPKT0_PKT1_PT2_iii15HIP_vector_typeIjLj3EESC_SC_SC_SC_iiiiiiiiiiiDpT3_.num_agpr, 0
	.set _ZL11k_bin_bcastIXadL_ZL6op_mulffEE6__halfS0_S0_JPKS0_S2_EEvPKT0_PKT1_PT2_iii15HIP_vector_typeIjLj3EESC_SC_SC_SC_iiiiiiiiiiiDpT3_.numbered_sgpr, 39
	.set _ZL11k_bin_bcastIXadL_ZL6op_mulffEE6__halfS0_S0_JPKS0_S2_EEvPKT0_PKT1_PT2_iii15HIP_vector_typeIjLj3EESC_SC_SC_SC_iiiiiiiiiiiDpT3_.num_named_barrier, 0
	.set _ZL11k_bin_bcastIXadL_ZL6op_mulffEE6__halfS0_S0_JPKS0_S2_EEvPKT0_PKT1_PT2_iii15HIP_vector_typeIjLj3EESC_SC_SC_SC_iiiiiiiiiiiDpT3_.private_seg_size, 0
	.set _ZL11k_bin_bcastIXadL_ZL6op_mulffEE6__halfS0_S0_JPKS0_S2_EEvPKT0_PKT1_PT2_iii15HIP_vector_typeIjLj3EESC_SC_SC_SC_iiiiiiiiiiiDpT3_.uses_vcc, 1
	.set _ZL11k_bin_bcastIXadL_ZL6op_mulffEE6__halfS0_S0_JPKS0_S2_EEvPKT0_PKT1_PT2_iii15HIP_vector_typeIjLj3EESC_SC_SC_SC_iiiiiiiiiiiDpT3_.uses_flat_scratch, 0
	.set _ZL11k_bin_bcastIXadL_ZL6op_mulffEE6__halfS0_S0_JPKS0_S2_EEvPKT0_PKT1_PT2_iii15HIP_vector_typeIjLj3EESC_SC_SC_SC_iiiiiiiiiiiDpT3_.has_dyn_sized_stack, 0
	.set _ZL11k_bin_bcastIXadL_ZL6op_mulffEE6__halfS0_S0_JPKS0_S2_EEvPKT0_PKT1_PT2_iii15HIP_vector_typeIjLj3EESC_SC_SC_SC_iiiiiiiiiiiDpT3_.has_recursion, 0
	.set _ZL11k_bin_bcastIXadL_ZL6op_mulffEE6__halfS0_S0_JPKS0_S2_EEvPKT0_PKT1_PT2_iii15HIP_vector_typeIjLj3EESC_SC_SC_SC_iiiiiiiiiiiDpT3_.has_indirect_call, 0
	.section	.AMDGPU.csdata,"",@progbits
; Kernel info:
; codeLenInByte = 920
; TotalNumSgprs: 41
; NumVgprs: 14
; ScratchSize: 0
; MemoryBound: 0
; FloatMode: 240
; IeeeMode: 1
; LDSByteSize: 0 bytes/workgroup (compile time only)
; SGPRBlocks: 0
; VGPRBlocks: 0
; NumSGPRsForWavesPerEU: 41
; NumVGPRsForWavesPerEU: 14
; NamedBarCnt: 0
; Occupancy: 16
; WaveLimiterHint : 1
; COMPUTE_PGM_RSRC2:SCRATCH_EN: 0
; COMPUTE_PGM_RSRC2:USER_SGPR: 2
; COMPUTE_PGM_RSRC2:TRAP_HANDLER: 0
; COMPUTE_PGM_RSRC2:TGID_X_EN: 1
; COMPUTE_PGM_RSRC2:TGID_Y_EN: 1
; COMPUTE_PGM_RSRC2:TGID_Z_EN: 1
; COMPUTE_PGM_RSRC2:TIDIG_COMP_CNT: 2
	.section	.text._ZL19k_bin_bcast_unravelIXadL_ZL6op_mulffEE6__halffS0_JPKfS2_EEvPKT0_PKT1_PT2_15HIP_vector_typeIjLj3EESC_SC_jSC_SC_SC_SC_SC_SC_iiiiiiiiiiiDpT3_,"axG",@progbits,_ZL19k_bin_bcast_unravelIXadL_ZL6op_mulffEE6__halffS0_JPKfS2_EEvPKT0_PKT1_PT2_15HIP_vector_typeIjLj3EESC_SC_jSC_SC_SC_SC_SC_SC_iiiiiiiiiiiDpT3_,comdat
	.globl	_ZL19k_bin_bcast_unravelIXadL_ZL6op_mulffEE6__halffS0_JPKfS2_EEvPKT0_PKT1_PT2_15HIP_vector_typeIjLj3EESC_SC_jSC_SC_SC_SC_SC_SC_iiiiiiiiiiiDpT3_ ; -- Begin function _ZL19k_bin_bcast_unravelIXadL_ZL6op_mulffEE6__halffS0_JPKfS2_EEvPKT0_PKT1_PT2_15HIP_vector_typeIjLj3EESC_SC_jSC_SC_SC_SC_SC_SC_iiiiiiiiiiiDpT3_
	.p2align	8
	.type	_ZL19k_bin_bcast_unravelIXadL_ZL6op_mulffEE6__halffS0_JPKfS2_EEvPKT0_PKT1_PT2_15HIP_vector_typeIjLj3EESC_SC_jSC_SC_SC_SC_SC_SC_iiiiiiiiiiiDpT3_,@function
_ZL19k_bin_bcast_unravelIXadL_ZL6op_mulffEE6__halffS0_JPKfS2_EEvPKT0_PKT1_PT2_15HIP_vector_typeIjLj3EESC_SC_jSC_SC_SC_SC_SC_SC_iiiiiiiiiiiDpT3_: ; @_ZL19k_bin_bcast_unravelIXadL_ZL6op_mulffEE6__halffS0_JPKfS2_EEvPKT0_PKT1_PT2_15HIP_vector_typeIjLj3EESC_SC_jSC_SC_SC_SC_SC_SC_iiiiiiiiiiiDpT3_
; %bb.0:
	s_load_b32 s2, s[0:1], 0xd4
	s_bfe_u32 s3, ttmp6, 0x4000c
	s_load_b256 s[4:11], s[0:1], 0x38
	s_add_co_i32 s3, s3, 1
	s_and_b32 s12, ttmp6, 15
	s_mul_i32 s3, ttmp9, s3
	s_getreg_b32 s13, hwreg(HW_REG_IB_STS2, 6, 4)
	s_add_co_i32 s12, s12, s3
	s_wait_kmcnt 0x0
	s_and_b32 s2, s2, 0xffff
	s_cmp_eq_u32 s13, 0
	s_cselect_b32 s3, ttmp9, s12
	s_delay_alu instid0(SALU_CYCLE_1) | instskip(SKIP_1) | instid1(VALU_DEP_1)
	v_mad_u32 v0, s3, s2, v0
	s_load_b32 s2, s[0:1], 0x2c
	v_mul_hi_u32 v1, v0, s6
	s_delay_alu instid0(VALU_DEP_1) | instskip(NEXT) | instid1(VALU_DEP_1)
	v_add_nc_u32_e32 v1, v0, v1
	v_lshrrev_b32_e32 v1, s7, v1
	s_delay_alu instid0(VALU_DEP_1) | instskip(NEXT) | instid1(VALU_DEP_1)
	v_mul_lo_u32 v2, v1, s8
	v_sub_nc_u32_e32 v0, v0, v2
	s_delay_alu instid0(VALU_DEP_1) | instskip(NEXT) | instid1(VALU_DEP_1)
	v_mul_hi_u32 v2, v0, s9
	v_add_nc_u32_e32 v2, v0, v2
	s_delay_alu instid0(VALU_DEP_1) | instskip(SKIP_1) | instid1(VALU_DEP_1)
	v_lshrrev_b32_e32 v2, s10, v2
	s_load_b96 s[8:10], s[0:1], 0x18
	v_mul_lo_u32 v3, v2, s11
	s_delay_alu instid0(VALU_DEP_1) | instskip(SKIP_3) | instid1(VALU_DEP_3)
	v_sub_nc_u32_e32 v0, v0, v3
	v_cmp_gt_u32_e64 s3, s4, v2
	v_cmp_gt_u32_e64 s4, s5, v1
	s_wait_kmcnt 0x0
	v_mul_hi_u32 v3, v0, s8
	s_delay_alu instid0(VALU_DEP_1) | instskip(NEXT) | instid1(VALU_DEP_1)
	v_add_nc_u32_e32 v3, v0, v3
	v_lshrrev_b32_e32 v4, s9, v3
	s_delay_alu instid0(VALU_DEP_1) | instskip(NEXT) | instid1(VALU_DEP_1)
	v_mul_lo_u32 v3, v4, s10
	v_sub_nc_u32_e32 v0, v0, v3
	v_cmp_gt_u32_e64 s2, s2, v4
	s_delay_alu instid0(VALU_DEP_2) | instskip(SKIP_1) | instid1(SALU_CYCLE_1)
	v_cmp_gt_u32_e32 vcc_lo, s10, v0
	s_and_b32 s2, vcc_lo, s2
	s_and_b32 s2, s2, s3
	s_delay_alu instid0(SALU_CYCLE_1) | instskip(NEXT) | instid1(SALU_CYCLE_1)
	s_and_b32 s2, s4, s2
	s_and_saveexec_b32 s3, s2
	s_cbranch_execz .LBB100_4
; %bb.1:
	s_clause 0x4
	s_load_b64 s[2:3], s[0:1], 0x0
	s_load_b96 s[24:26], s[0:1], 0xa8
	s_load_b256 s[4:11], s[0:1], 0x88
	s_load_b128 s[20:23], s[0:1], 0x78
	s_load_b256 s[12:19], s[0:1], 0x58
	v_dual_mov_b32 v3, 0 :: v_dual_mov_b32 v5, 0
	s_wait_kmcnt 0x0
	s_cmp_eq_u64 s[2:3], 0
	s_cbranch_scc1 .LBB100_3
; %bb.2:
	v_mul_lo_u32 v5, v1, s10
	v_mov_b32_e32 v7, 0
	s_delay_alu instid0(VALU_DEP_2) | instskip(NEXT) | instid1(VALU_DEP_1)
	v_mad_u32 v5, v2, s9, v5
	v_mad_u32 v6, v4, s8, v5
	s_delay_alu instid0(VALU_DEP_1) | instskip(SKIP_1) | instid1(VALU_DEP_1)
	v_lshl_add_u64 v[8:9], v[6:7], 1, s[2:3]
	v_mul_lo_u32 v6, v0, s7
	v_lshl_add_u64 v[6:7], v[6:7], 1, v[8:9]
	global_load_u16 v5, v[6:7], off
	s_wait_loadcnt 0x0
	v_cvt_f32_f16_e32 v5, v5
.LBB100_3:
	v_mul_hi_u32 v6, s21, v1
	v_mul_hi_u32 v7, s18, v2
	;; [unrolled: 1-line block ×4, first 2 shown]
	s_delay_alu instid0(VALU_DEP_3) | instskip(NEXT) | instid1(VALU_DEP_1)
	v_dual_add_nc_u32 v6, v1, v6 :: v_dual_add_nc_u32 v7, v2, v7
	v_dual_lshrrev_b32 v6, s22, v6 :: v_dual_lshrrev_b32 v7, s19, v7
	s_delay_alu instid0(VALU_DEP_1) | instskip(SKIP_1) | instid1(VALU_DEP_3)
	v_mul_lo_u32 v6, v6, s23
	v_add_nc_u32_e32 v8, v4, v8
	v_mul_lo_u32 v7, v7, s20
	s_delay_alu instid0(VALU_DEP_3) | instskip(NEXT) | instid1(VALU_DEP_3)
	v_dual_sub_nc_u32 v6, v1, v6 :: v_dual_add_nc_u32 v9, v0, v9
	v_lshrrev_b32_e32 v8, s16, v8
	v_mul_lo_u32 v1, v1, s6
	s_delay_alu instid0(VALU_DEP_4) | instskip(NEXT) | instid1(VALU_DEP_4)
	v_sub_nc_u32_e32 v7, v2, v7
	v_mul_lo_u32 v6, v6, s26
	v_lshrrev_b32_e32 v9, s13, v9
	v_mul_lo_u32 v8, v8, s17
	s_delay_alu instid0(VALU_DEP_2) | instskip(SKIP_2) | instid1(VALU_DEP_4)
	v_mul_lo_u32 v9, v9, s14
	v_mad_u32 v1, v2, s5, v1
	v_mad_u32 v7, v7, s25, v6
	v_sub_nc_u32_e32 v8, v4, v8
	s_delay_alu instid0(VALU_DEP_3) | instskip(NEXT) | instid1(VALU_DEP_2)
	v_mad_u32 v2, v4, s4, v1
	v_mad_u32 v8, v8, s24, v7
	s_delay_alu instid0(VALU_DEP_1) | instskip(NEXT) | instid1(VALU_DEP_1)
	v_dual_sub_nc_u32 v6, v0, v9 :: v_dual_ashrrev_i32 v9, 31, v8
	v_mul_lo_u32 v6, v6, s11
	s_load_b128 s[8:11], s[0:1], 0xb8
	s_delay_alu instid0(VALU_DEP_1) | instskip(SKIP_2) | instid1(VALU_DEP_1)
	v_ashrrev_i32_e32 v7, 31, v6
	s_wait_xcnt 0x0
	s_load_b64 s[0:1], s[0:1], 0x10
	v_add_nc_u64_e32 v[6:7], v[6:7], v[8:9]
	s_delay_alu instid0(VALU_DEP_1) | instskip(SKIP_1) | instid1(VALU_DEP_1)
	v_lshlrev_b64_e32 v[6:7], 2, v[6:7]
	s_wait_kmcnt 0x0
	v_add_nc_u64_e32 v[8:9], s[8:9], v[6:7]
	v_add_nc_u64_e32 v[6:7], s[10:11], v[6:7]
	global_load_b32 v10, v[8:9], off
	global_load_b32 v11, v[6:7], off
	v_mov_b32_e32 v1, v3
	v_lshl_add_u64 v[2:3], v[2:3], 1, s[0:1]
	s_wait_loadcnt 0x1
	v_mul_f32_e32 v4, v5, v10
	s_delay_alu instid0(VALU_DEP_2) | instskip(SKIP_1) | instid1(VALU_DEP_2)
	v_lshl_add_u64 v[0:1], v[0:1], 1, v[2:3]
	s_wait_loadcnt 0x0
	v_fma_mixlo_f16 v4, v4, v11, 0
	global_store_b16 v[0:1], v4, off
.LBB100_4:
	s_endpgm
	.section	.rodata,"a",@progbits
	.p2align	6, 0x0
	.amdhsa_kernel _ZL19k_bin_bcast_unravelIXadL_ZL6op_mulffEE6__halffS0_JPKfS2_EEvPKT0_PKT1_PT2_15HIP_vector_typeIjLj3EESC_SC_jSC_SC_SC_SC_SC_SC_iiiiiiiiiiiDpT3_
		.amdhsa_group_segment_fixed_size 0
		.amdhsa_private_segment_fixed_size 0
		.amdhsa_kernarg_size 456
		.amdhsa_user_sgpr_count 2
		.amdhsa_user_sgpr_dispatch_ptr 0
		.amdhsa_user_sgpr_queue_ptr 0
		.amdhsa_user_sgpr_kernarg_segment_ptr 1
		.amdhsa_user_sgpr_dispatch_id 0
		.amdhsa_user_sgpr_kernarg_preload_length 0
		.amdhsa_user_sgpr_kernarg_preload_offset 0
		.amdhsa_user_sgpr_private_segment_size 0
		.amdhsa_wavefront_size32 1
		.amdhsa_uses_dynamic_stack 0
		.amdhsa_enable_private_segment 0
		.amdhsa_system_sgpr_workgroup_id_x 1
		.amdhsa_system_sgpr_workgroup_id_y 0
		.amdhsa_system_sgpr_workgroup_id_z 0
		.amdhsa_system_sgpr_workgroup_info 0
		.amdhsa_system_vgpr_workitem_id 0
		.amdhsa_next_free_vgpr 12
		.amdhsa_next_free_sgpr 27
		.amdhsa_named_barrier_count 0
		.amdhsa_reserve_vcc 1
		.amdhsa_float_round_mode_32 0
		.amdhsa_float_round_mode_16_64 0
		.amdhsa_float_denorm_mode_32 3
		.amdhsa_float_denorm_mode_16_64 3
		.amdhsa_fp16_overflow 0
		.amdhsa_memory_ordered 1
		.amdhsa_forward_progress 1
		.amdhsa_inst_pref_size 6
		.amdhsa_round_robin_scheduling 0
		.amdhsa_exception_fp_ieee_invalid_op 0
		.amdhsa_exception_fp_denorm_src 0
		.amdhsa_exception_fp_ieee_div_zero 0
		.amdhsa_exception_fp_ieee_overflow 0
		.amdhsa_exception_fp_ieee_underflow 0
		.amdhsa_exception_fp_ieee_inexact 0
		.amdhsa_exception_int_div_zero 0
	.end_amdhsa_kernel
	.section	.text._ZL19k_bin_bcast_unravelIXadL_ZL6op_mulffEE6__halffS0_JPKfS2_EEvPKT0_PKT1_PT2_15HIP_vector_typeIjLj3EESC_SC_jSC_SC_SC_SC_SC_SC_iiiiiiiiiiiDpT3_,"axG",@progbits,_ZL19k_bin_bcast_unravelIXadL_ZL6op_mulffEE6__halffS0_JPKfS2_EEvPKT0_PKT1_PT2_15HIP_vector_typeIjLj3EESC_SC_jSC_SC_SC_SC_SC_SC_iiiiiiiiiiiDpT3_,comdat
.Lfunc_end100:
	.size	_ZL19k_bin_bcast_unravelIXadL_ZL6op_mulffEE6__halffS0_JPKfS2_EEvPKT0_PKT1_PT2_15HIP_vector_typeIjLj3EESC_SC_jSC_SC_SC_SC_SC_SC_iiiiiiiiiiiDpT3_, .Lfunc_end100-_ZL19k_bin_bcast_unravelIXadL_ZL6op_mulffEE6__halffS0_JPKfS2_EEvPKT0_PKT1_PT2_15HIP_vector_typeIjLj3EESC_SC_jSC_SC_SC_SC_SC_SC_iiiiiiiiiiiDpT3_
                                        ; -- End function
	.set _ZL19k_bin_bcast_unravelIXadL_ZL6op_mulffEE6__halffS0_JPKfS2_EEvPKT0_PKT1_PT2_15HIP_vector_typeIjLj3EESC_SC_jSC_SC_SC_SC_SC_SC_iiiiiiiiiiiDpT3_.num_vgpr, 12
	.set _ZL19k_bin_bcast_unravelIXadL_ZL6op_mulffEE6__halffS0_JPKfS2_EEvPKT0_PKT1_PT2_15HIP_vector_typeIjLj3EESC_SC_jSC_SC_SC_SC_SC_SC_iiiiiiiiiiiDpT3_.num_agpr, 0
	.set _ZL19k_bin_bcast_unravelIXadL_ZL6op_mulffEE6__halffS0_JPKfS2_EEvPKT0_PKT1_PT2_15HIP_vector_typeIjLj3EESC_SC_jSC_SC_SC_SC_SC_SC_iiiiiiiiiiiDpT3_.numbered_sgpr, 27
	.set _ZL19k_bin_bcast_unravelIXadL_ZL6op_mulffEE6__halffS0_JPKfS2_EEvPKT0_PKT1_PT2_15HIP_vector_typeIjLj3EESC_SC_jSC_SC_SC_SC_SC_SC_iiiiiiiiiiiDpT3_.num_named_barrier, 0
	.set _ZL19k_bin_bcast_unravelIXadL_ZL6op_mulffEE6__halffS0_JPKfS2_EEvPKT0_PKT1_PT2_15HIP_vector_typeIjLj3EESC_SC_jSC_SC_SC_SC_SC_SC_iiiiiiiiiiiDpT3_.private_seg_size, 0
	.set _ZL19k_bin_bcast_unravelIXadL_ZL6op_mulffEE6__halffS0_JPKfS2_EEvPKT0_PKT1_PT2_15HIP_vector_typeIjLj3EESC_SC_jSC_SC_SC_SC_SC_SC_iiiiiiiiiiiDpT3_.uses_vcc, 1
	.set _ZL19k_bin_bcast_unravelIXadL_ZL6op_mulffEE6__halffS0_JPKfS2_EEvPKT0_PKT1_PT2_15HIP_vector_typeIjLj3EESC_SC_jSC_SC_SC_SC_SC_SC_iiiiiiiiiiiDpT3_.uses_flat_scratch, 0
	.set _ZL19k_bin_bcast_unravelIXadL_ZL6op_mulffEE6__halffS0_JPKfS2_EEvPKT0_PKT1_PT2_15HIP_vector_typeIjLj3EESC_SC_jSC_SC_SC_SC_SC_SC_iiiiiiiiiiiDpT3_.has_dyn_sized_stack, 0
	.set _ZL19k_bin_bcast_unravelIXadL_ZL6op_mulffEE6__halffS0_JPKfS2_EEvPKT0_PKT1_PT2_15HIP_vector_typeIjLj3EESC_SC_jSC_SC_SC_SC_SC_SC_iiiiiiiiiiiDpT3_.has_recursion, 0
	.set _ZL19k_bin_bcast_unravelIXadL_ZL6op_mulffEE6__halffS0_JPKfS2_EEvPKT0_PKT1_PT2_15HIP_vector_typeIjLj3EESC_SC_jSC_SC_SC_SC_SC_SC_iiiiiiiiiiiDpT3_.has_indirect_call, 0
	.section	.AMDGPU.csdata,"",@progbits
; Kernel info:
; codeLenInByte = 764
; TotalNumSgprs: 29
; NumVgprs: 12
; ScratchSize: 0
; MemoryBound: 0
; FloatMode: 240
; IeeeMode: 1
; LDSByteSize: 0 bytes/workgroup (compile time only)
; SGPRBlocks: 0
; VGPRBlocks: 0
; NumSGPRsForWavesPerEU: 29
; NumVGPRsForWavesPerEU: 12
; NamedBarCnt: 0
; Occupancy: 16
; WaveLimiterHint : 1
; COMPUTE_PGM_RSRC2:SCRATCH_EN: 0
; COMPUTE_PGM_RSRC2:USER_SGPR: 2
; COMPUTE_PGM_RSRC2:TRAP_HANDLER: 0
; COMPUTE_PGM_RSRC2:TGID_X_EN: 1
; COMPUTE_PGM_RSRC2:TGID_Y_EN: 0
; COMPUTE_PGM_RSRC2:TGID_Z_EN: 0
; COMPUTE_PGM_RSRC2:TIDIG_COMP_CNT: 0
	.section	.text._ZL11k_bin_bcastIXadL_ZL6op_mulffEE6__halffS0_JPKfS2_EEvPKT0_PKT1_PT2_iii15HIP_vector_typeIjLj3EESC_SC_SC_SC_iiiiiiiiiiiDpT3_,"axG",@progbits,_ZL11k_bin_bcastIXadL_ZL6op_mulffEE6__halffS0_JPKfS2_EEvPKT0_PKT1_PT2_iii15HIP_vector_typeIjLj3EESC_SC_SC_SC_iiiiiiiiiiiDpT3_,comdat
	.globl	_ZL11k_bin_bcastIXadL_ZL6op_mulffEE6__halffS0_JPKfS2_EEvPKT0_PKT1_PT2_iii15HIP_vector_typeIjLj3EESC_SC_SC_SC_iiiiiiiiiiiDpT3_ ; -- Begin function _ZL11k_bin_bcastIXadL_ZL6op_mulffEE6__halffS0_JPKfS2_EEvPKT0_PKT1_PT2_iii15HIP_vector_typeIjLj3EESC_SC_SC_SC_iiiiiiiiiiiDpT3_
	.p2align	8
	.type	_ZL11k_bin_bcastIXadL_ZL6op_mulffEE6__halffS0_JPKfS2_EEvPKT0_PKT1_PT2_iii15HIP_vector_typeIjLj3EESC_SC_SC_SC_iiiiiiiiiiiDpT3_,@function
_ZL11k_bin_bcastIXadL_ZL6op_mulffEE6__halffS0_JPKfS2_EEvPKT0_PKT1_PT2_iii15HIP_vector_typeIjLj3EESC_SC_SC_SC_iiiiiiiiiiiDpT3_: ; @_ZL11k_bin_bcastIXadL_ZL6op_mulffEE6__halffS0_JPKfS2_EEvPKT0_PKT1_PT2_iii15HIP_vector_typeIjLj3EESC_SC_SC_SC_iiiiiiiiiiiDpT3_
; %bb.0:
	s_load_b64 s[2:3], s[0:1], 0xac
	s_bfe_u32 s5, ttmp6, 0x40014
	s_bfe_u32 s16, ttmp6, 0x40010
	;; [unrolled: 1-line block ×3, first 2 shown]
	s_lshr_b32 s4, ttmp7, 16
	s_add_co_i32 s5, s5, 1
	s_and_b32 s7, ttmp7, 0xffff
	s_load_b256 s[8:15], s[0:1], 0x18
	s_add_co_i32 s16, s16, 1
	s_add_co_i32 s19, s19, 1
	s_bfe_u32 s6, ttmp6, 0x40008
	s_mul_i32 s5, s4, s5
	s_bfe_u32 s17, ttmp6, 0x40004
	s_and_b32 s18, ttmp6, 15
	s_mul_i32 s16, s7, s16
	s_mul_i32 s19, ttmp9, s19
	s_add_co_i32 s6, s6, s5
	s_add_co_i32 s17, s17, s16
	;; [unrolled: 1-line block ×3, first 2 shown]
	v_bfe_u32 v1, v0, 20, 10
	s_wait_kmcnt 0x0
	s_lshr_b32 s5, s2, 16
	s_and_b32 s33, s2, 0xffff
	s_getreg_b32 s2, hwreg(HW_REG_IB_STS2, 6, 4)
	s_and_b32 s3, s3, 0xffff
	s_cmp_eq_u32 s2, 0
	v_and_b32_e32 v2, 0x3ff, v0
	s_cselect_b32 s2, s4, s6
	v_bfe_u32 v4, v0, 10, 10
	v_mad_u32 v3, s2, s3, v1
	s_cselect_b32 s2, ttmp9, s18
	s_cselect_b32 s3, s7, s17
	v_mad_u32 v0, s2, s33, v2
	v_mad_u32 v2, s3, s5, v4
	s_delay_alu instid0(VALU_DEP_3) | instskip(NEXT) | instid1(VALU_DEP_3)
	v_mul_hi_u32 v1, v3, s11
	v_cmp_gt_u32_e32 vcc_lo, s8, v0
	s_delay_alu instid0(VALU_DEP_3) | instskip(SKIP_2) | instid1(VALU_DEP_1)
	v_cmp_gt_u32_e64 s2, s9, v2
	s_and_b32 s2, vcc_lo, s2
	v_add_nc_u32_e32 v1, v3, v1
	v_lshrrev_b32_e32 v1, s12, v1
	s_delay_alu instid0(VALU_DEP_1) | instskip(SKIP_3) | instid1(VALU_DEP_1)
	v_mul_lo_u32 v5, v1, s13
	v_cmp_gt_u32_e64 s3, s10, v1
	s_and_b32 s2, s2, s3
	v_sub_nc_u32_e32 v3, v3, v5
	v_cmp_gt_u32_e64 s4, s13, v3
	s_and_b32 s2, s2, s4
	s_delay_alu instid0(SALU_CYCLE_1)
	s_and_saveexec_b32 s3, s2
	s_cbranch_execz .LBB101_6
; %bb.1:
	v_cmp_gt_i32_e32 vcc_lo, s8, v0
	s_and_b32 exec_lo, exec_lo, vcc_lo
	s_cbranch_execz .LBB101_6
; %bb.2:
	s_clause 0x4
	s_load_b256 s[24:31], s[0:1], 0x3c
	s_load_b32 s2, s[0:1], 0x5c
	s_load_b256 s[16:23], s[0:1], 0x60
	s_load_b96 s[36:38], s[0:1], 0x80
	s_load_b128 s[4:7], s[0:1], 0x90
	s_add_nc_u64 s[10:11], s[0:1], 0xa0
	s_load_b64 s[12:13], s[0:1], 0x10
	s_wait_kmcnt 0x0
	v_mul_hi_u32 v4, s30, v3
	v_mul_hi_u32 v5, s27, v1
	;; [unrolled: 1-line block ×3, first 2 shown]
	v_mul_lo_u32 v7, v2, s20
	v_mul_lo_u32 v8, v2, s16
	s_load_b32 s9, s[10:11], 0x0
	s_load_b32 s16, s[0:1], 0x38
	s_delay_alu instid0(VALU_DEP_4) | instskip(NEXT) | instid1(VALU_DEP_3)
	v_dual_add_nc_u32 v4, v3, v4 :: v_dual_add_nc_u32 v5, v1, v5
	v_mad_u32 v7, v1, s21, v7
	s_delay_alu instid0(VALU_DEP_3) | instskip(NEXT) | instid1(VALU_DEP_3)
	v_mad_u32 v8, v1, s17, v8
	v_dual_lshrrev_b32 v4, s31, v4 :: v_dual_lshrrev_b32 v5, s28, v5
	s_delay_alu instid0(VALU_DEP_1) | instskip(SKIP_1) | instid1(VALU_DEP_3)
	v_mul_lo_u32 v4, v4, s2
	v_add_nc_u32_e32 v6, v2, v6
	v_mul_lo_u32 v5, v5, s29
	s_load_b64 s[2:3], s[0:1], 0x0
	s_wait_xcnt 0x0
	s_mov_b32 s1, 0
	v_mad_u32 v8, v3, s18, v8
	s_mov_b32 s0, s14
	s_mov_b32 s11, s1
	s_delay_alu instid0(VALU_DEP_4) | instskip(NEXT) | instid1(VALU_DEP_3)
	v_dual_sub_nc_u32 v4, v3, v4 :: v_dual_lshrrev_b32 v6, s25, v6
	v_sub_nc_u32_e32 v5, v1, v5
	s_delay_alu instid0(VALU_DEP_2) | instskip(NEXT) | instid1(VALU_DEP_3)
	v_mul_lo_u32 v9, v4, s38
	v_mul_lo_u32 v6, v6, s26
	v_mad_u32 v4, v3, s22, v7
	v_mov_b32_e32 v1, 0
	s_wait_kmcnt 0x0
	s_cmp_lg_u64 s[2:3], 0
	s_delay_alu instid0(VALU_DEP_4) | instskip(NEXT) | instid1(VALU_DEP_4)
	v_mad_u32 v7, v5, s37, v9
	v_sub_nc_u32_e32 v2, v2, v6
	v_mul_lo_u32 v6, s19, v0
	v_dual_mov_b32 v5, v1 :: v_dual_mov_b32 v9, v1
	v_mov_b32_e32 v3, v1
	s_delay_alu instid0(VALU_DEP_2) | instskip(NEXT) | instid1(VALU_DEP_3)
	v_lshl_add_u64 v[4:5], v[4:5], 1, s[2:3]
	v_lshl_add_u64 v[8:9], v[8:9], 1, s[12:13]
	s_mul_i32 s2, s9, s33
	v_mad_u32 v2, v2, s36, v7
	s_cselect_b32 s3, -1, 0
	s_mul_i32 s9, s2, s19
	s_sub_co_i32 s10, 0, s16
	s_branch .LBB101_4
.LBB101_3:                              ;   in Loop: Header=BB101_4 Depth=1
	s_wait_xcnt 0x0
	v_mul_u64_e32 v[10:11], s[0:1], v[0:1]
	s_delay_alu instid0(VALU_DEP_1) | instskip(NEXT) | instid1(VALU_DEP_1)
	v_dual_add_nc_u32 v6, s9, v6 :: v_dual_add_nc_u32 v10, v0, v11
	v_dual_mov_b32 v11, v1 :: v_dual_lshrrev_b32 v10, s15, v10
	s_delay_alu instid0(VALU_DEP_1) | instskip(NEXT) | instid1(VALU_DEP_1)
	v_mad_u32 v10, s10, v10, v0
	v_mul_lo_u32 v10, v10, s23
	s_delay_alu instid0(VALU_DEP_1) | instskip(NEXT) | instid1(VALU_DEP_1)
	v_add_nc_u64_e32 v[10:11], v[10:11], v[2:3]
	v_lshlrev_b64_e32 v[10:11], 2, v[10:11]
	s_delay_alu instid0(VALU_DEP_1)
	v_add_nc_u64_e32 v[12:13], s[4:5], v[10:11]
	v_add_nc_u64_e32 v[10:11], s[6:7], v[10:11]
	global_load_b32 v14, v[12:13], off
	global_load_b32 v15, v[10:11], off
	s_wait_xcnt 0x0
	v_dual_mov_b32 v10, v0 :: v_dual_ashrrev_i32 v11, 31, v0
	v_add_nc_u32_e32 v0, s2, v0
	s_delay_alu instid0(VALU_DEP_2) | instskip(NEXT) | instid1(VALU_DEP_2)
	v_lshl_add_u64 v[10:11], v[10:11], 1, v[8:9]
	v_cmp_le_i32_e32 vcc_lo, s8, v0
	s_or_b32 s11, vcc_lo, s11
	s_wait_loadcnt 0x1
	v_mul_f32_e32 v7, v7, v14
	s_wait_loadcnt 0x0
	s_delay_alu instid0(VALU_DEP_1)
	v_fma_mixlo_f16 v7, v7, v15, 0
	global_store_b16 v[10:11], v7, off
	s_wait_xcnt 0x0
	s_and_not1_b32 exec_lo, exec_lo, s11
	s_cbranch_execz .LBB101_6
.LBB101_4:                              ; =>This Inner Loop Header: Depth=1
	v_mov_b32_e32 v7, 0
	s_and_not1_b32 vcc_lo, exec_lo, s3
	s_cbranch_vccnz .LBB101_3
; %bb.5:                                ;   in Loop: Header=BB101_4 Depth=1
	v_ashrrev_i32_e32 v7, 31, v6
	s_delay_alu instid0(VALU_DEP_1)
	v_lshl_add_u64 v[10:11], v[6:7], 1, v[4:5]
	global_load_u16 v7, v[10:11], off
	s_wait_loadcnt 0x0
	v_cvt_f32_f16_e32 v7, v7
	s_branch .LBB101_3
.LBB101_6:
	s_endpgm
	.section	.rodata,"a",@progbits
	.p2align	6, 0x0
	.amdhsa_kernel _ZL11k_bin_bcastIXadL_ZL6op_mulffEE6__halffS0_JPKfS2_EEvPKT0_PKT1_PT2_iii15HIP_vector_typeIjLj3EESC_SC_SC_SC_iiiiiiiiiiiDpT3_
		.amdhsa_group_segment_fixed_size 0
		.amdhsa_private_segment_fixed_size 0
		.amdhsa_kernarg_size 416
		.amdhsa_user_sgpr_count 2
		.amdhsa_user_sgpr_dispatch_ptr 0
		.amdhsa_user_sgpr_queue_ptr 0
		.amdhsa_user_sgpr_kernarg_segment_ptr 1
		.amdhsa_user_sgpr_dispatch_id 0
		.amdhsa_user_sgpr_kernarg_preload_length 0
		.amdhsa_user_sgpr_kernarg_preload_offset 0
		.amdhsa_user_sgpr_private_segment_size 0
		.amdhsa_wavefront_size32 1
		.amdhsa_uses_dynamic_stack 0
		.amdhsa_enable_private_segment 0
		.amdhsa_system_sgpr_workgroup_id_x 1
		.amdhsa_system_sgpr_workgroup_id_y 1
		.amdhsa_system_sgpr_workgroup_id_z 1
		.amdhsa_system_sgpr_workgroup_info 0
		.amdhsa_system_vgpr_workitem_id 2
		.amdhsa_next_free_vgpr 16
		.amdhsa_next_free_sgpr 39
		.amdhsa_named_barrier_count 0
		.amdhsa_reserve_vcc 1
		.amdhsa_float_round_mode_32 0
		.amdhsa_float_round_mode_16_64 0
		.amdhsa_float_denorm_mode_32 3
		.amdhsa_float_denorm_mode_16_64 3
		.amdhsa_fp16_overflow 0
		.amdhsa_memory_ordered 1
		.amdhsa_forward_progress 1
		.amdhsa_inst_pref_size 8
		.amdhsa_round_robin_scheduling 0
		.amdhsa_exception_fp_ieee_invalid_op 0
		.amdhsa_exception_fp_denorm_src 0
		.amdhsa_exception_fp_ieee_div_zero 0
		.amdhsa_exception_fp_ieee_overflow 0
		.amdhsa_exception_fp_ieee_underflow 0
		.amdhsa_exception_fp_ieee_inexact 0
		.amdhsa_exception_int_div_zero 0
	.end_amdhsa_kernel
	.section	.text._ZL11k_bin_bcastIXadL_ZL6op_mulffEE6__halffS0_JPKfS2_EEvPKT0_PKT1_PT2_iii15HIP_vector_typeIjLj3EESC_SC_SC_SC_iiiiiiiiiiiDpT3_,"axG",@progbits,_ZL11k_bin_bcastIXadL_ZL6op_mulffEE6__halffS0_JPKfS2_EEvPKT0_PKT1_PT2_iii15HIP_vector_typeIjLj3EESC_SC_SC_SC_iiiiiiiiiiiDpT3_,comdat
.Lfunc_end101:
	.size	_ZL11k_bin_bcastIXadL_ZL6op_mulffEE6__halffS0_JPKfS2_EEvPKT0_PKT1_PT2_iii15HIP_vector_typeIjLj3EESC_SC_SC_SC_iiiiiiiiiiiDpT3_, .Lfunc_end101-_ZL11k_bin_bcastIXadL_ZL6op_mulffEE6__halffS0_JPKfS2_EEvPKT0_PKT1_PT2_iii15HIP_vector_typeIjLj3EESC_SC_SC_SC_iiiiiiiiiiiDpT3_
                                        ; -- End function
	.set _ZL11k_bin_bcastIXadL_ZL6op_mulffEE6__halffS0_JPKfS2_EEvPKT0_PKT1_PT2_iii15HIP_vector_typeIjLj3EESC_SC_SC_SC_iiiiiiiiiiiDpT3_.num_vgpr, 16
	.set _ZL11k_bin_bcastIXadL_ZL6op_mulffEE6__halffS0_JPKfS2_EEvPKT0_PKT1_PT2_iii15HIP_vector_typeIjLj3EESC_SC_SC_SC_iiiiiiiiiiiDpT3_.num_agpr, 0
	.set _ZL11k_bin_bcastIXadL_ZL6op_mulffEE6__halffS0_JPKfS2_EEvPKT0_PKT1_PT2_iii15HIP_vector_typeIjLj3EESC_SC_SC_SC_iiiiiiiiiiiDpT3_.numbered_sgpr, 39
	.set _ZL11k_bin_bcastIXadL_ZL6op_mulffEE6__halffS0_JPKfS2_EEvPKT0_PKT1_PT2_iii15HIP_vector_typeIjLj3EESC_SC_SC_SC_iiiiiiiiiiiDpT3_.num_named_barrier, 0
	.set _ZL11k_bin_bcastIXadL_ZL6op_mulffEE6__halffS0_JPKfS2_EEvPKT0_PKT1_PT2_iii15HIP_vector_typeIjLj3EESC_SC_SC_SC_iiiiiiiiiiiDpT3_.private_seg_size, 0
	.set _ZL11k_bin_bcastIXadL_ZL6op_mulffEE6__halffS0_JPKfS2_EEvPKT0_PKT1_PT2_iii15HIP_vector_typeIjLj3EESC_SC_SC_SC_iiiiiiiiiiiDpT3_.uses_vcc, 1
	.set _ZL11k_bin_bcastIXadL_ZL6op_mulffEE6__halffS0_JPKfS2_EEvPKT0_PKT1_PT2_iii15HIP_vector_typeIjLj3EESC_SC_SC_SC_iiiiiiiiiiiDpT3_.uses_flat_scratch, 0
	.set _ZL11k_bin_bcastIXadL_ZL6op_mulffEE6__halffS0_JPKfS2_EEvPKT0_PKT1_PT2_iii15HIP_vector_typeIjLj3EESC_SC_SC_SC_iiiiiiiiiiiDpT3_.has_dyn_sized_stack, 0
	.set _ZL11k_bin_bcastIXadL_ZL6op_mulffEE6__halffS0_JPKfS2_EEvPKT0_PKT1_PT2_iii15HIP_vector_typeIjLj3EESC_SC_SC_SC_iiiiiiiiiiiDpT3_.has_recursion, 0
	.set _ZL11k_bin_bcastIXadL_ZL6op_mulffEE6__halffS0_JPKfS2_EEvPKT0_PKT1_PT2_iii15HIP_vector_typeIjLj3EESC_SC_SC_SC_iiiiiiiiiiiDpT3_.has_indirect_call, 0
	.section	.AMDGPU.csdata,"",@progbits
; Kernel info:
; codeLenInByte = 916
; TotalNumSgprs: 41
; NumVgprs: 16
; ScratchSize: 0
; MemoryBound: 0
; FloatMode: 240
; IeeeMode: 1
; LDSByteSize: 0 bytes/workgroup (compile time only)
; SGPRBlocks: 0
; VGPRBlocks: 0
; NumSGPRsForWavesPerEU: 41
; NumVGPRsForWavesPerEU: 16
; NamedBarCnt: 0
; Occupancy: 16
; WaveLimiterHint : 1
; COMPUTE_PGM_RSRC2:SCRATCH_EN: 0
; COMPUTE_PGM_RSRC2:USER_SGPR: 2
; COMPUTE_PGM_RSRC2:TRAP_HANDLER: 0
; COMPUTE_PGM_RSRC2:TGID_X_EN: 1
; COMPUTE_PGM_RSRC2:TGID_Y_EN: 1
; COMPUTE_PGM_RSRC2:TGID_Z_EN: 1
; COMPUTE_PGM_RSRC2:TIDIG_COMP_CNT: 2
	.section	.text._ZL19k_bin_bcast_unravelIXadL_ZL6op_mulffEE6__halfffJPKfS2_EEvPKT0_PKT1_PT2_15HIP_vector_typeIjLj3EESC_SC_jSC_SC_SC_SC_SC_SC_iiiiiiiiiiiDpT3_,"axG",@progbits,_ZL19k_bin_bcast_unravelIXadL_ZL6op_mulffEE6__halfffJPKfS2_EEvPKT0_PKT1_PT2_15HIP_vector_typeIjLj3EESC_SC_jSC_SC_SC_SC_SC_SC_iiiiiiiiiiiDpT3_,comdat
	.globl	_ZL19k_bin_bcast_unravelIXadL_ZL6op_mulffEE6__halfffJPKfS2_EEvPKT0_PKT1_PT2_15HIP_vector_typeIjLj3EESC_SC_jSC_SC_SC_SC_SC_SC_iiiiiiiiiiiDpT3_ ; -- Begin function _ZL19k_bin_bcast_unravelIXadL_ZL6op_mulffEE6__halfffJPKfS2_EEvPKT0_PKT1_PT2_15HIP_vector_typeIjLj3EESC_SC_jSC_SC_SC_SC_SC_SC_iiiiiiiiiiiDpT3_
	.p2align	8
	.type	_ZL19k_bin_bcast_unravelIXadL_ZL6op_mulffEE6__halfffJPKfS2_EEvPKT0_PKT1_PT2_15HIP_vector_typeIjLj3EESC_SC_jSC_SC_SC_SC_SC_SC_iiiiiiiiiiiDpT3_,@function
_ZL19k_bin_bcast_unravelIXadL_ZL6op_mulffEE6__halfffJPKfS2_EEvPKT0_PKT1_PT2_15HIP_vector_typeIjLj3EESC_SC_jSC_SC_SC_SC_SC_SC_iiiiiiiiiiiDpT3_: ; @_ZL19k_bin_bcast_unravelIXadL_ZL6op_mulffEE6__halfffJPKfS2_EEvPKT0_PKT1_PT2_15HIP_vector_typeIjLj3EESC_SC_jSC_SC_SC_SC_SC_SC_iiiiiiiiiiiDpT3_
; %bb.0:
	s_load_b32 s2, s[0:1], 0xd4
	s_bfe_u32 s3, ttmp6, 0x4000c
	s_load_b256 s[4:11], s[0:1], 0x38
	s_add_co_i32 s3, s3, 1
	s_and_b32 s12, ttmp6, 15
	s_mul_i32 s3, ttmp9, s3
	s_getreg_b32 s13, hwreg(HW_REG_IB_STS2, 6, 4)
	s_add_co_i32 s12, s12, s3
	s_wait_kmcnt 0x0
	s_and_b32 s2, s2, 0xffff
	s_cmp_eq_u32 s13, 0
	s_cselect_b32 s3, ttmp9, s12
	s_delay_alu instid0(SALU_CYCLE_1) | instskip(SKIP_1) | instid1(VALU_DEP_1)
	v_mad_u32 v0, s3, s2, v0
	s_load_b32 s2, s[0:1], 0x2c
	v_mul_hi_u32 v1, v0, s6
	s_delay_alu instid0(VALU_DEP_1) | instskip(NEXT) | instid1(VALU_DEP_1)
	v_add_nc_u32_e32 v1, v0, v1
	v_lshrrev_b32_e32 v1, s7, v1
	s_delay_alu instid0(VALU_DEP_1) | instskip(NEXT) | instid1(VALU_DEP_1)
	v_mul_lo_u32 v2, v1, s8
	v_sub_nc_u32_e32 v0, v0, v2
	s_delay_alu instid0(VALU_DEP_1) | instskip(NEXT) | instid1(VALU_DEP_1)
	v_mul_hi_u32 v2, v0, s9
	v_add_nc_u32_e32 v2, v0, v2
	s_delay_alu instid0(VALU_DEP_1) | instskip(SKIP_1) | instid1(VALU_DEP_1)
	v_lshrrev_b32_e32 v2, s10, v2
	s_load_b96 s[8:10], s[0:1], 0x18
	v_mul_lo_u32 v3, v2, s11
	s_delay_alu instid0(VALU_DEP_1) | instskip(SKIP_3) | instid1(VALU_DEP_3)
	v_sub_nc_u32_e32 v0, v0, v3
	v_cmp_gt_u32_e64 s3, s4, v2
	v_cmp_gt_u32_e64 s4, s5, v1
	s_wait_kmcnt 0x0
	v_mul_hi_u32 v3, v0, s8
	s_delay_alu instid0(VALU_DEP_1) | instskip(NEXT) | instid1(VALU_DEP_1)
	v_add_nc_u32_e32 v3, v0, v3
	v_lshrrev_b32_e32 v4, s9, v3
	s_delay_alu instid0(VALU_DEP_1) | instskip(NEXT) | instid1(VALU_DEP_1)
	v_mul_lo_u32 v3, v4, s10
	v_sub_nc_u32_e32 v0, v0, v3
	v_cmp_gt_u32_e64 s2, s2, v4
	s_delay_alu instid0(VALU_DEP_2) | instskip(SKIP_1) | instid1(SALU_CYCLE_1)
	v_cmp_gt_u32_e32 vcc_lo, s10, v0
	s_and_b32 s2, vcc_lo, s2
	s_and_b32 s2, s2, s3
	s_delay_alu instid0(SALU_CYCLE_1) | instskip(NEXT) | instid1(SALU_CYCLE_1)
	s_and_b32 s2, s4, s2
	s_and_saveexec_b32 s3, s2
	s_cbranch_execz .LBB102_4
; %bb.1:
	s_clause 0x4
	s_load_b64 s[2:3], s[0:1], 0x0
	s_load_b96 s[24:26], s[0:1], 0xa8
	s_load_b256 s[4:11], s[0:1], 0x88
	s_load_b128 s[20:23], s[0:1], 0x78
	s_load_b256 s[12:19], s[0:1], 0x58
	v_dual_mov_b32 v3, 0 :: v_dual_mov_b32 v5, 0
	s_wait_kmcnt 0x0
	s_cmp_eq_u64 s[2:3], 0
	s_cbranch_scc1 .LBB102_3
; %bb.2:
	v_mul_lo_u32 v5, v1, s10
	v_mov_b32_e32 v7, 0
	s_delay_alu instid0(VALU_DEP_2) | instskip(NEXT) | instid1(VALU_DEP_1)
	v_mad_u32 v5, v2, s9, v5
	v_mad_u32 v6, v4, s8, v5
	s_delay_alu instid0(VALU_DEP_1) | instskip(SKIP_1) | instid1(VALU_DEP_1)
	v_lshl_add_u64 v[8:9], v[6:7], 1, s[2:3]
	v_mul_lo_u32 v6, v0, s7
	v_lshl_add_u64 v[6:7], v[6:7], 1, v[8:9]
	global_load_u16 v5, v[6:7], off
	s_wait_loadcnt 0x0
	v_cvt_f32_f16_e32 v5, v5
.LBB102_3:
	v_mul_hi_u32 v6, s21, v1
	v_mul_hi_u32 v7, s18, v2
	;; [unrolled: 1-line block ×4, first 2 shown]
	s_delay_alu instid0(VALU_DEP_3) | instskip(NEXT) | instid1(VALU_DEP_1)
	v_dual_add_nc_u32 v6, v1, v6 :: v_dual_add_nc_u32 v7, v2, v7
	v_dual_lshrrev_b32 v6, s22, v6 :: v_dual_lshrrev_b32 v7, s19, v7
	s_delay_alu instid0(VALU_DEP_1) | instskip(SKIP_1) | instid1(VALU_DEP_3)
	v_mul_lo_u32 v6, v6, s23
	v_add_nc_u32_e32 v8, v4, v8
	v_mul_lo_u32 v7, v7, s20
	s_delay_alu instid0(VALU_DEP_3) | instskip(NEXT) | instid1(VALU_DEP_3)
	v_dual_sub_nc_u32 v6, v1, v6 :: v_dual_add_nc_u32 v9, v0, v9
	v_lshrrev_b32_e32 v8, s16, v8
	v_mul_lo_u32 v1, v1, s6
	s_delay_alu instid0(VALU_DEP_4) | instskip(NEXT) | instid1(VALU_DEP_4)
	v_sub_nc_u32_e32 v7, v2, v7
	v_mul_lo_u32 v6, v6, s26
	v_lshrrev_b32_e32 v9, s13, v9
	v_mul_lo_u32 v8, v8, s17
	s_delay_alu instid0(VALU_DEP_2) | instskip(SKIP_2) | instid1(VALU_DEP_4)
	v_mul_lo_u32 v9, v9, s14
	v_mad_u32 v1, v2, s5, v1
	v_mad_u32 v7, v7, s25, v6
	v_sub_nc_u32_e32 v8, v4, v8
	s_delay_alu instid0(VALU_DEP_3) | instskip(NEXT) | instid1(VALU_DEP_2)
	v_mad_u32 v2, v4, s4, v1
	v_mad_u32 v8, v8, s24, v7
	s_delay_alu instid0(VALU_DEP_1) | instskip(NEXT) | instid1(VALU_DEP_1)
	v_dual_sub_nc_u32 v6, v0, v9 :: v_dual_ashrrev_i32 v9, 31, v8
	v_mul_lo_u32 v6, v6, s11
	s_load_b128 s[8:11], s[0:1], 0xb8
	s_delay_alu instid0(VALU_DEP_1) | instskip(SKIP_2) | instid1(VALU_DEP_1)
	v_ashrrev_i32_e32 v7, 31, v6
	s_wait_xcnt 0x0
	s_load_b64 s[0:1], s[0:1], 0x10
	v_add_nc_u64_e32 v[6:7], v[6:7], v[8:9]
	s_delay_alu instid0(VALU_DEP_1) | instskip(SKIP_1) | instid1(VALU_DEP_1)
	v_lshlrev_b64_e32 v[6:7], 2, v[6:7]
	s_wait_kmcnt 0x0
	v_add_nc_u64_e32 v[8:9], s[8:9], v[6:7]
	v_add_nc_u64_e32 v[6:7], s[10:11], v[6:7]
	global_load_b32 v10, v[8:9], off
	global_load_b32 v11, v[6:7], off
	v_mov_b32_e32 v1, v3
	v_lshl_add_u64 v[2:3], v[2:3], 2, s[0:1]
	s_wait_loadcnt 0x1
	v_mul_f32_e32 v4, v5, v10
	s_delay_alu instid0(VALU_DEP_2) | instskip(SKIP_1) | instid1(VALU_DEP_2)
	v_lshl_add_u64 v[0:1], v[0:1], 2, v[2:3]
	s_wait_loadcnt 0x0
	v_mul_f32_e32 v4, v4, v11
	global_store_b32 v[0:1], v4, off
.LBB102_4:
	s_endpgm
	.section	.rodata,"a",@progbits
	.p2align	6, 0x0
	.amdhsa_kernel _ZL19k_bin_bcast_unravelIXadL_ZL6op_mulffEE6__halfffJPKfS2_EEvPKT0_PKT1_PT2_15HIP_vector_typeIjLj3EESC_SC_jSC_SC_SC_SC_SC_SC_iiiiiiiiiiiDpT3_
		.amdhsa_group_segment_fixed_size 0
		.amdhsa_private_segment_fixed_size 0
		.amdhsa_kernarg_size 456
		.amdhsa_user_sgpr_count 2
		.amdhsa_user_sgpr_dispatch_ptr 0
		.amdhsa_user_sgpr_queue_ptr 0
		.amdhsa_user_sgpr_kernarg_segment_ptr 1
		.amdhsa_user_sgpr_dispatch_id 0
		.amdhsa_user_sgpr_kernarg_preload_length 0
		.amdhsa_user_sgpr_kernarg_preload_offset 0
		.amdhsa_user_sgpr_private_segment_size 0
		.amdhsa_wavefront_size32 1
		.amdhsa_uses_dynamic_stack 0
		.amdhsa_enable_private_segment 0
		.amdhsa_system_sgpr_workgroup_id_x 1
		.amdhsa_system_sgpr_workgroup_id_y 0
		.amdhsa_system_sgpr_workgroup_id_z 0
		.amdhsa_system_sgpr_workgroup_info 0
		.amdhsa_system_vgpr_workitem_id 0
		.amdhsa_next_free_vgpr 12
		.amdhsa_next_free_sgpr 27
		.amdhsa_named_barrier_count 0
		.amdhsa_reserve_vcc 1
		.amdhsa_float_round_mode_32 0
		.amdhsa_float_round_mode_16_64 0
		.amdhsa_float_denorm_mode_32 3
		.amdhsa_float_denorm_mode_16_64 3
		.amdhsa_fp16_overflow 0
		.amdhsa_memory_ordered 1
		.amdhsa_forward_progress 1
		.amdhsa_inst_pref_size 6
		.amdhsa_round_robin_scheduling 0
		.amdhsa_exception_fp_ieee_invalid_op 0
		.amdhsa_exception_fp_denorm_src 0
		.amdhsa_exception_fp_ieee_div_zero 0
		.amdhsa_exception_fp_ieee_overflow 0
		.amdhsa_exception_fp_ieee_underflow 0
		.amdhsa_exception_fp_ieee_inexact 0
		.amdhsa_exception_int_div_zero 0
	.end_amdhsa_kernel
	.section	.text._ZL19k_bin_bcast_unravelIXadL_ZL6op_mulffEE6__halfffJPKfS2_EEvPKT0_PKT1_PT2_15HIP_vector_typeIjLj3EESC_SC_jSC_SC_SC_SC_SC_SC_iiiiiiiiiiiDpT3_,"axG",@progbits,_ZL19k_bin_bcast_unravelIXadL_ZL6op_mulffEE6__halfffJPKfS2_EEvPKT0_PKT1_PT2_15HIP_vector_typeIjLj3EESC_SC_jSC_SC_SC_SC_SC_SC_iiiiiiiiiiiDpT3_,comdat
.Lfunc_end102:
	.size	_ZL19k_bin_bcast_unravelIXadL_ZL6op_mulffEE6__halfffJPKfS2_EEvPKT0_PKT1_PT2_15HIP_vector_typeIjLj3EESC_SC_jSC_SC_SC_SC_SC_SC_iiiiiiiiiiiDpT3_, .Lfunc_end102-_ZL19k_bin_bcast_unravelIXadL_ZL6op_mulffEE6__halfffJPKfS2_EEvPKT0_PKT1_PT2_15HIP_vector_typeIjLj3EESC_SC_jSC_SC_SC_SC_SC_SC_iiiiiiiiiiiDpT3_
                                        ; -- End function
	.set _ZL19k_bin_bcast_unravelIXadL_ZL6op_mulffEE6__halfffJPKfS2_EEvPKT0_PKT1_PT2_15HIP_vector_typeIjLj3EESC_SC_jSC_SC_SC_SC_SC_SC_iiiiiiiiiiiDpT3_.num_vgpr, 12
	.set _ZL19k_bin_bcast_unravelIXadL_ZL6op_mulffEE6__halfffJPKfS2_EEvPKT0_PKT1_PT2_15HIP_vector_typeIjLj3EESC_SC_jSC_SC_SC_SC_SC_SC_iiiiiiiiiiiDpT3_.num_agpr, 0
	.set _ZL19k_bin_bcast_unravelIXadL_ZL6op_mulffEE6__halfffJPKfS2_EEvPKT0_PKT1_PT2_15HIP_vector_typeIjLj3EESC_SC_jSC_SC_SC_SC_SC_SC_iiiiiiiiiiiDpT3_.numbered_sgpr, 27
	.set _ZL19k_bin_bcast_unravelIXadL_ZL6op_mulffEE6__halfffJPKfS2_EEvPKT0_PKT1_PT2_15HIP_vector_typeIjLj3EESC_SC_jSC_SC_SC_SC_SC_SC_iiiiiiiiiiiDpT3_.num_named_barrier, 0
	.set _ZL19k_bin_bcast_unravelIXadL_ZL6op_mulffEE6__halfffJPKfS2_EEvPKT0_PKT1_PT2_15HIP_vector_typeIjLj3EESC_SC_jSC_SC_SC_SC_SC_SC_iiiiiiiiiiiDpT3_.private_seg_size, 0
	.set _ZL19k_bin_bcast_unravelIXadL_ZL6op_mulffEE6__halfffJPKfS2_EEvPKT0_PKT1_PT2_15HIP_vector_typeIjLj3EESC_SC_jSC_SC_SC_SC_SC_SC_iiiiiiiiiiiDpT3_.uses_vcc, 1
	.set _ZL19k_bin_bcast_unravelIXadL_ZL6op_mulffEE6__halfffJPKfS2_EEvPKT0_PKT1_PT2_15HIP_vector_typeIjLj3EESC_SC_jSC_SC_SC_SC_SC_SC_iiiiiiiiiiiDpT3_.uses_flat_scratch, 0
	.set _ZL19k_bin_bcast_unravelIXadL_ZL6op_mulffEE6__halfffJPKfS2_EEvPKT0_PKT1_PT2_15HIP_vector_typeIjLj3EESC_SC_jSC_SC_SC_SC_SC_SC_iiiiiiiiiiiDpT3_.has_dyn_sized_stack, 0
	.set _ZL19k_bin_bcast_unravelIXadL_ZL6op_mulffEE6__halfffJPKfS2_EEvPKT0_PKT1_PT2_15HIP_vector_typeIjLj3EESC_SC_jSC_SC_SC_SC_SC_SC_iiiiiiiiiiiDpT3_.has_recursion, 0
	.set _ZL19k_bin_bcast_unravelIXadL_ZL6op_mulffEE6__halfffJPKfS2_EEvPKT0_PKT1_PT2_15HIP_vector_typeIjLj3EESC_SC_jSC_SC_SC_SC_SC_SC_iiiiiiiiiiiDpT3_.has_indirect_call, 0
	.section	.AMDGPU.csdata,"",@progbits
; Kernel info:
; codeLenInByte = 760
; TotalNumSgprs: 29
; NumVgprs: 12
; ScratchSize: 0
; MemoryBound: 0
; FloatMode: 240
; IeeeMode: 1
; LDSByteSize: 0 bytes/workgroup (compile time only)
; SGPRBlocks: 0
; VGPRBlocks: 0
; NumSGPRsForWavesPerEU: 29
; NumVGPRsForWavesPerEU: 12
; NamedBarCnt: 0
; Occupancy: 16
; WaveLimiterHint : 1
; COMPUTE_PGM_RSRC2:SCRATCH_EN: 0
; COMPUTE_PGM_RSRC2:USER_SGPR: 2
; COMPUTE_PGM_RSRC2:TRAP_HANDLER: 0
; COMPUTE_PGM_RSRC2:TGID_X_EN: 1
; COMPUTE_PGM_RSRC2:TGID_Y_EN: 0
; COMPUTE_PGM_RSRC2:TGID_Z_EN: 0
; COMPUTE_PGM_RSRC2:TIDIG_COMP_CNT: 0
	.section	.text._ZL11k_bin_bcastIXadL_ZL6op_mulffEE6__halfffJPKfS2_EEvPKT0_PKT1_PT2_iii15HIP_vector_typeIjLj3EESC_SC_SC_SC_iiiiiiiiiiiDpT3_,"axG",@progbits,_ZL11k_bin_bcastIXadL_ZL6op_mulffEE6__halfffJPKfS2_EEvPKT0_PKT1_PT2_iii15HIP_vector_typeIjLj3EESC_SC_SC_SC_iiiiiiiiiiiDpT3_,comdat
	.globl	_ZL11k_bin_bcastIXadL_ZL6op_mulffEE6__halfffJPKfS2_EEvPKT0_PKT1_PT2_iii15HIP_vector_typeIjLj3EESC_SC_SC_SC_iiiiiiiiiiiDpT3_ ; -- Begin function _ZL11k_bin_bcastIXadL_ZL6op_mulffEE6__halfffJPKfS2_EEvPKT0_PKT1_PT2_iii15HIP_vector_typeIjLj3EESC_SC_SC_SC_iiiiiiiiiiiDpT3_
	.p2align	8
	.type	_ZL11k_bin_bcastIXadL_ZL6op_mulffEE6__halfffJPKfS2_EEvPKT0_PKT1_PT2_iii15HIP_vector_typeIjLj3EESC_SC_SC_SC_iiiiiiiiiiiDpT3_,@function
_ZL11k_bin_bcastIXadL_ZL6op_mulffEE6__halfffJPKfS2_EEvPKT0_PKT1_PT2_iii15HIP_vector_typeIjLj3EESC_SC_SC_SC_iiiiiiiiiiiDpT3_: ; @_ZL11k_bin_bcastIXadL_ZL6op_mulffEE6__halfffJPKfS2_EEvPKT0_PKT1_PT2_iii15HIP_vector_typeIjLj3EESC_SC_SC_SC_iiiiiiiiiiiDpT3_
; %bb.0:
	s_load_b64 s[2:3], s[0:1], 0xac
	s_bfe_u32 s5, ttmp6, 0x40014
	s_bfe_u32 s16, ttmp6, 0x40010
	;; [unrolled: 1-line block ×3, first 2 shown]
	s_lshr_b32 s4, ttmp7, 16
	s_add_co_i32 s5, s5, 1
	s_and_b32 s7, ttmp7, 0xffff
	s_load_b256 s[8:15], s[0:1], 0x18
	s_add_co_i32 s16, s16, 1
	s_add_co_i32 s19, s19, 1
	s_bfe_u32 s6, ttmp6, 0x40008
	s_mul_i32 s5, s4, s5
	s_bfe_u32 s17, ttmp6, 0x40004
	s_and_b32 s18, ttmp6, 15
	s_mul_i32 s16, s7, s16
	s_mul_i32 s19, ttmp9, s19
	s_add_co_i32 s6, s6, s5
	s_add_co_i32 s17, s17, s16
	s_add_co_i32 s18, s18, s19
	v_bfe_u32 v1, v0, 20, 10
	s_wait_kmcnt 0x0
	s_lshr_b32 s5, s2, 16
	s_and_b32 s33, s2, 0xffff
	s_getreg_b32 s2, hwreg(HW_REG_IB_STS2, 6, 4)
	s_and_b32 s3, s3, 0xffff
	s_cmp_eq_u32 s2, 0
	v_and_b32_e32 v2, 0x3ff, v0
	s_cselect_b32 s2, s4, s6
	v_bfe_u32 v4, v0, 10, 10
	v_mad_u32 v3, s2, s3, v1
	s_cselect_b32 s2, ttmp9, s18
	s_cselect_b32 s3, s7, s17
	v_mad_u32 v0, s2, s33, v2
	v_mad_u32 v2, s3, s5, v4
	s_delay_alu instid0(VALU_DEP_3) | instskip(NEXT) | instid1(VALU_DEP_3)
	v_mul_hi_u32 v1, v3, s11
	v_cmp_gt_u32_e32 vcc_lo, s8, v0
	s_delay_alu instid0(VALU_DEP_3) | instskip(SKIP_2) | instid1(VALU_DEP_1)
	v_cmp_gt_u32_e64 s2, s9, v2
	s_and_b32 s2, vcc_lo, s2
	v_add_nc_u32_e32 v1, v3, v1
	v_lshrrev_b32_e32 v1, s12, v1
	s_delay_alu instid0(VALU_DEP_1) | instskip(SKIP_3) | instid1(VALU_DEP_1)
	v_mul_lo_u32 v5, v1, s13
	v_cmp_gt_u32_e64 s3, s10, v1
	s_and_b32 s2, s2, s3
	v_sub_nc_u32_e32 v3, v3, v5
	v_cmp_gt_u32_e64 s4, s13, v3
	s_and_b32 s2, s2, s4
	s_delay_alu instid0(SALU_CYCLE_1)
	s_and_saveexec_b32 s3, s2
	s_cbranch_execz .LBB103_6
; %bb.1:
	v_cmp_gt_i32_e32 vcc_lo, s8, v0
	s_and_b32 exec_lo, exec_lo, vcc_lo
	s_cbranch_execz .LBB103_6
; %bb.2:
	s_clause 0x4
	s_load_b256 s[24:31], s[0:1], 0x3c
	s_load_b32 s2, s[0:1], 0x5c
	s_load_b256 s[16:23], s[0:1], 0x60
	s_load_b96 s[36:38], s[0:1], 0x80
	s_load_b128 s[4:7], s[0:1], 0x90
	s_add_nc_u64 s[10:11], s[0:1], 0xa0
	s_load_b64 s[12:13], s[0:1], 0x10
	s_wait_kmcnt 0x0
	v_mul_hi_u32 v4, s30, v3
	v_mul_hi_u32 v5, s27, v1
	;; [unrolled: 1-line block ×3, first 2 shown]
	v_mul_lo_u32 v7, v2, s20
	v_mul_lo_u32 v8, v2, s16
	s_load_b32 s9, s[10:11], 0x0
	s_load_b32 s16, s[0:1], 0x38
	s_delay_alu instid0(VALU_DEP_4) | instskip(NEXT) | instid1(VALU_DEP_3)
	v_dual_add_nc_u32 v4, v3, v4 :: v_dual_add_nc_u32 v5, v1, v5
	v_mad_u32 v7, v1, s21, v7
	s_delay_alu instid0(VALU_DEP_3) | instskip(NEXT) | instid1(VALU_DEP_3)
	v_mad_u32 v8, v1, s17, v8
	v_dual_lshrrev_b32 v4, s31, v4 :: v_dual_lshrrev_b32 v5, s28, v5
	s_delay_alu instid0(VALU_DEP_1) | instskip(SKIP_1) | instid1(VALU_DEP_3)
	v_mul_lo_u32 v4, v4, s2
	v_add_nc_u32_e32 v6, v2, v6
	v_mul_lo_u32 v5, v5, s29
	s_load_b64 s[2:3], s[0:1], 0x0
	s_wait_xcnt 0x0
	s_mov_b32 s1, 0
	v_mad_u32 v8, v3, s18, v8
	s_mov_b32 s0, s14
	s_mov_b32 s11, s1
	s_delay_alu instid0(VALU_DEP_4) | instskip(NEXT) | instid1(VALU_DEP_3)
	v_dual_sub_nc_u32 v4, v3, v4 :: v_dual_lshrrev_b32 v6, s25, v6
	v_sub_nc_u32_e32 v5, v1, v5
	s_delay_alu instid0(VALU_DEP_2) | instskip(NEXT) | instid1(VALU_DEP_3)
	v_mul_lo_u32 v9, v4, s38
	v_mul_lo_u32 v6, v6, s26
	v_mad_u32 v4, v3, s22, v7
	v_mov_b32_e32 v1, 0
	s_wait_kmcnt 0x0
	s_cmp_lg_u64 s[2:3], 0
	s_delay_alu instid0(VALU_DEP_4) | instskip(NEXT) | instid1(VALU_DEP_4)
	v_mad_u32 v7, v5, s37, v9
	v_sub_nc_u32_e32 v2, v2, v6
	v_mul_lo_u32 v6, s19, v0
	v_dual_mov_b32 v5, v1 :: v_dual_mov_b32 v9, v1
	v_mov_b32_e32 v3, v1
	s_delay_alu instid0(VALU_DEP_2) | instskip(NEXT) | instid1(VALU_DEP_3)
	v_lshl_add_u64 v[4:5], v[4:5], 1, s[2:3]
	v_lshl_add_u64 v[8:9], v[8:9], 2, s[12:13]
	s_mul_i32 s2, s9, s33
	v_mad_u32 v2, v2, s36, v7
	s_cselect_b32 s3, -1, 0
	s_mul_i32 s9, s2, s19
	s_sub_co_i32 s10, 0, s16
	s_branch .LBB103_4
.LBB103_3:                              ;   in Loop: Header=BB103_4 Depth=1
	s_wait_xcnt 0x0
	v_mul_u64_e32 v[10:11], s[0:1], v[0:1]
	s_delay_alu instid0(VALU_DEP_1) | instskip(NEXT) | instid1(VALU_DEP_1)
	v_dual_add_nc_u32 v6, s9, v6 :: v_dual_add_nc_u32 v10, v0, v11
	v_dual_mov_b32 v11, v1 :: v_dual_lshrrev_b32 v10, s15, v10
	s_delay_alu instid0(VALU_DEP_1) | instskip(NEXT) | instid1(VALU_DEP_1)
	v_mad_u32 v10, s10, v10, v0
	v_mul_lo_u32 v10, v10, s23
	s_delay_alu instid0(VALU_DEP_1) | instskip(NEXT) | instid1(VALU_DEP_1)
	v_add_nc_u64_e32 v[10:11], v[10:11], v[2:3]
	v_lshlrev_b64_e32 v[10:11], 2, v[10:11]
	s_delay_alu instid0(VALU_DEP_1)
	v_add_nc_u64_e32 v[12:13], s[4:5], v[10:11]
	v_add_nc_u64_e32 v[10:11], s[6:7], v[10:11]
	global_load_b32 v14, v[12:13], off
	global_load_b32 v15, v[10:11], off
	s_wait_xcnt 0x0
	v_dual_mov_b32 v10, v0 :: v_dual_ashrrev_i32 v11, 31, v0
	v_add_nc_u32_e32 v0, s2, v0
	s_delay_alu instid0(VALU_DEP_2) | instskip(NEXT) | instid1(VALU_DEP_2)
	v_lshl_add_u64 v[10:11], v[10:11], 2, v[8:9]
	v_cmp_le_i32_e32 vcc_lo, s8, v0
	s_or_b32 s11, vcc_lo, s11
	s_wait_loadcnt 0x1
	v_mul_f32_e32 v7, v7, v14
	s_wait_loadcnt 0x0
	s_delay_alu instid0(VALU_DEP_1)
	v_mul_f32_e32 v7, v7, v15
	global_store_b32 v[10:11], v7, off
	s_wait_xcnt 0x0
	s_and_not1_b32 exec_lo, exec_lo, s11
	s_cbranch_execz .LBB103_6
.LBB103_4:                              ; =>This Inner Loop Header: Depth=1
	v_mov_b32_e32 v7, 0
	s_and_not1_b32 vcc_lo, exec_lo, s3
	s_cbranch_vccnz .LBB103_3
; %bb.5:                                ;   in Loop: Header=BB103_4 Depth=1
	v_ashrrev_i32_e32 v7, 31, v6
	s_delay_alu instid0(VALU_DEP_1)
	v_lshl_add_u64 v[10:11], v[6:7], 1, v[4:5]
	global_load_u16 v7, v[10:11], off
	s_wait_loadcnt 0x0
	v_cvt_f32_f16_e32 v7, v7
	s_branch .LBB103_3
.LBB103_6:
	s_endpgm
	.section	.rodata,"a",@progbits
	.p2align	6, 0x0
	.amdhsa_kernel _ZL11k_bin_bcastIXadL_ZL6op_mulffEE6__halfffJPKfS2_EEvPKT0_PKT1_PT2_iii15HIP_vector_typeIjLj3EESC_SC_SC_SC_iiiiiiiiiiiDpT3_
		.amdhsa_group_segment_fixed_size 0
		.amdhsa_private_segment_fixed_size 0
		.amdhsa_kernarg_size 416
		.amdhsa_user_sgpr_count 2
		.amdhsa_user_sgpr_dispatch_ptr 0
		.amdhsa_user_sgpr_queue_ptr 0
		.amdhsa_user_sgpr_kernarg_segment_ptr 1
		.amdhsa_user_sgpr_dispatch_id 0
		.amdhsa_user_sgpr_kernarg_preload_length 0
		.amdhsa_user_sgpr_kernarg_preload_offset 0
		.amdhsa_user_sgpr_private_segment_size 0
		.amdhsa_wavefront_size32 1
		.amdhsa_uses_dynamic_stack 0
		.amdhsa_enable_private_segment 0
		.amdhsa_system_sgpr_workgroup_id_x 1
		.amdhsa_system_sgpr_workgroup_id_y 1
		.amdhsa_system_sgpr_workgroup_id_z 1
		.amdhsa_system_sgpr_workgroup_info 0
		.amdhsa_system_vgpr_workitem_id 2
		.amdhsa_next_free_vgpr 16
		.amdhsa_next_free_sgpr 39
		.amdhsa_named_barrier_count 0
		.amdhsa_reserve_vcc 1
		.amdhsa_float_round_mode_32 0
		.amdhsa_float_round_mode_16_64 0
		.amdhsa_float_denorm_mode_32 3
		.amdhsa_float_denorm_mode_16_64 3
		.amdhsa_fp16_overflow 0
		.amdhsa_memory_ordered 1
		.amdhsa_forward_progress 1
		.amdhsa_inst_pref_size 8
		.amdhsa_round_robin_scheduling 0
		.amdhsa_exception_fp_ieee_invalid_op 0
		.amdhsa_exception_fp_denorm_src 0
		.amdhsa_exception_fp_ieee_div_zero 0
		.amdhsa_exception_fp_ieee_overflow 0
		.amdhsa_exception_fp_ieee_underflow 0
		.amdhsa_exception_fp_ieee_inexact 0
		.amdhsa_exception_int_div_zero 0
	.end_amdhsa_kernel
	.section	.text._ZL11k_bin_bcastIXadL_ZL6op_mulffEE6__halfffJPKfS2_EEvPKT0_PKT1_PT2_iii15HIP_vector_typeIjLj3EESC_SC_SC_SC_iiiiiiiiiiiDpT3_,"axG",@progbits,_ZL11k_bin_bcastIXadL_ZL6op_mulffEE6__halfffJPKfS2_EEvPKT0_PKT1_PT2_iii15HIP_vector_typeIjLj3EESC_SC_SC_SC_iiiiiiiiiiiDpT3_,comdat
.Lfunc_end103:
	.size	_ZL11k_bin_bcastIXadL_ZL6op_mulffEE6__halfffJPKfS2_EEvPKT0_PKT1_PT2_iii15HIP_vector_typeIjLj3EESC_SC_SC_SC_iiiiiiiiiiiDpT3_, .Lfunc_end103-_ZL11k_bin_bcastIXadL_ZL6op_mulffEE6__halfffJPKfS2_EEvPKT0_PKT1_PT2_iii15HIP_vector_typeIjLj3EESC_SC_SC_SC_iiiiiiiiiiiDpT3_
                                        ; -- End function
	.set _ZL11k_bin_bcastIXadL_ZL6op_mulffEE6__halfffJPKfS2_EEvPKT0_PKT1_PT2_iii15HIP_vector_typeIjLj3EESC_SC_SC_SC_iiiiiiiiiiiDpT3_.num_vgpr, 16
	.set _ZL11k_bin_bcastIXadL_ZL6op_mulffEE6__halfffJPKfS2_EEvPKT0_PKT1_PT2_iii15HIP_vector_typeIjLj3EESC_SC_SC_SC_iiiiiiiiiiiDpT3_.num_agpr, 0
	.set _ZL11k_bin_bcastIXadL_ZL6op_mulffEE6__halfffJPKfS2_EEvPKT0_PKT1_PT2_iii15HIP_vector_typeIjLj3EESC_SC_SC_SC_iiiiiiiiiiiDpT3_.numbered_sgpr, 39
	.set _ZL11k_bin_bcastIXadL_ZL6op_mulffEE6__halfffJPKfS2_EEvPKT0_PKT1_PT2_iii15HIP_vector_typeIjLj3EESC_SC_SC_SC_iiiiiiiiiiiDpT3_.num_named_barrier, 0
	.set _ZL11k_bin_bcastIXadL_ZL6op_mulffEE6__halfffJPKfS2_EEvPKT0_PKT1_PT2_iii15HIP_vector_typeIjLj3EESC_SC_SC_SC_iiiiiiiiiiiDpT3_.private_seg_size, 0
	.set _ZL11k_bin_bcastIXadL_ZL6op_mulffEE6__halfffJPKfS2_EEvPKT0_PKT1_PT2_iii15HIP_vector_typeIjLj3EESC_SC_SC_SC_iiiiiiiiiiiDpT3_.uses_vcc, 1
	.set _ZL11k_bin_bcastIXadL_ZL6op_mulffEE6__halfffJPKfS2_EEvPKT0_PKT1_PT2_iii15HIP_vector_typeIjLj3EESC_SC_SC_SC_iiiiiiiiiiiDpT3_.uses_flat_scratch, 0
	.set _ZL11k_bin_bcastIXadL_ZL6op_mulffEE6__halfffJPKfS2_EEvPKT0_PKT1_PT2_iii15HIP_vector_typeIjLj3EESC_SC_SC_SC_iiiiiiiiiiiDpT3_.has_dyn_sized_stack, 0
	.set _ZL11k_bin_bcastIXadL_ZL6op_mulffEE6__halfffJPKfS2_EEvPKT0_PKT1_PT2_iii15HIP_vector_typeIjLj3EESC_SC_SC_SC_iiiiiiiiiiiDpT3_.has_recursion, 0
	.set _ZL11k_bin_bcastIXadL_ZL6op_mulffEE6__halfffJPKfS2_EEvPKT0_PKT1_PT2_iii15HIP_vector_typeIjLj3EESC_SC_SC_SC_iiiiiiiiiiiDpT3_.has_indirect_call, 0
	.section	.AMDGPU.csdata,"",@progbits
; Kernel info:
; codeLenInByte = 912
; TotalNumSgprs: 41
; NumVgprs: 16
; ScratchSize: 0
; MemoryBound: 0
; FloatMode: 240
; IeeeMode: 1
; LDSByteSize: 0 bytes/workgroup (compile time only)
; SGPRBlocks: 0
; VGPRBlocks: 0
; NumSGPRsForWavesPerEU: 41
; NumVGPRsForWavesPerEU: 16
; NamedBarCnt: 0
; Occupancy: 16
; WaveLimiterHint : 1
; COMPUTE_PGM_RSRC2:SCRATCH_EN: 0
; COMPUTE_PGM_RSRC2:USER_SGPR: 2
; COMPUTE_PGM_RSRC2:TRAP_HANDLER: 0
; COMPUTE_PGM_RSRC2:TGID_X_EN: 1
; COMPUTE_PGM_RSRC2:TGID_Y_EN: 1
; COMPUTE_PGM_RSRC2:TGID_Z_EN: 1
; COMPUTE_PGM_RSRC2:TIDIG_COMP_CNT: 2
	.section	.text._ZL19k_bin_bcast_unravelIXadL_ZL6op_mulffEEfffJPKfS1_S1_EEvPKT0_PKT1_PT2_15HIP_vector_typeIjLj3EESB_SB_jSB_SB_SB_SB_SB_SB_iiiiiiiiiiiDpT3_,"axG",@progbits,_ZL19k_bin_bcast_unravelIXadL_ZL6op_mulffEEfffJPKfS1_S1_EEvPKT0_PKT1_PT2_15HIP_vector_typeIjLj3EESB_SB_jSB_SB_SB_SB_SB_SB_iiiiiiiiiiiDpT3_,comdat
	.globl	_ZL19k_bin_bcast_unravelIXadL_ZL6op_mulffEEfffJPKfS1_S1_EEvPKT0_PKT1_PT2_15HIP_vector_typeIjLj3EESB_SB_jSB_SB_SB_SB_SB_SB_iiiiiiiiiiiDpT3_ ; -- Begin function _ZL19k_bin_bcast_unravelIXadL_ZL6op_mulffEEfffJPKfS1_S1_EEvPKT0_PKT1_PT2_15HIP_vector_typeIjLj3EESB_SB_jSB_SB_SB_SB_SB_SB_iiiiiiiiiiiDpT3_
	.p2align	8
	.type	_ZL19k_bin_bcast_unravelIXadL_ZL6op_mulffEEfffJPKfS1_S1_EEvPKT0_PKT1_PT2_15HIP_vector_typeIjLj3EESB_SB_jSB_SB_SB_SB_SB_SB_iiiiiiiiiiiDpT3_,@function
_ZL19k_bin_bcast_unravelIXadL_ZL6op_mulffEEfffJPKfS1_S1_EEvPKT0_PKT1_PT2_15HIP_vector_typeIjLj3EESB_SB_jSB_SB_SB_SB_SB_SB_iiiiiiiiiiiDpT3_: ; @_ZL19k_bin_bcast_unravelIXadL_ZL6op_mulffEEfffJPKfS1_S1_EEvPKT0_PKT1_PT2_15HIP_vector_typeIjLj3EESB_SB_jSB_SB_SB_SB_SB_SB_iiiiiiiiiiiDpT3_
; %bb.0:
	s_load_b32 s2, s[0:1], 0xdc
	s_bfe_u32 s3, ttmp6, 0x4000c
	s_load_b256 s[4:11], s[0:1], 0x38
	s_add_co_i32 s3, s3, 1
	s_and_b32 s12, ttmp6, 15
	s_mul_i32 s3, ttmp9, s3
	s_getreg_b32 s13, hwreg(HW_REG_IB_STS2, 6, 4)
	s_add_co_i32 s12, s12, s3
	s_wait_kmcnt 0x0
	s_and_b32 s2, s2, 0xffff
	s_cmp_eq_u32 s13, 0
	s_cselect_b32 s3, ttmp9, s12
	s_delay_alu instid0(SALU_CYCLE_1) | instskip(SKIP_1) | instid1(VALU_DEP_1)
	v_mad_u32 v0, s3, s2, v0
	s_load_b32 s2, s[0:1], 0x2c
	v_mul_hi_u32 v1, v0, s6
	s_delay_alu instid0(VALU_DEP_1) | instskip(NEXT) | instid1(VALU_DEP_1)
	v_add_nc_u32_e32 v1, v0, v1
	v_lshrrev_b32_e32 v1, s7, v1
	s_delay_alu instid0(VALU_DEP_1) | instskip(NEXT) | instid1(VALU_DEP_1)
	v_mul_lo_u32 v2, v1, s8
	v_sub_nc_u32_e32 v0, v0, v2
	s_delay_alu instid0(VALU_DEP_1) | instskip(NEXT) | instid1(VALU_DEP_1)
	v_mul_hi_u32 v2, v0, s9
	v_add_nc_u32_e32 v2, v0, v2
	s_delay_alu instid0(VALU_DEP_1) | instskip(SKIP_1) | instid1(VALU_DEP_1)
	v_lshrrev_b32_e32 v2, s10, v2
	s_load_b96 s[8:10], s[0:1], 0x18
	v_mul_lo_u32 v3, v2, s11
	s_delay_alu instid0(VALU_DEP_1) | instskip(SKIP_3) | instid1(VALU_DEP_3)
	v_sub_nc_u32_e32 v0, v0, v3
	v_cmp_gt_u32_e64 s3, s4, v2
	v_cmp_gt_u32_e64 s4, s5, v1
	s_wait_kmcnt 0x0
	v_mul_hi_u32 v3, v0, s8
	s_delay_alu instid0(VALU_DEP_1) | instskip(NEXT) | instid1(VALU_DEP_1)
	v_add_nc_u32_e32 v3, v0, v3
	v_lshrrev_b32_e32 v4, s9, v3
	s_delay_alu instid0(VALU_DEP_1) | instskip(NEXT) | instid1(VALU_DEP_1)
	v_mul_lo_u32 v3, v4, s10
	v_sub_nc_u32_e32 v0, v0, v3
	v_cmp_gt_u32_e64 s2, s2, v4
	s_delay_alu instid0(VALU_DEP_2) | instskip(SKIP_1) | instid1(SALU_CYCLE_1)
	v_cmp_gt_u32_e32 vcc_lo, s10, v0
	s_and_b32 s2, vcc_lo, s2
	s_and_b32 s2, s2, s3
	s_delay_alu instid0(SALU_CYCLE_1) | instskip(NEXT) | instid1(SALU_CYCLE_1)
	s_and_b32 s2, s4, s2
	s_and_saveexec_b32 s3, s2
	s_cbranch_execz .LBB104_4
; %bb.1:
	s_clause 0x4
	s_load_b64 s[2:3], s[0:1], 0x0
	s_load_b96 s[24:26], s[0:1], 0xa8
	s_load_b256 s[4:11], s[0:1], 0x88
	s_load_b128 s[20:23], s[0:1], 0x78
	s_load_b256 s[12:19], s[0:1], 0x58
	v_dual_mov_b32 v3, 0 :: v_dual_mov_b32 v5, 0
	s_wait_kmcnt 0x0
	s_cmp_eq_u64 s[2:3], 0
	s_cbranch_scc1 .LBB104_3
; %bb.2:
	v_mul_lo_u32 v5, v1, s10
	v_mov_b32_e32 v7, 0
	s_delay_alu instid0(VALU_DEP_2) | instskip(NEXT) | instid1(VALU_DEP_1)
	v_mad_u32 v5, v2, s9, v5
	v_mad_u32 v6, v4, s8, v5
	s_delay_alu instid0(VALU_DEP_1) | instskip(SKIP_1) | instid1(VALU_DEP_1)
	v_lshl_add_u64 v[8:9], v[6:7], 2, s[2:3]
	v_mul_lo_u32 v6, v0, s7
	v_lshl_add_u64 v[6:7], v[6:7], 2, v[8:9]
	global_load_b32 v5, v[6:7], off
.LBB104_3:
	s_wait_xcnt 0x0
	v_mul_hi_u32 v6, s21, v1
	v_mul_hi_u32 v7, s18, v2
	;; [unrolled: 1-line block ×4, first 2 shown]
	s_load_b64 s[2:3], s[0:1], 0xc8
	s_delay_alu instid0(VALU_DEP_3) | instskip(NEXT) | instid1(VALU_DEP_1)
	v_dual_add_nc_u32 v6, v1, v6 :: v_dual_add_nc_u32 v7, v2, v7
	v_dual_lshrrev_b32 v6, s22, v6 :: v_dual_lshrrev_b32 v7, s19, v7
	s_delay_alu instid0(VALU_DEP_1) | instskip(SKIP_1) | instid1(VALU_DEP_3)
	v_mul_lo_u32 v6, v6, s23
	v_add_nc_u32_e32 v8, v4, v8
	v_mul_lo_u32 v7, v7, s20
	s_delay_alu instid0(VALU_DEP_3) | instskip(NEXT) | instid1(VALU_DEP_2)
	v_dual_sub_nc_u32 v6, v1, v6 :: v_dual_add_nc_u32 v9, v0, v9
	v_dual_lshrrev_b32 v8, s16, v8 :: v_dual_sub_nc_u32 v7, v2, v7
	v_mul_lo_u32 v1, v1, s6
	s_delay_alu instid0(VALU_DEP_3) | instskip(NEXT) | instid1(VALU_DEP_4)
	v_mul_lo_u32 v6, v6, s26
	v_lshrrev_b32_e32 v9, s13, v9
	s_delay_alu instid0(VALU_DEP_4) | instskip(NEXT) | instid1(VALU_DEP_2)
	v_mul_lo_u32 v8, v8, s17
	v_mul_lo_u32 v9, v9, s14
	v_mad_u32 v1, v2, s5, v1
	v_mad_u32 v7, v7, s25, v6
	s_delay_alu instid0(VALU_DEP_4) | instskip(NEXT) | instid1(VALU_DEP_3)
	v_sub_nc_u32_e32 v8, v4, v8
	v_mad_u32 v2, v4, s4, v1
	s_delay_alu instid0(VALU_DEP_2) | instskip(SKIP_1) | instid1(VALU_DEP_2)
	v_mad_u32 v8, v8, s24, v7
	v_dual_mov_b32 v1, v3 :: v_dual_sub_nc_u32 v6, v0, v9
	v_ashrrev_i32_e32 v9, 31, v8
	s_delay_alu instid0(VALU_DEP_2) | instskip(SKIP_1) | instid1(VALU_DEP_1)
	v_mul_lo_u32 v6, v6, s11
	s_load_b128 s[8:11], s[0:1], 0xb8
	v_ashrrev_i32_e32 v7, 31, v6
	s_wait_xcnt 0x0
	s_load_b64 s[0:1], s[0:1], 0x10
	s_delay_alu instid0(VALU_DEP_1) | instskip(NEXT) | instid1(VALU_DEP_1)
	v_add_nc_u64_e32 v[6:7], v[6:7], v[8:9]
	v_lshlrev_b64_e32 v[6:7], 2, v[6:7]
	s_wait_kmcnt 0x0
	s_delay_alu instid0(VALU_DEP_1)
	v_add_nc_u64_e32 v[8:9], s[8:9], v[6:7]
	v_add_nc_u64_e32 v[10:11], s[10:11], v[6:7]
	;; [unrolled: 1-line block ×3, first 2 shown]
	v_lshl_add_u64 v[2:3], v[2:3], 2, s[0:1]
	global_load_b32 v8, v[8:9], off
	global_load_b32 v9, v[10:11], off
	;; [unrolled: 1-line block ×3, first 2 shown]
	v_lshl_add_u64 v[0:1], v[0:1], 2, v[2:3]
	s_wait_loadcnt 0x2
	v_mul_f32_e32 v4, v5, v8
	s_wait_loadcnt 0x1
	s_delay_alu instid0(VALU_DEP_1) | instskip(SKIP_1) | instid1(VALU_DEP_1)
	v_mul_f32_e32 v4, v4, v9
	s_wait_loadcnt 0x0
	v_mul_f32_e32 v4, v4, v12
	global_store_b32 v[0:1], v4, off
.LBB104_4:
	s_endpgm
	.section	.rodata,"a",@progbits
	.p2align	6, 0x0
	.amdhsa_kernel _ZL19k_bin_bcast_unravelIXadL_ZL6op_mulffEEfffJPKfS1_S1_EEvPKT0_PKT1_PT2_15HIP_vector_typeIjLj3EESB_SB_jSB_SB_SB_SB_SB_SB_iiiiiiiiiiiDpT3_
		.amdhsa_group_segment_fixed_size 0
		.amdhsa_private_segment_fixed_size 0
		.amdhsa_kernarg_size 464
		.amdhsa_user_sgpr_count 2
		.amdhsa_user_sgpr_dispatch_ptr 0
		.amdhsa_user_sgpr_queue_ptr 0
		.amdhsa_user_sgpr_kernarg_segment_ptr 1
		.amdhsa_user_sgpr_dispatch_id 0
		.amdhsa_user_sgpr_kernarg_preload_length 0
		.amdhsa_user_sgpr_kernarg_preload_offset 0
		.amdhsa_user_sgpr_private_segment_size 0
		.amdhsa_wavefront_size32 1
		.amdhsa_uses_dynamic_stack 0
		.amdhsa_enable_private_segment 0
		.amdhsa_system_sgpr_workgroup_id_x 1
		.amdhsa_system_sgpr_workgroup_id_y 0
		.amdhsa_system_sgpr_workgroup_id_z 0
		.amdhsa_system_sgpr_workgroup_info 0
		.amdhsa_system_vgpr_workitem_id 0
		.amdhsa_next_free_vgpr 13
		.amdhsa_next_free_sgpr 27
		.amdhsa_named_barrier_count 0
		.amdhsa_reserve_vcc 1
		.amdhsa_float_round_mode_32 0
		.amdhsa_float_round_mode_16_64 0
		.amdhsa_float_denorm_mode_32 3
		.amdhsa_float_denorm_mode_16_64 3
		.amdhsa_fp16_overflow 0
		.amdhsa_memory_ordered 1
		.amdhsa_forward_progress 1
		.amdhsa_inst_pref_size 7
		.amdhsa_round_robin_scheduling 0
		.amdhsa_exception_fp_ieee_invalid_op 0
		.amdhsa_exception_fp_denorm_src 0
		.amdhsa_exception_fp_ieee_div_zero 0
		.amdhsa_exception_fp_ieee_overflow 0
		.amdhsa_exception_fp_ieee_underflow 0
		.amdhsa_exception_fp_ieee_inexact 0
		.amdhsa_exception_int_div_zero 0
	.end_amdhsa_kernel
	.section	.text._ZL19k_bin_bcast_unravelIXadL_ZL6op_mulffEEfffJPKfS1_S1_EEvPKT0_PKT1_PT2_15HIP_vector_typeIjLj3EESB_SB_jSB_SB_SB_SB_SB_SB_iiiiiiiiiiiDpT3_,"axG",@progbits,_ZL19k_bin_bcast_unravelIXadL_ZL6op_mulffEEfffJPKfS1_S1_EEvPKT0_PKT1_PT2_15HIP_vector_typeIjLj3EESB_SB_jSB_SB_SB_SB_SB_SB_iiiiiiiiiiiDpT3_,comdat
.Lfunc_end104:
	.size	_ZL19k_bin_bcast_unravelIXadL_ZL6op_mulffEEfffJPKfS1_S1_EEvPKT0_PKT1_PT2_15HIP_vector_typeIjLj3EESB_SB_jSB_SB_SB_SB_SB_SB_iiiiiiiiiiiDpT3_, .Lfunc_end104-_ZL19k_bin_bcast_unravelIXadL_ZL6op_mulffEEfffJPKfS1_S1_EEvPKT0_PKT1_PT2_15HIP_vector_typeIjLj3EESB_SB_jSB_SB_SB_SB_SB_SB_iiiiiiiiiiiDpT3_
                                        ; -- End function
	.set _ZL19k_bin_bcast_unravelIXadL_ZL6op_mulffEEfffJPKfS1_S1_EEvPKT0_PKT1_PT2_15HIP_vector_typeIjLj3EESB_SB_jSB_SB_SB_SB_SB_SB_iiiiiiiiiiiDpT3_.num_vgpr, 13
	.set _ZL19k_bin_bcast_unravelIXadL_ZL6op_mulffEEfffJPKfS1_S1_EEvPKT0_PKT1_PT2_15HIP_vector_typeIjLj3EESB_SB_jSB_SB_SB_SB_SB_SB_iiiiiiiiiiiDpT3_.num_agpr, 0
	.set _ZL19k_bin_bcast_unravelIXadL_ZL6op_mulffEEfffJPKfS1_S1_EEvPKT0_PKT1_PT2_15HIP_vector_typeIjLj3EESB_SB_jSB_SB_SB_SB_SB_SB_iiiiiiiiiiiDpT3_.numbered_sgpr, 27
	.set _ZL19k_bin_bcast_unravelIXadL_ZL6op_mulffEEfffJPKfS1_S1_EEvPKT0_PKT1_PT2_15HIP_vector_typeIjLj3EESB_SB_jSB_SB_SB_SB_SB_SB_iiiiiiiiiiiDpT3_.num_named_barrier, 0
	.set _ZL19k_bin_bcast_unravelIXadL_ZL6op_mulffEEfffJPKfS1_S1_EEvPKT0_PKT1_PT2_15HIP_vector_typeIjLj3EESB_SB_jSB_SB_SB_SB_SB_SB_iiiiiiiiiiiDpT3_.private_seg_size, 0
	.set _ZL19k_bin_bcast_unravelIXadL_ZL6op_mulffEEfffJPKfS1_S1_EEvPKT0_PKT1_PT2_15HIP_vector_typeIjLj3EESB_SB_jSB_SB_SB_SB_SB_SB_iiiiiiiiiiiDpT3_.uses_vcc, 1
	.set _ZL19k_bin_bcast_unravelIXadL_ZL6op_mulffEEfffJPKfS1_S1_EEvPKT0_PKT1_PT2_15HIP_vector_typeIjLj3EESB_SB_jSB_SB_SB_SB_SB_SB_iiiiiiiiiiiDpT3_.uses_flat_scratch, 0
	.set _ZL19k_bin_bcast_unravelIXadL_ZL6op_mulffEEfffJPKfS1_S1_EEvPKT0_PKT1_PT2_15HIP_vector_typeIjLj3EESB_SB_jSB_SB_SB_SB_SB_SB_iiiiiiiiiiiDpT3_.has_dyn_sized_stack, 0
	.set _ZL19k_bin_bcast_unravelIXadL_ZL6op_mulffEEfffJPKfS1_S1_EEvPKT0_PKT1_PT2_15HIP_vector_typeIjLj3EESB_SB_jSB_SB_SB_SB_SB_SB_iiiiiiiiiiiDpT3_.has_recursion, 0
	.set _ZL19k_bin_bcast_unravelIXadL_ZL6op_mulffEEfffJPKfS1_S1_EEvPKT0_PKT1_PT2_15HIP_vector_typeIjLj3EESB_SB_jSB_SB_SB_SB_SB_SB_iiiiiiiiiiiDpT3_.has_indirect_call, 0
	.section	.AMDGPU.csdata,"",@progbits
; Kernel info:
; codeLenInByte = 792
; TotalNumSgprs: 29
; NumVgprs: 13
; ScratchSize: 0
; MemoryBound: 0
; FloatMode: 240
; IeeeMode: 1
; LDSByteSize: 0 bytes/workgroup (compile time only)
; SGPRBlocks: 0
; VGPRBlocks: 0
; NumSGPRsForWavesPerEU: 29
; NumVGPRsForWavesPerEU: 13
; NamedBarCnt: 0
; Occupancy: 16
; WaveLimiterHint : 1
; COMPUTE_PGM_RSRC2:SCRATCH_EN: 0
; COMPUTE_PGM_RSRC2:USER_SGPR: 2
; COMPUTE_PGM_RSRC2:TRAP_HANDLER: 0
; COMPUTE_PGM_RSRC2:TGID_X_EN: 1
; COMPUTE_PGM_RSRC2:TGID_Y_EN: 0
; COMPUTE_PGM_RSRC2:TGID_Z_EN: 0
; COMPUTE_PGM_RSRC2:TIDIG_COMP_CNT: 0
	.section	.text._ZL11k_bin_bcastIXadL_ZL6op_mulffEEfffJPKfS1_S1_EEvPKT0_PKT1_PT2_iii15HIP_vector_typeIjLj3EESB_SB_SB_SB_iiiiiiiiiiiDpT3_,"axG",@progbits,_ZL11k_bin_bcastIXadL_ZL6op_mulffEEfffJPKfS1_S1_EEvPKT0_PKT1_PT2_iii15HIP_vector_typeIjLj3EESB_SB_SB_SB_iiiiiiiiiiiDpT3_,comdat
	.globl	_ZL11k_bin_bcastIXadL_ZL6op_mulffEEfffJPKfS1_S1_EEvPKT0_PKT1_PT2_iii15HIP_vector_typeIjLj3EESB_SB_SB_SB_iiiiiiiiiiiDpT3_ ; -- Begin function _ZL11k_bin_bcastIXadL_ZL6op_mulffEEfffJPKfS1_S1_EEvPKT0_PKT1_PT2_iii15HIP_vector_typeIjLj3EESB_SB_SB_SB_iiiiiiiiiiiDpT3_
	.p2align	8
	.type	_ZL11k_bin_bcastIXadL_ZL6op_mulffEEfffJPKfS1_S1_EEvPKT0_PKT1_PT2_iii15HIP_vector_typeIjLj3EESB_SB_SB_SB_iiiiiiiiiiiDpT3_,@function
_ZL11k_bin_bcastIXadL_ZL6op_mulffEEfffJPKfS1_S1_EEvPKT0_PKT1_PT2_iii15HIP_vector_typeIjLj3EESB_SB_SB_SB_iiiiiiiiiiiDpT3_: ; @_ZL11k_bin_bcastIXadL_ZL6op_mulffEEfffJPKfS1_S1_EEvPKT0_PKT1_PT2_iii15HIP_vector_typeIjLj3EESB_SB_SB_SB_iiiiiiiiiiiDpT3_
; %bb.0:
	s_load_b64 s[2:3], s[0:1], 0xb4
	s_bfe_u32 s5, ttmp6, 0x40014
	s_bfe_u32 s16, ttmp6, 0x40010
	;; [unrolled: 1-line block ×3, first 2 shown]
	s_lshr_b32 s4, ttmp7, 16
	s_add_co_i32 s5, s5, 1
	s_and_b32 s7, ttmp7, 0xffff
	s_load_b256 s[8:15], s[0:1], 0x18
	s_add_co_i32 s16, s16, 1
	s_add_co_i32 s19, s19, 1
	s_bfe_u32 s6, ttmp6, 0x40008
	s_mul_i32 s5, s4, s5
	s_bfe_u32 s17, ttmp6, 0x40004
	s_and_b32 s18, ttmp6, 15
	s_mul_i32 s16, s7, s16
	s_mul_i32 s19, ttmp9, s19
	s_add_co_i32 s6, s6, s5
	s_add_co_i32 s17, s17, s16
	;; [unrolled: 1-line block ×3, first 2 shown]
	v_bfe_u32 v1, v0, 20, 10
	s_wait_kmcnt 0x0
	s_lshr_b32 s5, s2, 16
	s_and_b32 s33, s2, 0xffff
	s_getreg_b32 s2, hwreg(HW_REG_IB_STS2, 6, 4)
	s_and_b32 s3, s3, 0xffff
	s_cmp_eq_u32 s2, 0
	v_and_b32_e32 v2, 0x3ff, v0
	s_cselect_b32 s2, s4, s6
	v_bfe_u32 v4, v0, 10, 10
	v_mad_u32 v3, s2, s3, v1
	s_cselect_b32 s2, ttmp9, s18
	s_cselect_b32 s3, s7, s17
	v_mad_u32 v0, s2, s33, v2
	v_mad_u32 v2, s3, s5, v4
	s_delay_alu instid0(VALU_DEP_3) | instskip(NEXT) | instid1(VALU_DEP_3)
	v_mul_hi_u32 v1, v3, s11
	v_cmp_gt_u32_e32 vcc_lo, s8, v0
	s_delay_alu instid0(VALU_DEP_3) | instskip(SKIP_2) | instid1(VALU_DEP_1)
	v_cmp_gt_u32_e64 s2, s9, v2
	s_and_b32 s2, vcc_lo, s2
	v_add_nc_u32_e32 v1, v3, v1
	v_lshrrev_b32_e32 v1, s12, v1
	s_delay_alu instid0(VALU_DEP_1) | instskip(SKIP_3) | instid1(VALU_DEP_1)
	v_mul_lo_u32 v5, v1, s13
	v_cmp_gt_u32_e64 s3, s10, v1
	s_and_b32 s2, s2, s3
	v_sub_nc_u32_e32 v3, v3, v5
	v_cmp_gt_u32_e64 s4, s13, v3
	s_and_b32 s2, s2, s4
	s_delay_alu instid0(SALU_CYCLE_1)
	s_and_saveexec_b32 s3, s2
	s_cbranch_execz .LBB105_6
; %bb.1:
	v_cmp_gt_i32_e32 vcc_lo, s8, v0
	s_and_b32 exec_lo, exec_lo, vcc_lo
	s_cbranch_execz .LBB105_6
; %bb.2:
	s_clause 0x6
	s_load_b256 s[24:31], s[0:1], 0x3c
	s_load_b32 s2, s[0:1], 0x5c
	s_load_b256 s[16:23], s[0:1], 0x60
	s_load_b96 s[36:38], s[0:1], 0x80
	s_load_b128 s[4:7], s[0:1], 0x90
	s_load_b64 s[10:11], s[0:1], 0x0
	s_load_b64 s[12:13], s[0:1], 0x10
	s_wait_kmcnt 0x0
	v_mul_hi_u32 v4, s30, v3
	v_mul_hi_u32 v5, s27, v1
	;; [unrolled: 1-line block ×3, first 2 shown]
	v_mul_lo_u32 v7, v2, s20
	v_mul_lo_u32 v8, v2, s16
	s_cmp_lg_u64 s[10:11], 0
	s_delay_alu instid0(VALU_DEP_4) | instskip(NEXT) | instid1(VALU_DEP_3)
	v_dual_add_nc_u32 v4, v3, v4 :: v_dual_add_nc_u32 v5, v1, v5
	v_mad_u32 v7, v1, s21, v7
	s_delay_alu instid0(VALU_DEP_3) | instskip(NEXT) | instid1(VALU_DEP_3)
	v_mad_u32 v8, v1, s17, v8
	v_dual_lshrrev_b32 v4, s31, v4 :: v_dual_lshrrev_b32 v5, s28, v5
	s_delay_alu instid0(VALU_DEP_1) | instskip(SKIP_1) | instid1(VALU_DEP_3)
	v_mul_lo_u32 v4, v4, s2
	v_add_nc_u32_e32 v6, v2, v6
	v_mul_lo_u32 v5, v5, s29
	s_add_nc_u64 s[2:3], s[0:1], 0xa8
	s_load_b32 s9, s[2:3], 0x0
	s_load_b32 s16, s[0:1], 0x38
	s_wait_xcnt 0x0
	s_load_b64 s[0:1], s[0:1], 0xa0
	v_mad_u32 v8, v3, s18, v8
	s_mov_b32 s3, 0
	s_mov_b32 s2, s14
	v_dual_sub_nc_u32 v4, v3, v4 :: v_dual_lshrrev_b32 v6, s25, v6
	s_delay_alu instid0(VALU_DEP_3) | instskip(NEXT) | instid1(VALU_DEP_2)
	v_sub_nc_u32_e32 v5, v1, v5
	v_mul_lo_u32 v9, v4, s38
	s_delay_alu instid0(VALU_DEP_3) | instskip(SKIP_4) | instid1(VALU_DEP_4)
	v_mul_lo_u32 v6, v6, s26
	v_mad_u32 v4, v3, s22, v7
	v_mov_b32_e32 v1, 0
	s_wait_kmcnt 0x0
	s_mul_i32 s9, s9, s33
	v_mad_u32 v7, v5, s37, v9
	s_delay_alu instid0(VALU_DEP_4) | instskip(SKIP_3) | instid1(VALU_DEP_2)
	v_sub_nc_u32_e32 v2, v2, v6
	v_mul_lo_u32 v6, s19, v0
	v_dual_mov_b32 v5, v1 :: v_dual_mov_b32 v9, v1
	v_mov_b32_e32 v3, v1
	v_lshl_add_u64 v[4:5], v[4:5], 2, s[10:11]
	s_delay_alu instid0(VALU_DEP_3)
	v_lshl_add_u64 v[8:9], v[8:9], 2, s[12:13]
	s_cselect_b32 s10, -1, 0
	v_mad_u32 v2, v2, s36, v7
	s_mul_i32 s11, s9, s19
	s_sub_co_i32 s12, 0, s16
	s_mov_b32 s13, s3
	s_branch .LBB105_4
.LBB105_3:                              ;   in Loop: Header=BB105_4 Depth=1
	s_wait_xcnt 0x0
	v_mul_u64_e32 v[10:11], s[2:3], v[0:1]
	s_delay_alu instid0(VALU_DEP_1) | instskip(NEXT) | instid1(VALU_DEP_1)
	v_dual_add_nc_u32 v6, s11, v6 :: v_dual_add_nc_u32 v10, v0, v11
	v_dual_mov_b32 v11, v1 :: v_dual_lshrrev_b32 v10, s15, v10
	s_delay_alu instid0(VALU_DEP_1) | instskip(NEXT) | instid1(VALU_DEP_1)
	v_mad_u32 v10, s12, v10, v0
	v_mul_lo_u32 v10, v10, s23
	s_delay_alu instid0(VALU_DEP_1) | instskip(NEXT) | instid1(VALU_DEP_1)
	v_add_nc_u64_e32 v[10:11], v[10:11], v[2:3]
	v_lshlrev_b64_e32 v[10:11], 2, v[10:11]
	s_delay_alu instid0(VALU_DEP_1)
	v_add_nc_u64_e32 v[12:13], s[4:5], v[10:11]
	v_add_nc_u64_e32 v[14:15], s[6:7], v[10:11]
	;; [unrolled: 1-line block ×3, first 2 shown]
	global_load_b32 v12, v[12:13], off
	global_load_b32 v13, v[14:15], off
	global_load_b32 v16, v[10:11], off
	s_wait_xcnt 0x0
	v_dual_mov_b32 v10, v0 :: v_dual_ashrrev_i32 v11, 31, v0
	s_delay_alu instid0(VALU_DEP_1) | instskip(SKIP_3) | instid1(VALU_DEP_1)
	v_lshl_add_u64 v[10:11], v[10:11], 2, v[8:9]
	s_wait_loadcnt 0x2
	v_mul_f32_e32 v7, v7, v12
	s_wait_loadcnt 0x1
	v_dual_mul_f32 v7, v7, v13 :: v_dual_add_nc_u32 v0, s9, v0
	s_delay_alu instid0(VALU_DEP_1) | instskip(SKIP_1) | instid1(VALU_DEP_2)
	v_cmp_le_i32_e32 vcc_lo, s8, v0
	s_wait_loadcnt 0x0
	v_mul_f32_e32 v7, v7, v16
	s_or_b32 s13, vcc_lo, s13
	global_store_b32 v[10:11], v7, off
	s_wait_xcnt 0x0
	s_and_not1_b32 exec_lo, exec_lo, s13
	s_cbranch_execz .LBB105_6
.LBB105_4:                              ; =>This Inner Loop Header: Depth=1
	v_mov_b32_e32 v7, 0
	s_and_not1_b32 vcc_lo, exec_lo, s10
	s_cbranch_vccnz .LBB105_3
; %bb.5:                                ;   in Loop: Header=BB105_4 Depth=1
	v_ashrrev_i32_e32 v7, 31, v6
	s_delay_alu instid0(VALU_DEP_1)
	v_lshl_add_u64 v[10:11], v[6:7], 2, v[4:5]
	global_load_b32 v7, v[10:11], off
	s_branch .LBB105_3
.LBB105_6:
	s_endpgm
	.section	.rodata,"a",@progbits
	.p2align	6, 0x0
	.amdhsa_kernel _ZL11k_bin_bcastIXadL_ZL6op_mulffEEfffJPKfS1_S1_EEvPKT0_PKT1_PT2_iii15HIP_vector_typeIjLj3EESB_SB_SB_SB_iiiiiiiiiiiDpT3_
		.amdhsa_group_segment_fixed_size 0
		.amdhsa_private_segment_fixed_size 0
		.amdhsa_kernarg_size 424
		.amdhsa_user_sgpr_count 2
		.amdhsa_user_sgpr_dispatch_ptr 0
		.amdhsa_user_sgpr_queue_ptr 0
		.amdhsa_user_sgpr_kernarg_segment_ptr 1
		.amdhsa_user_sgpr_dispatch_id 0
		.amdhsa_user_sgpr_kernarg_preload_length 0
		.amdhsa_user_sgpr_kernarg_preload_offset 0
		.amdhsa_user_sgpr_private_segment_size 0
		.amdhsa_wavefront_size32 1
		.amdhsa_uses_dynamic_stack 0
		.amdhsa_enable_private_segment 0
		.amdhsa_system_sgpr_workgroup_id_x 1
		.amdhsa_system_sgpr_workgroup_id_y 1
		.amdhsa_system_sgpr_workgroup_id_z 1
		.amdhsa_system_sgpr_workgroup_info 0
		.amdhsa_system_vgpr_workitem_id 2
		.amdhsa_next_free_vgpr 17
		.amdhsa_next_free_sgpr 39
		.amdhsa_named_barrier_count 0
		.amdhsa_reserve_vcc 1
		.amdhsa_float_round_mode_32 0
		.amdhsa_float_round_mode_16_64 0
		.amdhsa_float_denorm_mode_32 3
		.amdhsa_float_denorm_mode_16_64 3
		.amdhsa_fp16_overflow 0
		.amdhsa_memory_ordered 1
		.amdhsa_forward_progress 1
		.amdhsa_inst_pref_size 8
		.amdhsa_round_robin_scheduling 0
		.amdhsa_exception_fp_ieee_invalid_op 0
		.amdhsa_exception_fp_denorm_src 0
		.amdhsa_exception_fp_ieee_div_zero 0
		.amdhsa_exception_fp_ieee_overflow 0
		.amdhsa_exception_fp_ieee_underflow 0
		.amdhsa_exception_fp_ieee_inexact 0
		.amdhsa_exception_int_div_zero 0
	.end_amdhsa_kernel
	.section	.text._ZL11k_bin_bcastIXadL_ZL6op_mulffEEfffJPKfS1_S1_EEvPKT0_PKT1_PT2_iii15HIP_vector_typeIjLj3EESB_SB_SB_SB_iiiiiiiiiiiDpT3_,"axG",@progbits,_ZL11k_bin_bcastIXadL_ZL6op_mulffEEfffJPKfS1_S1_EEvPKT0_PKT1_PT2_iii15HIP_vector_typeIjLj3EESB_SB_SB_SB_iiiiiiiiiiiDpT3_,comdat
.Lfunc_end105:
	.size	_ZL11k_bin_bcastIXadL_ZL6op_mulffEEfffJPKfS1_S1_EEvPKT0_PKT1_PT2_iii15HIP_vector_typeIjLj3EESB_SB_SB_SB_iiiiiiiiiiiDpT3_, .Lfunc_end105-_ZL11k_bin_bcastIXadL_ZL6op_mulffEEfffJPKfS1_S1_EEvPKT0_PKT1_PT2_iii15HIP_vector_typeIjLj3EESB_SB_SB_SB_iiiiiiiiiiiDpT3_
                                        ; -- End function
	.set _ZL11k_bin_bcastIXadL_ZL6op_mulffEEfffJPKfS1_S1_EEvPKT0_PKT1_PT2_iii15HIP_vector_typeIjLj3EESB_SB_SB_SB_iiiiiiiiiiiDpT3_.num_vgpr, 17
	.set _ZL11k_bin_bcastIXadL_ZL6op_mulffEEfffJPKfS1_S1_EEvPKT0_PKT1_PT2_iii15HIP_vector_typeIjLj3EESB_SB_SB_SB_iiiiiiiiiiiDpT3_.num_agpr, 0
	.set _ZL11k_bin_bcastIXadL_ZL6op_mulffEEfffJPKfS1_S1_EEvPKT0_PKT1_PT2_iii15HIP_vector_typeIjLj3EESB_SB_SB_SB_iiiiiiiiiiiDpT3_.numbered_sgpr, 39
	.set _ZL11k_bin_bcastIXadL_ZL6op_mulffEEfffJPKfS1_S1_EEvPKT0_PKT1_PT2_iii15HIP_vector_typeIjLj3EESB_SB_SB_SB_iiiiiiiiiiiDpT3_.num_named_barrier, 0
	.set _ZL11k_bin_bcastIXadL_ZL6op_mulffEEfffJPKfS1_S1_EEvPKT0_PKT1_PT2_iii15HIP_vector_typeIjLj3EESB_SB_SB_SB_iiiiiiiiiiiDpT3_.private_seg_size, 0
	.set _ZL11k_bin_bcastIXadL_ZL6op_mulffEEfffJPKfS1_S1_EEvPKT0_PKT1_PT2_iii15HIP_vector_typeIjLj3EESB_SB_SB_SB_iiiiiiiiiiiDpT3_.uses_vcc, 1
	.set _ZL11k_bin_bcastIXadL_ZL6op_mulffEEfffJPKfS1_S1_EEvPKT0_PKT1_PT2_iii15HIP_vector_typeIjLj3EESB_SB_SB_SB_iiiiiiiiiiiDpT3_.uses_flat_scratch, 0
	.set _ZL11k_bin_bcastIXadL_ZL6op_mulffEEfffJPKfS1_S1_EEvPKT0_PKT1_PT2_iii15HIP_vector_typeIjLj3EESB_SB_SB_SB_iiiiiiiiiiiDpT3_.has_dyn_sized_stack, 0
	.set _ZL11k_bin_bcastIXadL_ZL6op_mulffEEfffJPKfS1_S1_EEvPKT0_PKT1_PT2_iii15HIP_vector_typeIjLj3EESB_SB_SB_SB_iiiiiiiiiiiDpT3_.has_recursion, 0
	.set _ZL11k_bin_bcastIXadL_ZL6op_mulffEEfffJPKfS1_S1_EEvPKT0_PKT1_PT2_iii15HIP_vector_typeIjLj3EESB_SB_SB_SB_iiiiiiiiiiiDpT3_.has_indirect_call, 0
	.section	.AMDGPU.csdata,"",@progbits
; Kernel info:
; codeLenInByte = 936
; TotalNumSgprs: 41
; NumVgprs: 17
; ScratchSize: 0
; MemoryBound: 0
; FloatMode: 240
; IeeeMode: 1
; LDSByteSize: 0 bytes/workgroup (compile time only)
; SGPRBlocks: 0
; VGPRBlocks: 1
; NumSGPRsForWavesPerEU: 41
; NumVGPRsForWavesPerEU: 17
; NamedBarCnt: 0
; Occupancy: 16
; WaveLimiterHint : 1
; COMPUTE_PGM_RSRC2:SCRATCH_EN: 0
; COMPUTE_PGM_RSRC2:USER_SGPR: 2
; COMPUTE_PGM_RSRC2:TRAP_HANDLER: 0
; COMPUTE_PGM_RSRC2:TGID_X_EN: 1
; COMPUTE_PGM_RSRC2:TGID_Y_EN: 1
; COMPUTE_PGM_RSRC2:TGID_Z_EN: 1
; COMPUTE_PGM_RSRC2:TIDIG_COMP_CNT: 2
	.section	.text._ZL19k_bin_bcast_unravelIXadL_ZL6op_mulffEE6__halfS0_S0_JPKS0_S2_S2_EEvPKT0_PKT1_PT2_15HIP_vector_typeIjLj3EESC_SC_jSC_SC_SC_SC_SC_SC_iiiiiiiiiiiDpT3_,"axG",@progbits,_ZL19k_bin_bcast_unravelIXadL_ZL6op_mulffEE6__halfS0_S0_JPKS0_S2_S2_EEvPKT0_PKT1_PT2_15HIP_vector_typeIjLj3EESC_SC_jSC_SC_SC_SC_SC_SC_iiiiiiiiiiiDpT3_,comdat
	.globl	_ZL19k_bin_bcast_unravelIXadL_ZL6op_mulffEE6__halfS0_S0_JPKS0_S2_S2_EEvPKT0_PKT1_PT2_15HIP_vector_typeIjLj3EESC_SC_jSC_SC_SC_SC_SC_SC_iiiiiiiiiiiDpT3_ ; -- Begin function _ZL19k_bin_bcast_unravelIXadL_ZL6op_mulffEE6__halfS0_S0_JPKS0_S2_S2_EEvPKT0_PKT1_PT2_15HIP_vector_typeIjLj3EESC_SC_jSC_SC_SC_SC_SC_SC_iiiiiiiiiiiDpT3_
	.p2align	8
	.type	_ZL19k_bin_bcast_unravelIXadL_ZL6op_mulffEE6__halfS0_S0_JPKS0_S2_S2_EEvPKT0_PKT1_PT2_15HIP_vector_typeIjLj3EESC_SC_jSC_SC_SC_SC_SC_SC_iiiiiiiiiiiDpT3_,@function
_ZL19k_bin_bcast_unravelIXadL_ZL6op_mulffEE6__halfS0_S0_JPKS0_S2_S2_EEvPKT0_PKT1_PT2_15HIP_vector_typeIjLj3EESC_SC_jSC_SC_SC_SC_SC_SC_iiiiiiiiiiiDpT3_: ; @_ZL19k_bin_bcast_unravelIXadL_ZL6op_mulffEE6__halfS0_S0_JPKS0_S2_S2_EEvPKT0_PKT1_PT2_15HIP_vector_typeIjLj3EESC_SC_jSC_SC_SC_SC_SC_SC_iiiiiiiiiiiDpT3_
; %bb.0:
	s_load_b32 s2, s[0:1], 0xdc
	s_bfe_u32 s3, ttmp6, 0x4000c
	s_load_b256 s[4:11], s[0:1], 0x38
	s_add_co_i32 s3, s3, 1
	s_and_b32 s12, ttmp6, 15
	s_mul_i32 s3, ttmp9, s3
	s_getreg_b32 s13, hwreg(HW_REG_IB_STS2, 6, 4)
	s_add_co_i32 s12, s12, s3
	s_wait_kmcnt 0x0
	s_and_b32 s2, s2, 0xffff
	s_cmp_eq_u32 s13, 0
	s_cselect_b32 s3, ttmp9, s12
	s_delay_alu instid0(SALU_CYCLE_1) | instskip(SKIP_1) | instid1(VALU_DEP_1)
	v_mad_u32 v0, s3, s2, v0
	s_load_b32 s2, s[0:1], 0x2c
	v_mul_hi_u32 v1, v0, s6
	s_delay_alu instid0(VALU_DEP_1) | instskip(NEXT) | instid1(VALU_DEP_1)
	v_add_nc_u32_e32 v1, v0, v1
	v_lshrrev_b32_e32 v1, s7, v1
	s_delay_alu instid0(VALU_DEP_1) | instskip(NEXT) | instid1(VALU_DEP_1)
	v_mul_lo_u32 v2, v1, s8
	v_sub_nc_u32_e32 v0, v0, v2
	s_delay_alu instid0(VALU_DEP_1) | instskip(NEXT) | instid1(VALU_DEP_1)
	v_mul_hi_u32 v2, v0, s9
	v_add_nc_u32_e32 v2, v0, v2
	s_delay_alu instid0(VALU_DEP_1) | instskip(SKIP_1) | instid1(VALU_DEP_1)
	v_lshrrev_b32_e32 v2, s10, v2
	s_load_b96 s[8:10], s[0:1], 0x18
	v_mul_lo_u32 v3, v2, s11
	s_delay_alu instid0(VALU_DEP_1) | instskip(SKIP_3) | instid1(VALU_DEP_3)
	v_sub_nc_u32_e32 v0, v0, v3
	v_cmp_gt_u32_e64 s3, s4, v2
	v_cmp_gt_u32_e64 s4, s5, v1
	s_wait_kmcnt 0x0
	v_mul_hi_u32 v3, v0, s8
	s_delay_alu instid0(VALU_DEP_1) | instskip(NEXT) | instid1(VALU_DEP_1)
	v_add_nc_u32_e32 v3, v0, v3
	v_lshrrev_b32_e32 v4, s9, v3
	s_delay_alu instid0(VALU_DEP_1) | instskip(NEXT) | instid1(VALU_DEP_1)
	v_mul_lo_u32 v3, v4, s10
	v_sub_nc_u32_e32 v0, v0, v3
	v_cmp_gt_u32_e64 s2, s2, v4
	s_delay_alu instid0(VALU_DEP_2) | instskip(SKIP_1) | instid1(SALU_CYCLE_1)
	v_cmp_gt_u32_e32 vcc_lo, s10, v0
	s_and_b32 s2, vcc_lo, s2
	s_and_b32 s2, s2, s3
	s_delay_alu instid0(SALU_CYCLE_1) | instskip(NEXT) | instid1(SALU_CYCLE_1)
	s_and_b32 s2, s4, s2
	s_and_saveexec_b32 s3, s2
	s_cbranch_execz .LBB106_4
; %bb.1:
	s_clause 0x4
	s_load_b64 s[2:3], s[0:1], 0x0
	s_load_b96 s[24:26], s[0:1], 0xa8
	s_load_b256 s[4:11], s[0:1], 0x88
	s_load_b128 s[20:23], s[0:1], 0x78
	s_load_b256 s[12:19], s[0:1], 0x58
	v_dual_mov_b32 v3, 0 :: v_dual_mov_b32 v5, 0
	s_wait_kmcnt 0x0
	s_cmp_eq_u64 s[2:3], 0
	s_cbranch_scc1 .LBB106_3
; %bb.2:
	v_mul_lo_u32 v5, v1, s10
	v_mov_b32_e32 v7, 0
	s_delay_alu instid0(VALU_DEP_2) | instskip(NEXT) | instid1(VALU_DEP_1)
	v_mad_u32 v5, v2, s9, v5
	v_mad_u32 v6, v4, s8, v5
	s_delay_alu instid0(VALU_DEP_1) | instskip(SKIP_1) | instid1(VALU_DEP_1)
	v_lshl_add_u64 v[8:9], v[6:7], 1, s[2:3]
	v_mul_lo_u32 v6, v0, s7
	v_lshl_add_u64 v[6:7], v[6:7], 1, v[8:9]
	global_load_u16 v5, v[6:7], off
	s_wait_loadcnt 0x0
	v_cvt_f32_f16_e32 v5, v5
.LBB106_3:
	v_mul_hi_u32 v6, s21, v1
	v_mul_hi_u32 v7, s18, v2
	;; [unrolled: 1-line block ×4, first 2 shown]
	s_load_b64 s[2:3], s[0:1], 0xc8
	s_delay_alu instid0(VALU_DEP_3) | instskip(NEXT) | instid1(VALU_DEP_1)
	v_dual_add_nc_u32 v6, v1, v6 :: v_dual_add_nc_u32 v7, v2, v7
	v_dual_lshrrev_b32 v6, s22, v6 :: v_dual_lshrrev_b32 v7, s19, v7
	s_delay_alu instid0(VALU_DEP_1) | instskip(SKIP_1) | instid1(VALU_DEP_3)
	v_mul_lo_u32 v6, v6, s23
	v_add_nc_u32_e32 v8, v4, v8
	v_mul_lo_u32 v7, v7, s20
	s_delay_alu instid0(VALU_DEP_3) | instskip(NEXT) | instid1(VALU_DEP_2)
	v_dual_sub_nc_u32 v6, v1, v6 :: v_dual_add_nc_u32 v9, v0, v9
	v_dual_lshrrev_b32 v8, s16, v8 :: v_dual_sub_nc_u32 v7, v2, v7
	v_mul_lo_u32 v1, v1, s6
	s_delay_alu instid0(VALU_DEP_3) | instskip(NEXT) | instid1(VALU_DEP_4)
	v_mul_lo_u32 v6, v6, s26
	v_lshrrev_b32_e32 v9, s13, v9
	s_delay_alu instid0(VALU_DEP_4) | instskip(NEXT) | instid1(VALU_DEP_2)
	v_mul_lo_u32 v8, v8, s17
	v_mul_lo_u32 v9, v9, s14
	v_mad_u32 v1, v2, s5, v1
	v_mad_u32 v7, v7, s25, v6
	s_delay_alu instid0(VALU_DEP_4) | instskip(NEXT) | instid1(VALU_DEP_3)
	v_sub_nc_u32_e32 v8, v4, v8
	v_mad_u32 v2, v4, s4, v1
	s_delay_alu instid0(VALU_DEP_2) | instskip(NEXT) | instid1(VALU_DEP_1)
	v_mad_u32 v8, v8, s24, v7
	v_dual_sub_nc_u32 v6, v0, v9 :: v_dual_ashrrev_i32 v9, 31, v8
	s_delay_alu instid0(VALU_DEP_1) | instskip(SKIP_1) | instid1(VALU_DEP_1)
	v_mul_lo_u32 v6, v6, s11
	s_load_b128 s[8:11], s[0:1], 0xb8
	v_ashrrev_i32_e32 v7, 31, v6
	s_wait_xcnt 0x0
	s_load_b64 s[0:1], s[0:1], 0x10
	s_delay_alu instid0(VALU_DEP_1) | instskip(NEXT) | instid1(VALU_DEP_1)
	v_add_nc_u64_e32 v[6:7], v[6:7], v[8:9]
	v_lshlrev_b64_e32 v[6:7], 1, v[6:7]
	s_wait_kmcnt 0x0
	s_delay_alu instid0(VALU_DEP_1)
	v_add_nc_u64_e32 v[8:9], s[8:9], v[6:7]
	v_add_nc_u64_e32 v[10:11], s[10:11], v[6:7]
	;; [unrolled: 1-line block ×3, first 2 shown]
	global_load_u16 v12, v[8:9], off
	global_load_u16 v13, v[10:11], off
	;; [unrolled: 1-line block ×3, first 2 shown]
	s_wait_loadcnt 0x2
	v_cvt_f32_f16_e32 v1, v12
	s_wait_loadcnt 0x1
	v_cvt_f32_f16_e32 v4, v13
	s_delay_alu instid0(VALU_DEP_2) | instskip(SKIP_1) | instid1(VALU_DEP_2)
	v_dual_mul_f32 v5, v5, v1 :: v_dual_mov_b32 v1, v3
	v_lshl_add_u64 v[2:3], v[2:3], 1, s[0:1]
	v_mul_f32_e32 v4, v5, v4
	s_delay_alu instid0(VALU_DEP_2) | instskip(SKIP_1) | instid1(VALU_DEP_2)
	v_lshl_add_u64 v[0:1], v[0:1], 1, v[2:3]
	s_wait_loadcnt 0x0
	v_fma_mixlo_f16 v4, v4, v6, 0 op_sel_hi:[0,1,0]
	global_store_b16 v[0:1], v4, off
.LBB106_4:
	s_endpgm
	.section	.rodata,"a",@progbits
	.p2align	6, 0x0
	.amdhsa_kernel _ZL19k_bin_bcast_unravelIXadL_ZL6op_mulffEE6__halfS0_S0_JPKS0_S2_S2_EEvPKT0_PKT1_PT2_15HIP_vector_typeIjLj3EESC_SC_jSC_SC_SC_SC_SC_SC_iiiiiiiiiiiDpT3_
		.amdhsa_group_segment_fixed_size 0
		.amdhsa_private_segment_fixed_size 0
		.amdhsa_kernarg_size 464
		.amdhsa_user_sgpr_count 2
		.amdhsa_user_sgpr_dispatch_ptr 0
		.amdhsa_user_sgpr_queue_ptr 0
		.amdhsa_user_sgpr_kernarg_segment_ptr 1
		.amdhsa_user_sgpr_dispatch_id 0
		.amdhsa_user_sgpr_kernarg_preload_length 0
		.amdhsa_user_sgpr_kernarg_preload_offset 0
		.amdhsa_user_sgpr_private_segment_size 0
		.amdhsa_wavefront_size32 1
		.amdhsa_uses_dynamic_stack 0
		.amdhsa_enable_private_segment 0
		.amdhsa_system_sgpr_workgroup_id_x 1
		.amdhsa_system_sgpr_workgroup_id_y 0
		.amdhsa_system_sgpr_workgroup_id_z 0
		.amdhsa_system_sgpr_workgroup_info 0
		.amdhsa_system_vgpr_workitem_id 0
		.amdhsa_next_free_vgpr 14
		.amdhsa_next_free_sgpr 27
		.amdhsa_named_barrier_count 0
		.amdhsa_reserve_vcc 1
		.amdhsa_float_round_mode_32 0
		.amdhsa_float_round_mode_16_64 0
		.amdhsa_float_denorm_mode_32 3
		.amdhsa_float_denorm_mode_16_64 3
		.amdhsa_fp16_overflow 0
		.amdhsa_memory_ordered 1
		.amdhsa_forward_progress 1
		.amdhsa_inst_pref_size 7
		.amdhsa_round_robin_scheduling 0
		.amdhsa_exception_fp_ieee_invalid_op 0
		.amdhsa_exception_fp_denorm_src 0
		.amdhsa_exception_fp_ieee_div_zero 0
		.amdhsa_exception_fp_ieee_overflow 0
		.amdhsa_exception_fp_ieee_underflow 0
		.amdhsa_exception_fp_ieee_inexact 0
		.amdhsa_exception_int_div_zero 0
	.end_amdhsa_kernel
	.section	.text._ZL19k_bin_bcast_unravelIXadL_ZL6op_mulffEE6__halfS0_S0_JPKS0_S2_S2_EEvPKT0_PKT1_PT2_15HIP_vector_typeIjLj3EESC_SC_jSC_SC_SC_SC_SC_SC_iiiiiiiiiiiDpT3_,"axG",@progbits,_ZL19k_bin_bcast_unravelIXadL_ZL6op_mulffEE6__halfS0_S0_JPKS0_S2_S2_EEvPKT0_PKT1_PT2_15HIP_vector_typeIjLj3EESC_SC_jSC_SC_SC_SC_SC_SC_iiiiiiiiiiiDpT3_,comdat
.Lfunc_end106:
	.size	_ZL19k_bin_bcast_unravelIXadL_ZL6op_mulffEE6__halfS0_S0_JPKS0_S2_S2_EEvPKT0_PKT1_PT2_15HIP_vector_typeIjLj3EESC_SC_jSC_SC_SC_SC_SC_SC_iiiiiiiiiiiDpT3_, .Lfunc_end106-_ZL19k_bin_bcast_unravelIXadL_ZL6op_mulffEE6__halfS0_S0_JPKS0_S2_S2_EEvPKT0_PKT1_PT2_15HIP_vector_typeIjLj3EESC_SC_jSC_SC_SC_SC_SC_SC_iiiiiiiiiiiDpT3_
                                        ; -- End function
	.set _ZL19k_bin_bcast_unravelIXadL_ZL6op_mulffEE6__halfS0_S0_JPKS0_S2_S2_EEvPKT0_PKT1_PT2_15HIP_vector_typeIjLj3EESC_SC_jSC_SC_SC_SC_SC_SC_iiiiiiiiiiiDpT3_.num_vgpr, 14
	.set _ZL19k_bin_bcast_unravelIXadL_ZL6op_mulffEE6__halfS0_S0_JPKS0_S2_S2_EEvPKT0_PKT1_PT2_15HIP_vector_typeIjLj3EESC_SC_jSC_SC_SC_SC_SC_SC_iiiiiiiiiiiDpT3_.num_agpr, 0
	.set _ZL19k_bin_bcast_unravelIXadL_ZL6op_mulffEE6__halfS0_S0_JPKS0_S2_S2_EEvPKT0_PKT1_PT2_15HIP_vector_typeIjLj3EESC_SC_jSC_SC_SC_SC_SC_SC_iiiiiiiiiiiDpT3_.numbered_sgpr, 27
	.set _ZL19k_bin_bcast_unravelIXadL_ZL6op_mulffEE6__halfS0_S0_JPKS0_S2_S2_EEvPKT0_PKT1_PT2_15HIP_vector_typeIjLj3EESC_SC_jSC_SC_SC_SC_SC_SC_iiiiiiiiiiiDpT3_.num_named_barrier, 0
	.set _ZL19k_bin_bcast_unravelIXadL_ZL6op_mulffEE6__halfS0_S0_JPKS0_S2_S2_EEvPKT0_PKT1_PT2_15HIP_vector_typeIjLj3EESC_SC_jSC_SC_SC_SC_SC_SC_iiiiiiiiiiiDpT3_.private_seg_size, 0
	.set _ZL19k_bin_bcast_unravelIXadL_ZL6op_mulffEE6__halfS0_S0_JPKS0_S2_S2_EEvPKT0_PKT1_PT2_15HIP_vector_typeIjLj3EESC_SC_jSC_SC_SC_SC_SC_SC_iiiiiiiiiiiDpT3_.uses_vcc, 1
	.set _ZL19k_bin_bcast_unravelIXadL_ZL6op_mulffEE6__halfS0_S0_JPKS0_S2_S2_EEvPKT0_PKT1_PT2_15HIP_vector_typeIjLj3EESC_SC_jSC_SC_SC_SC_SC_SC_iiiiiiiiiiiDpT3_.uses_flat_scratch, 0
	.set _ZL19k_bin_bcast_unravelIXadL_ZL6op_mulffEE6__halfS0_S0_JPKS0_S2_S2_EEvPKT0_PKT1_PT2_15HIP_vector_typeIjLj3EESC_SC_jSC_SC_SC_SC_SC_SC_iiiiiiiiiiiDpT3_.has_dyn_sized_stack, 0
	.set _ZL19k_bin_bcast_unravelIXadL_ZL6op_mulffEE6__halfS0_S0_JPKS0_S2_S2_EEvPKT0_PKT1_PT2_15HIP_vector_typeIjLj3EESC_SC_jSC_SC_SC_SC_SC_SC_iiiiiiiiiiiDpT3_.has_recursion, 0
	.set _ZL19k_bin_bcast_unravelIXadL_ZL6op_mulffEE6__halfS0_S0_JPKS0_S2_S2_EEvPKT0_PKT1_PT2_15HIP_vector_typeIjLj3EESC_SC_jSC_SC_SC_SC_SC_SC_iiiiiiiiiiiDpT3_.has_indirect_call, 0
	.section	.AMDGPU.csdata,"",@progbits
; Kernel info:
; codeLenInByte = 820
; TotalNumSgprs: 29
; NumVgprs: 14
; ScratchSize: 0
; MemoryBound: 0
; FloatMode: 240
; IeeeMode: 1
; LDSByteSize: 0 bytes/workgroup (compile time only)
; SGPRBlocks: 0
; VGPRBlocks: 0
; NumSGPRsForWavesPerEU: 29
; NumVGPRsForWavesPerEU: 14
; NamedBarCnt: 0
; Occupancy: 16
; WaveLimiterHint : 1
; COMPUTE_PGM_RSRC2:SCRATCH_EN: 0
; COMPUTE_PGM_RSRC2:USER_SGPR: 2
; COMPUTE_PGM_RSRC2:TRAP_HANDLER: 0
; COMPUTE_PGM_RSRC2:TGID_X_EN: 1
; COMPUTE_PGM_RSRC2:TGID_Y_EN: 0
; COMPUTE_PGM_RSRC2:TGID_Z_EN: 0
; COMPUTE_PGM_RSRC2:TIDIG_COMP_CNT: 0
	.section	.text._ZL11k_bin_bcastIXadL_ZL6op_mulffEE6__halfS0_S0_JPKS0_S2_S2_EEvPKT0_PKT1_PT2_iii15HIP_vector_typeIjLj3EESC_SC_SC_SC_iiiiiiiiiiiDpT3_,"axG",@progbits,_ZL11k_bin_bcastIXadL_ZL6op_mulffEE6__halfS0_S0_JPKS0_S2_S2_EEvPKT0_PKT1_PT2_iii15HIP_vector_typeIjLj3EESC_SC_SC_SC_iiiiiiiiiiiDpT3_,comdat
	.globl	_ZL11k_bin_bcastIXadL_ZL6op_mulffEE6__halfS0_S0_JPKS0_S2_S2_EEvPKT0_PKT1_PT2_iii15HIP_vector_typeIjLj3EESC_SC_SC_SC_iiiiiiiiiiiDpT3_ ; -- Begin function _ZL11k_bin_bcastIXadL_ZL6op_mulffEE6__halfS0_S0_JPKS0_S2_S2_EEvPKT0_PKT1_PT2_iii15HIP_vector_typeIjLj3EESC_SC_SC_SC_iiiiiiiiiiiDpT3_
	.p2align	8
	.type	_ZL11k_bin_bcastIXadL_ZL6op_mulffEE6__halfS0_S0_JPKS0_S2_S2_EEvPKT0_PKT1_PT2_iii15HIP_vector_typeIjLj3EESC_SC_SC_SC_iiiiiiiiiiiDpT3_,@function
_ZL11k_bin_bcastIXadL_ZL6op_mulffEE6__halfS0_S0_JPKS0_S2_S2_EEvPKT0_PKT1_PT2_iii15HIP_vector_typeIjLj3EESC_SC_SC_SC_iiiiiiiiiiiDpT3_: ; @_ZL11k_bin_bcastIXadL_ZL6op_mulffEE6__halfS0_S0_JPKS0_S2_S2_EEvPKT0_PKT1_PT2_iii15HIP_vector_typeIjLj3EESC_SC_SC_SC_iiiiiiiiiiiDpT3_
; %bb.0:
	s_load_b64 s[2:3], s[0:1], 0xb4
	s_bfe_u32 s5, ttmp6, 0x40014
	s_bfe_u32 s16, ttmp6, 0x40010
	;; [unrolled: 1-line block ×3, first 2 shown]
	s_lshr_b32 s4, ttmp7, 16
	s_add_co_i32 s5, s5, 1
	s_and_b32 s7, ttmp7, 0xffff
	s_load_b256 s[8:15], s[0:1], 0x18
	s_add_co_i32 s16, s16, 1
	s_add_co_i32 s19, s19, 1
	s_bfe_u32 s6, ttmp6, 0x40008
	s_mul_i32 s5, s4, s5
	s_bfe_u32 s17, ttmp6, 0x40004
	s_and_b32 s18, ttmp6, 15
	s_mul_i32 s16, s7, s16
	s_mul_i32 s19, ttmp9, s19
	s_add_co_i32 s6, s6, s5
	s_add_co_i32 s17, s17, s16
	;; [unrolled: 1-line block ×3, first 2 shown]
	v_bfe_u32 v1, v0, 20, 10
	s_wait_kmcnt 0x0
	s_lshr_b32 s5, s2, 16
	s_and_b32 s33, s2, 0xffff
	s_getreg_b32 s2, hwreg(HW_REG_IB_STS2, 6, 4)
	s_and_b32 s3, s3, 0xffff
	s_cmp_eq_u32 s2, 0
	v_and_b32_e32 v2, 0x3ff, v0
	s_cselect_b32 s2, s4, s6
	v_bfe_u32 v4, v0, 10, 10
	v_mad_u32 v3, s2, s3, v1
	s_cselect_b32 s2, ttmp9, s18
	s_cselect_b32 s3, s7, s17
	v_mad_u32 v0, s2, s33, v2
	v_mad_u32 v2, s3, s5, v4
	s_delay_alu instid0(VALU_DEP_3) | instskip(NEXT) | instid1(VALU_DEP_3)
	v_mul_hi_u32 v1, v3, s11
	v_cmp_gt_u32_e32 vcc_lo, s8, v0
	s_delay_alu instid0(VALU_DEP_3) | instskip(SKIP_2) | instid1(VALU_DEP_1)
	v_cmp_gt_u32_e64 s2, s9, v2
	s_and_b32 s2, vcc_lo, s2
	v_add_nc_u32_e32 v1, v3, v1
	v_lshrrev_b32_e32 v1, s12, v1
	s_delay_alu instid0(VALU_DEP_1) | instskip(SKIP_3) | instid1(VALU_DEP_1)
	v_mul_lo_u32 v5, v1, s13
	v_cmp_gt_u32_e64 s3, s10, v1
	s_and_b32 s2, s2, s3
	v_sub_nc_u32_e32 v3, v3, v5
	v_cmp_gt_u32_e64 s4, s13, v3
	s_and_b32 s2, s2, s4
	s_delay_alu instid0(SALU_CYCLE_1)
	s_and_saveexec_b32 s3, s2
	s_cbranch_execz .LBB107_6
; %bb.1:
	v_cmp_gt_i32_e32 vcc_lo, s8, v0
	s_and_b32 exec_lo, exec_lo, vcc_lo
	s_cbranch_execz .LBB107_6
; %bb.2:
	s_clause 0x6
	s_load_b256 s[24:31], s[0:1], 0x3c
	s_load_b32 s2, s[0:1], 0x5c
	s_load_b256 s[16:23], s[0:1], 0x60
	s_load_b96 s[36:38], s[0:1], 0x80
	s_load_b128 s[4:7], s[0:1], 0x90
	s_load_b64 s[10:11], s[0:1], 0x0
	s_load_b64 s[12:13], s[0:1], 0x10
	s_wait_kmcnt 0x0
	v_mul_hi_u32 v4, s30, v3
	v_mul_hi_u32 v5, s27, v1
	;; [unrolled: 1-line block ×3, first 2 shown]
	v_mul_lo_u32 v7, v2, s20
	v_mul_lo_u32 v8, v2, s16
	s_cmp_lg_u64 s[10:11], 0
	s_delay_alu instid0(VALU_DEP_4) | instskip(NEXT) | instid1(VALU_DEP_3)
	v_dual_add_nc_u32 v4, v3, v4 :: v_dual_add_nc_u32 v5, v1, v5
	v_mad_u32 v7, v1, s21, v7
	s_delay_alu instid0(VALU_DEP_3) | instskip(NEXT) | instid1(VALU_DEP_3)
	v_mad_u32 v8, v1, s17, v8
	v_dual_lshrrev_b32 v4, s31, v4 :: v_dual_lshrrev_b32 v5, s28, v5
	s_delay_alu instid0(VALU_DEP_1) | instskip(SKIP_1) | instid1(VALU_DEP_3)
	v_mul_lo_u32 v4, v4, s2
	v_add_nc_u32_e32 v6, v2, v6
	v_mul_lo_u32 v5, v5, s29
	s_add_nc_u64 s[2:3], s[0:1], 0xa8
	s_load_b32 s9, s[2:3], 0x0
	s_load_b32 s16, s[0:1], 0x38
	s_wait_xcnt 0x0
	s_load_b64 s[0:1], s[0:1], 0xa0
	v_mad_u32 v8, v3, s18, v8
	s_mov_b32 s3, 0
	s_mov_b32 s2, s14
	v_dual_sub_nc_u32 v4, v3, v4 :: v_dual_lshrrev_b32 v6, s25, v6
	s_delay_alu instid0(VALU_DEP_3) | instskip(NEXT) | instid1(VALU_DEP_2)
	v_sub_nc_u32_e32 v5, v1, v5
	v_mul_lo_u32 v9, v4, s38
	s_delay_alu instid0(VALU_DEP_3) | instskip(SKIP_4) | instid1(VALU_DEP_4)
	v_mul_lo_u32 v6, v6, s26
	v_mad_u32 v4, v3, s22, v7
	v_mov_b32_e32 v1, 0
	s_wait_kmcnt 0x0
	s_mul_i32 s9, s9, s33
	v_mad_u32 v7, v5, s37, v9
	s_delay_alu instid0(VALU_DEP_4) | instskip(SKIP_3) | instid1(VALU_DEP_2)
	v_sub_nc_u32_e32 v2, v2, v6
	v_mul_lo_u32 v6, s19, v0
	v_dual_mov_b32 v5, v1 :: v_dual_mov_b32 v9, v1
	v_mov_b32_e32 v3, v1
	v_lshl_add_u64 v[4:5], v[4:5], 1, s[10:11]
	s_delay_alu instid0(VALU_DEP_3)
	v_lshl_add_u64 v[8:9], v[8:9], 1, s[12:13]
	s_cselect_b32 s10, -1, 0
	v_mad_u32 v2, v2, s36, v7
	s_mul_i32 s11, s9, s19
	s_sub_co_i32 s12, 0, s16
	s_mov_b32 s13, s3
	s_branch .LBB107_4
.LBB107_3:                              ;   in Loop: Header=BB107_4 Depth=1
	s_wait_xcnt 0x0
	v_mul_u64_e32 v[10:11], s[2:3], v[0:1]
	s_delay_alu instid0(VALU_DEP_1) | instskip(NEXT) | instid1(VALU_DEP_1)
	v_dual_add_nc_u32 v6, s11, v6 :: v_dual_add_nc_u32 v10, v0, v11
	v_dual_mov_b32 v11, v1 :: v_dual_lshrrev_b32 v10, s15, v10
	s_delay_alu instid0(VALU_DEP_1) | instskip(NEXT) | instid1(VALU_DEP_1)
	v_mad_u32 v10, s12, v10, v0
	v_mul_lo_u32 v10, v10, s23
	s_delay_alu instid0(VALU_DEP_1) | instskip(NEXT) | instid1(VALU_DEP_1)
	v_add_nc_u64_e32 v[10:11], v[10:11], v[2:3]
	v_lshlrev_b64_e32 v[10:11], 1, v[10:11]
	s_delay_alu instid0(VALU_DEP_1)
	v_add_nc_u64_e32 v[12:13], s[4:5], v[10:11]
	v_add_nc_u64_e32 v[14:15], s[6:7], v[10:11]
	;; [unrolled: 1-line block ×3, first 2 shown]
	global_load_u16 v16, v[12:13], off
	global_load_u16 v17, v[14:15], off
	;; [unrolled: 1-line block ×3, first 2 shown]
	s_wait_xcnt 0x0
	v_ashrrev_i32_e32 v11, 31, v0
	s_wait_loadcnt 0x2
	v_cvt_f32_f16_e32 v10, v16
	s_wait_loadcnt 0x1
	v_cvt_f32_f16_e32 v13, v17
	s_delay_alu instid0(VALU_DEP_2) | instskip(NEXT) | instid1(VALU_DEP_1)
	v_dual_mul_f32 v7, v7, v10 :: v_dual_mov_b32 v10, v0
	v_dual_mul_f32 v7, v7, v13 :: v_dual_add_nc_u32 v0, s9, v0
	s_delay_alu instid0(VALU_DEP_2) | instskip(NEXT) | instid1(VALU_DEP_2)
	v_lshl_add_u64 v[10:11], v[10:11], 1, v[8:9]
	v_cmp_le_i32_e32 vcc_lo, s8, v0
	s_wait_loadcnt 0x0
	s_delay_alu instid0(VALU_DEP_3)
	v_fma_mixlo_f16 v7, v7, v12, 0 op_sel_hi:[0,1,0]
	s_or_b32 s13, vcc_lo, s13
	global_store_b16 v[10:11], v7, off
	s_wait_xcnt 0x0
	s_and_not1_b32 exec_lo, exec_lo, s13
	s_cbranch_execz .LBB107_6
.LBB107_4:                              ; =>This Inner Loop Header: Depth=1
	v_mov_b32_e32 v7, 0
	s_and_not1_b32 vcc_lo, exec_lo, s10
	s_cbranch_vccnz .LBB107_3
; %bb.5:                                ;   in Loop: Header=BB107_4 Depth=1
	v_ashrrev_i32_e32 v7, 31, v6
	s_delay_alu instid0(VALU_DEP_1)
	v_lshl_add_u64 v[10:11], v[6:7], 1, v[4:5]
	global_load_u16 v7, v[10:11], off
	s_wait_loadcnt 0x0
	v_cvt_f32_f16_e32 v7, v7
	s_branch .LBB107_3
.LBB107_6:
	s_endpgm
	.section	.rodata,"a",@progbits
	.p2align	6, 0x0
	.amdhsa_kernel _ZL11k_bin_bcastIXadL_ZL6op_mulffEE6__halfS0_S0_JPKS0_S2_S2_EEvPKT0_PKT1_PT2_iii15HIP_vector_typeIjLj3EESC_SC_SC_SC_iiiiiiiiiiiDpT3_
		.amdhsa_group_segment_fixed_size 0
		.amdhsa_private_segment_fixed_size 0
		.amdhsa_kernarg_size 424
		.amdhsa_user_sgpr_count 2
		.amdhsa_user_sgpr_dispatch_ptr 0
		.amdhsa_user_sgpr_queue_ptr 0
		.amdhsa_user_sgpr_kernarg_segment_ptr 1
		.amdhsa_user_sgpr_dispatch_id 0
		.amdhsa_user_sgpr_kernarg_preload_length 0
		.amdhsa_user_sgpr_kernarg_preload_offset 0
		.amdhsa_user_sgpr_private_segment_size 0
		.amdhsa_wavefront_size32 1
		.amdhsa_uses_dynamic_stack 0
		.amdhsa_enable_private_segment 0
		.amdhsa_system_sgpr_workgroup_id_x 1
		.amdhsa_system_sgpr_workgroup_id_y 1
		.amdhsa_system_sgpr_workgroup_id_z 1
		.amdhsa_system_sgpr_workgroup_info 0
		.amdhsa_system_vgpr_workitem_id 2
		.amdhsa_next_free_vgpr 18
		.amdhsa_next_free_sgpr 39
		.amdhsa_named_barrier_count 0
		.amdhsa_reserve_vcc 1
		.amdhsa_float_round_mode_32 0
		.amdhsa_float_round_mode_16_64 0
		.amdhsa_float_denorm_mode_32 3
		.amdhsa_float_denorm_mode_16_64 3
		.amdhsa_fp16_overflow 0
		.amdhsa_memory_ordered 1
		.amdhsa_forward_progress 1
		.amdhsa_inst_pref_size 8
		.amdhsa_round_robin_scheduling 0
		.amdhsa_exception_fp_ieee_invalid_op 0
		.amdhsa_exception_fp_denorm_src 0
		.amdhsa_exception_fp_ieee_div_zero 0
		.amdhsa_exception_fp_ieee_overflow 0
		.amdhsa_exception_fp_ieee_underflow 0
		.amdhsa_exception_fp_ieee_inexact 0
		.amdhsa_exception_int_div_zero 0
	.end_amdhsa_kernel
	.section	.text._ZL11k_bin_bcastIXadL_ZL6op_mulffEE6__halfS0_S0_JPKS0_S2_S2_EEvPKT0_PKT1_PT2_iii15HIP_vector_typeIjLj3EESC_SC_SC_SC_iiiiiiiiiiiDpT3_,"axG",@progbits,_ZL11k_bin_bcastIXadL_ZL6op_mulffEE6__halfS0_S0_JPKS0_S2_S2_EEvPKT0_PKT1_PT2_iii15HIP_vector_typeIjLj3EESC_SC_SC_SC_iiiiiiiiiiiDpT3_,comdat
.Lfunc_end107:
	.size	_ZL11k_bin_bcastIXadL_ZL6op_mulffEE6__halfS0_S0_JPKS0_S2_S2_EEvPKT0_PKT1_PT2_iii15HIP_vector_typeIjLj3EESC_SC_SC_SC_iiiiiiiiiiiDpT3_, .Lfunc_end107-_ZL11k_bin_bcastIXadL_ZL6op_mulffEE6__halfS0_S0_JPKS0_S2_S2_EEvPKT0_PKT1_PT2_iii15HIP_vector_typeIjLj3EESC_SC_SC_SC_iiiiiiiiiiiDpT3_
                                        ; -- End function
	.set _ZL11k_bin_bcastIXadL_ZL6op_mulffEE6__halfS0_S0_JPKS0_S2_S2_EEvPKT0_PKT1_PT2_iii15HIP_vector_typeIjLj3EESC_SC_SC_SC_iiiiiiiiiiiDpT3_.num_vgpr, 18
	.set _ZL11k_bin_bcastIXadL_ZL6op_mulffEE6__halfS0_S0_JPKS0_S2_S2_EEvPKT0_PKT1_PT2_iii15HIP_vector_typeIjLj3EESC_SC_SC_SC_iiiiiiiiiiiDpT3_.num_agpr, 0
	.set _ZL11k_bin_bcastIXadL_ZL6op_mulffEE6__halfS0_S0_JPKS0_S2_S2_EEvPKT0_PKT1_PT2_iii15HIP_vector_typeIjLj3EESC_SC_SC_SC_iiiiiiiiiiiDpT3_.numbered_sgpr, 39
	.set _ZL11k_bin_bcastIXadL_ZL6op_mulffEE6__halfS0_S0_JPKS0_S2_S2_EEvPKT0_PKT1_PT2_iii15HIP_vector_typeIjLj3EESC_SC_SC_SC_iiiiiiiiiiiDpT3_.num_named_barrier, 0
	.set _ZL11k_bin_bcastIXadL_ZL6op_mulffEE6__halfS0_S0_JPKS0_S2_S2_EEvPKT0_PKT1_PT2_iii15HIP_vector_typeIjLj3EESC_SC_SC_SC_iiiiiiiiiiiDpT3_.private_seg_size, 0
	.set _ZL11k_bin_bcastIXadL_ZL6op_mulffEE6__halfS0_S0_JPKS0_S2_S2_EEvPKT0_PKT1_PT2_iii15HIP_vector_typeIjLj3EESC_SC_SC_SC_iiiiiiiiiiiDpT3_.uses_vcc, 1
	.set _ZL11k_bin_bcastIXadL_ZL6op_mulffEE6__halfS0_S0_JPKS0_S2_S2_EEvPKT0_PKT1_PT2_iii15HIP_vector_typeIjLj3EESC_SC_SC_SC_iiiiiiiiiiiDpT3_.uses_flat_scratch, 0
	.set _ZL11k_bin_bcastIXadL_ZL6op_mulffEE6__halfS0_S0_JPKS0_S2_S2_EEvPKT0_PKT1_PT2_iii15HIP_vector_typeIjLj3EESC_SC_SC_SC_iiiiiiiiiiiDpT3_.has_dyn_sized_stack, 0
	.set _ZL11k_bin_bcastIXadL_ZL6op_mulffEE6__halfS0_S0_JPKS0_S2_S2_EEvPKT0_PKT1_PT2_iii15HIP_vector_typeIjLj3EESC_SC_SC_SC_iiiiiiiiiiiDpT3_.has_recursion, 0
	.set _ZL11k_bin_bcastIXadL_ZL6op_mulffEE6__halfS0_S0_JPKS0_S2_S2_EEvPKT0_PKT1_PT2_iii15HIP_vector_typeIjLj3EESC_SC_SC_SC_iiiiiiiiiiiDpT3_.has_indirect_call, 0
	.section	.AMDGPU.csdata,"",@progbits
; Kernel info:
; codeLenInByte = 960
; TotalNumSgprs: 41
; NumVgprs: 18
; ScratchSize: 0
; MemoryBound: 0
; FloatMode: 240
; IeeeMode: 1
; LDSByteSize: 0 bytes/workgroup (compile time only)
; SGPRBlocks: 0
; VGPRBlocks: 1
; NumSGPRsForWavesPerEU: 41
; NumVGPRsForWavesPerEU: 18
; NamedBarCnt: 0
; Occupancy: 16
; WaveLimiterHint : 1
; COMPUTE_PGM_RSRC2:SCRATCH_EN: 0
; COMPUTE_PGM_RSRC2:USER_SGPR: 2
; COMPUTE_PGM_RSRC2:TRAP_HANDLER: 0
; COMPUTE_PGM_RSRC2:TGID_X_EN: 1
; COMPUTE_PGM_RSRC2:TGID_Y_EN: 1
; COMPUTE_PGM_RSRC2:TGID_Z_EN: 1
; COMPUTE_PGM_RSRC2:TIDIG_COMP_CNT: 2
	.section	.text._ZL19k_bin_bcast_unravelIXadL_ZL6op_mulffEE6__halffS0_JPKfS2_S2_EEvPKT0_PKT1_PT2_15HIP_vector_typeIjLj3EESC_SC_jSC_SC_SC_SC_SC_SC_iiiiiiiiiiiDpT3_,"axG",@progbits,_ZL19k_bin_bcast_unravelIXadL_ZL6op_mulffEE6__halffS0_JPKfS2_S2_EEvPKT0_PKT1_PT2_15HIP_vector_typeIjLj3EESC_SC_jSC_SC_SC_SC_SC_SC_iiiiiiiiiiiDpT3_,comdat
	.globl	_ZL19k_bin_bcast_unravelIXadL_ZL6op_mulffEE6__halffS0_JPKfS2_S2_EEvPKT0_PKT1_PT2_15HIP_vector_typeIjLj3EESC_SC_jSC_SC_SC_SC_SC_SC_iiiiiiiiiiiDpT3_ ; -- Begin function _ZL19k_bin_bcast_unravelIXadL_ZL6op_mulffEE6__halffS0_JPKfS2_S2_EEvPKT0_PKT1_PT2_15HIP_vector_typeIjLj3EESC_SC_jSC_SC_SC_SC_SC_SC_iiiiiiiiiiiDpT3_
	.p2align	8
	.type	_ZL19k_bin_bcast_unravelIXadL_ZL6op_mulffEE6__halffS0_JPKfS2_S2_EEvPKT0_PKT1_PT2_15HIP_vector_typeIjLj3EESC_SC_jSC_SC_SC_SC_SC_SC_iiiiiiiiiiiDpT3_,@function
_ZL19k_bin_bcast_unravelIXadL_ZL6op_mulffEE6__halffS0_JPKfS2_S2_EEvPKT0_PKT1_PT2_15HIP_vector_typeIjLj3EESC_SC_jSC_SC_SC_SC_SC_SC_iiiiiiiiiiiDpT3_: ; @_ZL19k_bin_bcast_unravelIXadL_ZL6op_mulffEE6__halffS0_JPKfS2_S2_EEvPKT0_PKT1_PT2_15HIP_vector_typeIjLj3EESC_SC_jSC_SC_SC_SC_SC_SC_iiiiiiiiiiiDpT3_
; %bb.0:
	s_load_b32 s2, s[0:1], 0xdc
	s_bfe_u32 s3, ttmp6, 0x4000c
	s_load_b256 s[4:11], s[0:1], 0x38
	s_add_co_i32 s3, s3, 1
	s_and_b32 s12, ttmp6, 15
	s_mul_i32 s3, ttmp9, s3
	s_getreg_b32 s13, hwreg(HW_REG_IB_STS2, 6, 4)
	s_add_co_i32 s12, s12, s3
	s_wait_kmcnt 0x0
	s_and_b32 s2, s2, 0xffff
	s_cmp_eq_u32 s13, 0
	s_cselect_b32 s3, ttmp9, s12
	s_delay_alu instid0(SALU_CYCLE_1) | instskip(SKIP_1) | instid1(VALU_DEP_1)
	v_mad_u32 v0, s3, s2, v0
	s_load_b32 s2, s[0:1], 0x2c
	v_mul_hi_u32 v1, v0, s6
	s_delay_alu instid0(VALU_DEP_1) | instskip(NEXT) | instid1(VALU_DEP_1)
	v_add_nc_u32_e32 v1, v0, v1
	v_lshrrev_b32_e32 v1, s7, v1
	s_delay_alu instid0(VALU_DEP_1) | instskip(NEXT) | instid1(VALU_DEP_1)
	v_mul_lo_u32 v2, v1, s8
	v_sub_nc_u32_e32 v0, v0, v2
	s_delay_alu instid0(VALU_DEP_1) | instskip(NEXT) | instid1(VALU_DEP_1)
	v_mul_hi_u32 v2, v0, s9
	v_add_nc_u32_e32 v2, v0, v2
	s_delay_alu instid0(VALU_DEP_1) | instskip(SKIP_1) | instid1(VALU_DEP_1)
	v_lshrrev_b32_e32 v2, s10, v2
	s_load_b96 s[8:10], s[0:1], 0x18
	v_mul_lo_u32 v3, v2, s11
	s_delay_alu instid0(VALU_DEP_1) | instskip(SKIP_3) | instid1(VALU_DEP_3)
	v_sub_nc_u32_e32 v0, v0, v3
	v_cmp_gt_u32_e64 s3, s4, v2
	v_cmp_gt_u32_e64 s4, s5, v1
	s_wait_kmcnt 0x0
	v_mul_hi_u32 v3, v0, s8
	s_delay_alu instid0(VALU_DEP_1) | instskip(NEXT) | instid1(VALU_DEP_1)
	v_add_nc_u32_e32 v3, v0, v3
	v_lshrrev_b32_e32 v4, s9, v3
	s_delay_alu instid0(VALU_DEP_1) | instskip(NEXT) | instid1(VALU_DEP_1)
	v_mul_lo_u32 v3, v4, s10
	v_sub_nc_u32_e32 v0, v0, v3
	v_cmp_gt_u32_e64 s2, s2, v4
	s_delay_alu instid0(VALU_DEP_2) | instskip(SKIP_1) | instid1(SALU_CYCLE_1)
	v_cmp_gt_u32_e32 vcc_lo, s10, v0
	s_and_b32 s2, vcc_lo, s2
	s_and_b32 s2, s2, s3
	s_delay_alu instid0(SALU_CYCLE_1) | instskip(NEXT) | instid1(SALU_CYCLE_1)
	s_and_b32 s2, s4, s2
	s_and_saveexec_b32 s3, s2
	s_cbranch_execz .LBB108_4
; %bb.1:
	s_clause 0x4
	s_load_b64 s[2:3], s[0:1], 0x0
	s_load_b96 s[24:26], s[0:1], 0xa8
	s_load_b256 s[4:11], s[0:1], 0x88
	s_load_b128 s[20:23], s[0:1], 0x78
	s_load_b256 s[12:19], s[0:1], 0x58
	v_dual_mov_b32 v3, 0 :: v_dual_mov_b32 v5, 0
	s_wait_kmcnt 0x0
	s_cmp_eq_u64 s[2:3], 0
	s_cbranch_scc1 .LBB108_3
; %bb.2:
	v_mul_lo_u32 v5, v1, s10
	v_mov_b32_e32 v7, 0
	s_delay_alu instid0(VALU_DEP_2) | instskip(NEXT) | instid1(VALU_DEP_1)
	v_mad_u32 v5, v2, s9, v5
	v_mad_u32 v6, v4, s8, v5
	s_delay_alu instid0(VALU_DEP_1) | instskip(SKIP_1) | instid1(VALU_DEP_1)
	v_lshl_add_u64 v[8:9], v[6:7], 1, s[2:3]
	v_mul_lo_u32 v6, v0, s7
	v_lshl_add_u64 v[6:7], v[6:7], 1, v[8:9]
	global_load_u16 v5, v[6:7], off
	s_wait_loadcnt 0x0
	v_cvt_f32_f16_e32 v5, v5
.LBB108_3:
	v_mul_hi_u32 v6, s21, v1
	v_mul_hi_u32 v7, s18, v2
	;; [unrolled: 1-line block ×4, first 2 shown]
	s_load_b64 s[2:3], s[0:1], 0xc8
	s_delay_alu instid0(VALU_DEP_3) | instskip(NEXT) | instid1(VALU_DEP_1)
	v_dual_add_nc_u32 v6, v1, v6 :: v_dual_add_nc_u32 v7, v2, v7
	v_dual_lshrrev_b32 v6, s22, v6 :: v_dual_lshrrev_b32 v7, s19, v7
	s_delay_alu instid0(VALU_DEP_1) | instskip(SKIP_1) | instid1(VALU_DEP_3)
	v_mul_lo_u32 v6, v6, s23
	v_add_nc_u32_e32 v8, v4, v8
	v_mul_lo_u32 v7, v7, s20
	s_delay_alu instid0(VALU_DEP_3) | instskip(NEXT) | instid1(VALU_DEP_2)
	v_dual_sub_nc_u32 v6, v1, v6 :: v_dual_add_nc_u32 v9, v0, v9
	v_dual_lshrrev_b32 v8, s16, v8 :: v_dual_sub_nc_u32 v7, v2, v7
	v_mul_lo_u32 v1, v1, s6
	s_delay_alu instid0(VALU_DEP_3) | instskip(NEXT) | instid1(VALU_DEP_4)
	v_mul_lo_u32 v6, v6, s26
	v_lshrrev_b32_e32 v9, s13, v9
	s_delay_alu instid0(VALU_DEP_4) | instskip(NEXT) | instid1(VALU_DEP_2)
	v_mul_lo_u32 v8, v8, s17
	v_mul_lo_u32 v9, v9, s14
	v_mad_u32 v1, v2, s5, v1
	v_mad_u32 v7, v7, s25, v6
	s_delay_alu instid0(VALU_DEP_4) | instskip(NEXT) | instid1(VALU_DEP_3)
	v_sub_nc_u32_e32 v8, v4, v8
	v_mad_u32 v2, v4, s4, v1
	s_delay_alu instid0(VALU_DEP_2) | instskip(SKIP_1) | instid1(VALU_DEP_2)
	v_mad_u32 v8, v8, s24, v7
	v_dual_mov_b32 v1, v3 :: v_dual_sub_nc_u32 v6, v0, v9
	v_ashrrev_i32_e32 v9, 31, v8
	s_delay_alu instid0(VALU_DEP_2) | instskip(SKIP_1) | instid1(VALU_DEP_1)
	v_mul_lo_u32 v6, v6, s11
	s_load_b128 s[8:11], s[0:1], 0xb8
	v_ashrrev_i32_e32 v7, 31, v6
	s_wait_xcnt 0x0
	s_load_b64 s[0:1], s[0:1], 0x10
	s_delay_alu instid0(VALU_DEP_1) | instskip(NEXT) | instid1(VALU_DEP_1)
	v_add_nc_u64_e32 v[6:7], v[6:7], v[8:9]
	v_lshlrev_b64_e32 v[6:7], 2, v[6:7]
	s_wait_kmcnt 0x0
	s_delay_alu instid0(VALU_DEP_1)
	v_add_nc_u64_e32 v[8:9], s[8:9], v[6:7]
	v_add_nc_u64_e32 v[10:11], s[10:11], v[6:7]
	;; [unrolled: 1-line block ×3, first 2 shown]
	v_lshl_add_u64 v[2:3], v[2:3], 1, s[0:1]
	global_load_b32 v8, v[8:9], off
	global_load_b32 v9, v[10:11], off
	;; [unrolled: 1-line block ×3, first 2 shown]
	v_lshl_add_u64 v[0:1], v[0:1], 1, v[2:3]
	s_wait_loadcnt 0x2
	v_mul_f32_e32 v4, v5, v8
	s_wait_loadcnt 0x1
	s_delay_alu instid0(VALU_DEP_1) | instskip(SKIP_1) | instid1(VALU_DEP_1)
	v_mul_f32_e32 v4, v4, v9
	s_wait_loadcnt 0x0
	v_fma_mixlo_f16 v4, v4, v12, 0
	global_store_b16 v[0:1], v4, off
.LBB108_4:
	s_endpgm
	.section	.rodata,"a",@progbits
	.p2align	6, 0x0
	.amdhsa_kernel _ZL19k_bin_bcast_unravelIXadL_ZL6op_mulffEE6__halffS0_JPKfS2_S2_EEvPKT0_PKT1_PT2_15HIP_vector_typeIjLj3EESC_SC_jSC_SC_SC_SC_SC_SC_iiiiiiiiiiiDpT3_
		.amdhsa_group_segment_fixed_size 0
		.amdhsa_private_segment_fixed_size 0
		.amdhsa_kernarg_size 464
		.amdhsa_user_sgpr_count 2
		.amdhsa_user_sgpr_dispatch_ptr 0
		.amdhsa_user_sgpr_queue_ptr 0
		.amdhsa_user_sgpr_kernarg_segment_ptr 1
		.amdhsa_user_sgpr_dispatch_id 0
		.amdhsa_user_sgpr_kernarg_preload_length 0
		.amdhsa_user_sgpr_kernarg_preload_offset 0
		.amdhsa_user_sgpr_private_segment_size 0
		.amdhsa_wavefront_size32 1
		.amdhsa_uses_dynamic_stack 0
		.amdhsa_enable_private_segment 0
		.amdhsa_system_sgpr_workgroup_id_x 1
		.amdhsa_system_sgpr_workgroup_id_y 0
		.amdhsa_system_sgpr_workgroup_id_z 0
		.amdhsa_system_sgpr_workgroup_info 0
		.amdhsa_system_vgpr_workitem_id 0
		.amdhsa_next_free_vgpr 13
		.amdhsa_next_free_sgpr 27
		.amdhsa_named_barrier_count 0
		.amdhsa_reserve_vcc 1
		.amdhsa_float_round_mode_32 0
		.amdhsa_float_round_mode_16_64 0
		.amdhsa_float_denorm_mode_32 3
		.amdhsa_float_denorm_mode_16_64 3
		.amdhsa_fp16_overflow 0
		.amdhsa_memory_ordered 1
		.amdhsa_forward_progress 1
		.amdhsa_inst_pref_size 7
		.amdhsa_round_robin_scheduling 0
		.amdhsa_exception_fp_ieee_invalid_op 0
		.amdhsa_exception_fp_denorm_src 0
		.amdhsa_exception_fp_ieee_div_zero 0
		.amdhsa_exception_fp_ieee_overflow 0
		.amdhsa_exception_fp_ieee_underflow 0
		.amdhsa_exception_fp_ieee_inexact 0
		.amdhsa_exception_int_div_zero 0
	.end_amdhsa_kernel
	.section	.text._ZL19k_bin_bcast_unravelIXadL_ZL6op_mulffEE6__halffS0_JPKfS2_S2_EEvPKT0_PKT1_PT2_15HIP_vector_typeIjLj3EESC_SC_jSC_SC_SC_SC_SC_SC_iiiiiiiiiiiDpT3_,"axG",@progbits,_ZL19k_bin_bcast_unravelIXadL_ZL6op_mulffEE6__halffS0_JPKfS2_S2_EEvPKT0_PKT1_PT2_15HIP_vector_typeIjLj3EESC_SC_jSC_SC_SC_SC_SC_SC_iiiiiiiiiiiDpT3_,comdat
.Lfunc_end108:
	.size	_ZL19k_bin_bcast_unravelIXadL_ZL6op_mulffEE6__halffS0_JPKfS2_S2_EEvPKT0_PKT1_PT2_15HIP_vector_typeIjLj3EESC_SC_jSC_SC_SC_SC_SC_SC_iiiiiiiiiiiDpT3_, .Lfunc_end108-_ZL19k_bin_bcast_unravelIXadL_ZL6op_mulffEE6__halffS0_JPKfS2_S2_EEvPKT0_PKT1_PT2_15HIP_vector_typeIjLj3EESC_SC_jSC_SC_SC_SC_SC_SC_iiiiiiiiiiiDpT3_
                                        ; -- End function
	.set _ZL19k_bin_bcast_unravelIXadL_ZL6op_mulffEE6__halffS0_JPKfS2_S2_EEvPKT0_PKT1_PT2_15HIP_vector_typeIjLj3EESC_SC_jSC_SC_SC_SC_SC_SC_iiiiiiiiiiiDpT3_.num_vgpr, 13
	.set _ZL19k_bin_bcast_unravelIXadL_ZL6op_mulffEE6__halffS0_JPKfS2_S2_EEvPKT0_PKT1_PT2_15HIP_vector_typeIjLj3EESC_SC_jSC_SC_SC_SC_SC_SC_iiiiiiiiiiiDpT3_.num_agpr, 0
	.set _ZL19k_bin_bcast_unravelIXadL_ZL6op_mulffEE6__halffS0_JPKfS2_S2_EEvPKT0_PKT1_PT2_15HIP_vector_typeIjLj3EESC_SC_jSC_SC_SC_SC_SC_SC_iiiiiiiiiiiDpT3_.numbered_sgpr, 27
	.set _ZL19k_bin_bcast_unravelIXadL_ZL6op_mulffEE6__halffS0_JPKfS2_S2_EEvPKT0_PKT1_PT2_15HIP_vector_typeIjLj3EESC_SC_jSC_SC_SC_SC_SC_SC_iiiiiiiiiiiDpT3_.num_named_barrier, 0
	.set _ZL19k_bin_bcast_unravelIXadL_ZL6op_mulffEE6__halffS0_JPKfS2_S2_EEvPKT0_PKT1_PT2_15HIP_vector_typeIjLj3EESC_SC_jSC_SC_SC_SC_SC_SC_iiiiiiiiiiiDpT3_.private_seg_size, 0
	.set _ZL19k_bin_bcast_unravelIXadL_ZL6op_mulffEE6__halffS0_JPKfS2_S2_EEvPKT0_PKT1_PT2_15HIP_vector_typeIjLj3EESC_SC_jSC_SC_SC_SC_SC_SC_iiiiiiiiiiiDpT3_.uses_vcc, 1
	.set _ZL19k_bin_bcast_unravelIXadL_ZL6op_mulffEE6__halffS0_JPKfS2_S2_EEvPKT0_PKT1_PT2_15HIP_vector_typeIjLj3EESC_SC_jSC_SC_SC_SC_SC_SC_iiiiiiiiiiiDpT3_.uses_flat_scratch, 0
	.set _ZL19k_bin_bcast_unravelIXadL_ZL6op_mulffEE6__halffS0_JPKfS2_S2_EEvPKT0_PKT1_PT2_15HIP_vector_typeIjLj3EESC_SC_jSC_SC_SC_SC_SC_SC_iiiiiiiiiiiDpT3_.has_dyn_sized_stack, 0
	.set _ZL19k_bin_bcast_unravelIXadL_ZL6op_mulffEE6__halffS0_JPKfS2_S2_EEvPKT0_PKT1_PT2_15HIP_vector_typeIjLj3EESC_SC_jSC_SC_SC_SC_SC_SC_iiiiiiiiiiiDpT3_.has_recursion, 0
	.set _ZL19k_bin_bcast_unravelIXadL_ZL6op_mulffEE6__halffS0_JPKfS2_S2_EEvPKT0_PKT1_PT2_15HIP_vector_typeIjLj3EESC_SC_jSC_SC_SC_SC_SC_SC_iiiiiiiiiiiDpT3_.has_indirect_call, 0
	.section	.AMDGPU.csdata,"",@progbits
; Kernel info:
; codeLenInByte = 800
; TotalNumSgprs: 29
; NumVgprs: 13
; ScratchSize: 0
; MemoryBound: 0
; FloatMode: 240
; IeeeMode: 1
; LDSByteSize: 0 bytes/workgroup (compile time only)
; SGPRBlocks: 0
; VGPRBlocks: 0
; NumSGPRsForWavesPerEU: 29
; NumVGPRsForWavesPerEU: 13
; NamedBarCnt: 0
; Occupancy: 16
; WaveLimiterHint : 1
; COMPUTE_PGM_RSRC2:SCRATCH_EN: 0
; COMPUTE_PGM_RSRC2:USER_SGPR: 2
; COMPUTE_PGM_RSRC2:TRAP_HANDLER: 0
; COMPUTE_PGM_RSRC2:TGID_X_EN: 1
; COMPUTE_PGM_RSRC2:TGID_Y_EN: 0
; COMPUTE_PGM_RSRC2:TGID_Z_EN: 0
; COMPUTE_PGM_RSRC2:TIDIG_COMP_CNT: 0
	.section	.text._ZL11k_bin_bcastIXadL_ZL6op_mulffEE6__halffS0_JPKfS2_S2_EEvPKT0_PKT1_PT2_iii15HIP_vector_typeIjLj3EESC_SC_SC_SC_iiiiiiiiiiiDpT3_,"axG",@progbits,_ZL11k_bin_bcastIXadL_ZL6op_mulffEE6__halffS0_JPKfS2_S2_EEvPKT0_PKT1_PT2_iii15HIP_vector_typeIjLj3EESC_SC_SC_SC_iiiiiiiiiiiDpT3_,comdat
	.globl	_ZL11k_bin_bcastIXadL_ZL6op_mulffEE6__halffS0_JPKfS2_S2_EEvPKT0_PKT1_PT2_iii15HIP_vector_typeIjLj3EESC_SC_SC_SC_iiiiiiiiiiiDpT3_ ; -- Begin function _ZL11k_bin_bcastIXadL_ZL6op_mulffEE6__halffS0_JPKfS2_S2_EEvPKT0_PKT1_PT2_iii15HIP_vector_typeIjLj3EESC_SC_SC_SC_iiiiiiiiiiiDpT3_
	.p2align	8
	.type	_ZL11k_bin_bcastIXadL_ZL6op_mulffEE6__halffS0_JPKfS2_S2_EEvPKT0_PKT1_PT2_iii15HIP_vector_typeIjLj3EESC_SC_SC_SC_iiiiiiiiiiiDpT3_,@function
_ZL11k_bin_bcastIXadL_ZL6op_mulffEE6__halffS0_JPKfS2_S2_EEvPKT0_PKT1_PT2_iii15HIP_vector_typeIjLj3EESC_SC_SC_SC_iiiiiiiiiiiDpT3_: ; @_ZL11k_bin_bcastIXadL_ZL6op_mulffEE6__halffS0_JPKfS2_S2_EEvPKT0_PKT1_PT2_iii15HIP_vector_typeIjLj3EESC_SC_SC_SC_iiiiiiiiiiiDpT3_
; %bb.0:
	s_load_b64 s[2:3], s[0:1], 0xb4
	s_bfe_u32 s5, ttmp6, 0x40014
	s_bfe_u32 s16, ttmp6, 0x40010
	;; [unrolled: 1-line block ×3, first 2 shown]
	s_lshr_b32 s4, ttmp7, 16
	s_add_co_i32 s5, s5, 1
	s_and_b32 s7, ttmp7, 0xffff
	s_load_b256 s[8:15], s[0:1], 0x18
	s_add_co_i32 s16, s16, 1
	s_add_co_i32 s19, s19, 1
	s_bfe_u32 s6, ttmp6, 0x40008
	s_mul_i32 s5, s4, s5
	s_bfe_u32 s17, ttmp6, 0x40004
	s_and_b32 s18, ttmp6, 15
	s_mul_i32 s16, s7, s16
	s_mul_i32 s19, ttmp9, s19
	s_add_co_i32 s6, s6, s5
	s_add_co_i32 s17, s17, s16
	;; [unrolled: 1-line block ×3, first 2 shown]
	v_bfe_u32 v1, v0, 20, 10
	s_wait_kmcnt 0x0
	s_lshr_b32 s5, s2, 16
	s_and_b32 s33, s2, 0xffff
	s_getreg_b32 s2, hwreg(HW_REG_IB_STS2, 6, 4)
	s_and_b32 s3, s3, 0xffff
	s_cmp_eq_u32 s2, 0
	v_and_b32_e32 v2, 0x3ff, v0
	s_cselect_b32 s2, s4, s6
	v_bfe_u32 v4, v0, 10, 10
	v_mad_u32 v3, s2, s3, v1
	s_cselect_b32 s2, ttmp9, s18
	s_cselect_b32 s3, s7, s17
	v_mad_u32 v0, s2, s33, v2
	v_mad_u32 v2, s3, s5, v4
	s_delay_alu instid0(VALU_DEP_3) | instskip(NEXT) | instid1(VALU_DEP_3)
	v_mul_hi_u32 v1, v3, s11
	v_cmp_gt_u32_e32 vcc_lo, s8, v0
	s_delay_alu instid0(VALU_DEP_3) | instskip(SKIP_2) | instid1(VALU_DEP_1)
	v_cmp_gt_u32_e64 s2, s9, v2
	s_and_b32 s2, vcc_lo, s2
	v_add_nc_u32_e32 v1, v3, v1
	v_lshrrev_b32_e32 v1, s12, v1
	s_delay_alu instid0(VALU_DEP_1) | instskip(SKIP_3) | instid1(VALU_DEP_1)
	v_mul_lo_u32 v5, v1, s13
	v_cmp_gt_u32_e64 s3, s10, v1
	s_and_b32 s2, s2, s3
	v_sub_nc_u32_e32 v3, v3, v5
	v_cmp_gt_u32_e64 s4, s13, v3
	s_and_b32 s2, s2, s4
	s_delay_alu instid0(SALU_CYCLE_1)
	s_and_saveexec_b32 s3, s2
	s_cbranch_execz .LBB109_6
; %bb.1:
	v_cmp_gt_i32_e32 vcc_lo, s8, v0
	s_and_b32 exec_lo, exec_lo, vcc_lo
	s_cbranch_execz .LBB109_6
; %bb.2:
	s_clause 0x6
	s_load_b256 s[24:31], s[0:1], 0x3c
	s_load_b32 s2, s[0:1], 0x5c
	s_load_b256 s[16:23], s[0:1], 0x60
	s_load_b96 s[36:38], s[0:1], 0x80
	s_load_b128 s[4:7], s[0:1], 0x90
	s_load_b64 s[10:11], s[0:1], 0x0
	s_load_b64 s[12:13], s[0:1], 0x10
	s_wait_kmcnt 0x0
	v_mul_hi_u32 v4, s30, v3
	v_mul_hi_u32 v5, s27, v1
	;; [unrolled: 1-line block ×3, first 2 shown]
	v_mul_lo_u32 v7, v2, s20
	v_mul_lo_u32 v8, v2, s16
	s_cmp_lg_u64 s[10:11], 0
	s_delay_alu instid0(VALU_DEP_4) | instskip(NEXT) | instid1(VALU_DEP_3)
	v_dual_add_nc_u32 v4, v3, v4 :: v_dual_add_nc_u32 v5, v1, v5
	v_mad_u32 v7, v1, s21, v7
	s_delay_alu instid0(VALU_DEP_3) | instskip(NEXT) | instid1(VALU_DEP_3)
	v_mad_u32 v8, v1, s17, v8
	v_dual_lshrrev_b32 v4, s31, v4 :: v_dual_lshrrev_b32 v5, s28, v5
	s_delay_alu instid0(VALU_DEP_1) | instskip(SKIP_1) | instid1(VALU_DEP_3)
	v_mul_lo_u32 v4, v4, s2
	v_add_nc_u32_e32 v6, v2, v6
	v_mul_lo_u32 v5, v5, s29
	s_add_nc_u64 s[2:3], s[0:1], 0xa8
	s_load_b32 s9, s[2:3], 0x0
	s_load_b32 s16, s[0:1], 0x38
	s_wait_xcnt 0x0
	s_load_b64 s[0:1], s[0:1], 0xa0
	v_mad_u32 v8, v3, s18, v8
	s_mov_b32 s3, 0
	s_mov_b32 s2, s14
	v_dual_sub_nc_u32 v4, v3, v4 :: v_dual_lshrrev_b32 v6, s25, v6
	s_delay_alu instid0(VALU_DEP_3) | instskip(NEXT) | instid1(VALU_DEP_2)
	v_sub_nc_u32_e32 v5, v1, v5
	v_mul_lo_u32 v9, v4, s38
	s_delay_alu instid0(VALU_DEP_3) | instskip(SKIP_4) | instid1(VALU_DEP_4)
	v_mul_lo_u32 v6, v6, s26
	v_mad_u32 v4, v3, s22, v7
	v_mov_b32_e32 v1, 0
	s_wait_kmcnt 0x0
	s_mul_i32 s9, s9, s33
	v_mad_u32 v7, v5, s37, v9
	s_delay_alu instid0(VALU_DEP_4) | instskip(SKIP_3) | instid1(VALU_DEP_2)
	v_sub_nc_u32_e32 v2, v2, v6
	v_mul_lo_u32 v6, s19, v0
	v_dual_mov_b32 v5, v1 :: v_dual_mov_b32 v9, v1
	v_mov_b32_e32 v3, v1
	v_lshl_add_u64 v[4:5], v[4:5], 1, s[10:11]
	s_delay_alu instid0(VALU_DEP_3)
	v_lshl_add_u64 v[8:9], v[8:9], 1, s[12:13]
	s_cselect_b32 s10, -1, 0
	v_mad_u32 v2, v2, s36, v7
	s_mul_i32 s11, s9, s19
	s_sub_co_i32 s12, 0, s16
	s_mov_b32 s13, s3
	s_branch .LBB109_4
.LBB109_3:                              ;   in Loop: Header=BB109_4 Depth=1
	s_wait_xcnt 0x0
	v_mul_u64_e32 v[10:11], s[2:3], v[0:1]
	s_delay_alu instid0(VALU_DEP_1) | instskip(NEXT) | instid1(VALU_DEP_1)
	v_dual_add_nc_u32 v6, s11, v6 :: v_dual_add_nc_u32 v10, v0, v11
	v_dual_mov_b32 v11, v1 :: v_dual_lshrrev_b32 v10, s15, v10
	s_delay_alu instid0(VALU_DEP_1) | instskip(NEXT) | instid1(VALU_DEP_1)
	v_mad_u32 v10, s12, v10, v0
	v_mul_lo_u32 v10, v10, s23
	s_delay_alu instid0(VALU_DEP_1) | instskip(NEXT) | instid1(VALU_DEP_1)
	v_add_nc_u64_e32 v[10:11], v[10:11], v[2:3]
	v_lshlrev_b64_e32 v[10:11], 2, v[10:11]
	s_delay_alu instid0(VALU_DEP_1)
	v_add_nc_u64_e32 v[12:13], s[4:5], v[10:11]
	v_add_nc_u64_e32 v[14:15], s[6:7], v[10:11]
	;; [unrolled: 1-line block ×3, first 2 shown]
	global_load_b32 v12, v[12:13], off
	global_load_b32 v13, v[14:15], off
	;; [unrolled: 1-line block ×3, first 2 shown]
	s_wait_xcnt 0x0
	v_dual_mov_b32 v10, v0 :: v_dual_ashrrev_i32 v11, 31, v0
	s_delay_alu instid0(VALU_DEP_1) | instskip(SKIP_3) | instid1(VALU_DEP_1)
	v_lshl_add_u64 v[10:11], v[10:11], 1, v[8:9]
	s_wait_loadcnt 0x2
	v_mul_f32_e32 v7, v7, v12
	s_wait_loadcnt 0x1
	v_dual_mul_f32 v7, v7, v13 :: v_dual_add_nc_u32 v0, s9, v0
	s_delay_alu instid0(VALU_DEP_1) | instskip(SKIP_1) | instid1(VALU_DEP_2)
	v_cmp_le_i32_e32 vcc_lo, s8, v0
	s_wait_loadcnt 0x0
	v_fma_mixlo_f16 v7, v7, v16, 0
	s_or_b32 s13, vcc_lo, s13
	global_store_b16 v[10:11], v7, off
	s_wait_xcnt 0x0
	s_and_not1_b32 exec_lo, exec_lo, s13
	s_cbranch_execz .LBB109_6
.LBB109_4:                              ; =>This Inner Loop Header: Depth=1
	v_mov_b32_e32 v7, 0
	s_and_not1_b32 vcc_lo, exec_lo, s10
	s_cbranch_vccnz .LBB109_3
; %bb.5:                                ;   in Loop: Header=BB109_4 Depth=1
	v_ashrrev_i32_e32 v7, 31, v6
	s_delay_alu instid0(VALU_DEP_1)
	v_lshl_add_u64 v[10:11], v[6:7], 1, v[4:5]
	global_load_u16 v7, v[10:11], off
	s_wait_loadcnt 0x0
	v_cvt_f32_f16_e32 v7, v7
	s_branch .LBB109_3
.LBB109_6:
	s_endpgm
	.section	.rodata,"a",@progbits
	.p2align	6, 0x0
	.amdhsa_kernel _ZL11k_bin_bcastIXadL_ZL6op_mulffEE6__halffS0_JPKfS2_S2_EEvPKT0_PKT1_PT2_iii15HIP_vector_typeIjLj3EESC_SC_SC_SC_iiiiiiiiiiiDpT3_
		.amdhsa_group_segment_fixed_size 0
		.amdhsa_private_segment_fixed_size 0
		.amdhsa_kernarg_size 424
		.amdhsa_user_sgpr_count 2
		.amdhsa_user_sgpr_dispatch_ptr 0
		.amdhsa_user_sgpr_queue_ptr 0
		.amdhsa_user_sgpr_kernarg_segment_ptr 1
		.amdhsa_user_sgpr_dispatch_id 0
		.amdhsa_user_sgpr_kernarg_preload_length 0
		.amdhsa_user_sgpr_kernarg_preload_offset 0
		.amdhsa_user_sgpr_private_segment_size 0
		.amdhsa_wavefront_size32 1
		.amdhsa_uses_dynamic_stack 0
		.amdhsa_enable_private_segment 0
		.amdhsa_system_sgpr_workgroup_id_x 1
		.amdhsa_system_sgpr_workgroup_id_y 1
		.amdhsa_system_sgpr_workgroup_id_z 1
		.amdhsa_system_sgpr_workgroup_info 0
		.amdhsa_system_vgpr_workitem_id 2
		.amdhsa_next_free_vgpr 17
		.amdhsa_next_free_sgpr 39
		.amdhsa_named_barrier_count 0
		.amdhsa_reserve_vcc 1
		.amdhsa_float_round_mode_32 0
		.amdhsa_float_round_mode_16_64 0
		.amdhsa_float_denorm_mode_32 3
		.amdhsa_float_denorm_mode_16_64 3
		.amdhsa_fp16_overflow 0
		.amdhsa_memory_ordered 1
		.amdhsa_forward_progress 1
		.amdhsa_inst_pref_size 8
		.amdhsa_round_robin_scheduling 0
		.amdhsa_exception_fp_ieee_invalid_op 0
		.amdhsa_exception_fp_denorm_src 0
		.amdhsa_exception_fp_ieee_div_zero 0
		.amdhsa_exception_fp_ieee_overflow 0
		.amdhsa_exception_fp_ieee_underflow 0
		.amdhsa_exception_fp_ieee_inexact 0
		.amdhsa_exception_int_div_zero 0
	.end_amdhsa_kernel
	.section	.text._ZL11k_bin_bcastIXadL_ZL6op_mulffEE6__halffS0_JPKfS2_S2_EEvPKT0_PKT1_PT2_iii15HIP_vector_typeIjLj3EESC_SC_SC_SC_iiiiiiiiiiiDpT3_,"axG",@progbits,_ZL11k_bin_bcastIXadL_ZL6op_mulffEE6__halffS0_JPKfS2_S2_EEvPKT0_PKT1_PT2_iii15HIP_vector_typeIjLj3EESC_SC_SC_SC_iiiiiiiiiiiDpT3_,comdat
.Lfunc_end109:
	.size	_ZL11k_bin_bcastIXadL_ZL6op_mulffEE6__halffS0_JPKfS2_S2_EEvPKT0_PKT1_PT2_iii15HIP_vector_typeIjLj3EESC_SC_SC_SC_iiiiiiiiiiiDpT3_, .Lfunc_end109-_ZL11k_bin_bcastIXadL_ZL6op_mulffEE6__halffS0_JPKfS2_S2_EEvPKT0_PKT1_PT2_iii15HIP_vector_typeIjLj3EESC_SC_SC_SC_iiiiiiiiiiiDpT3_
                                        ; -- End function
	.set _ZL11k_bin_bcastIXadL_ZL6op_mulffEE6__halffS0_JPKfS2_S2_EEvPKT0_PKT1_PT2_iii15HIP_vector_typeIjLj3EESC_SC_SC_SC_iiiiiiiiiiiDpT3_.num_vgpr, 17
	.set _ZL11k_bin_bcastIXadL_ZL6op_mulffEE6__halffS0_JPKfS2_S2_EEvPKT0_PKT1_PT2_iii15HIP_vector_typeIjLj3EESC_SC_SC_SC_iiiiiiiiiiiDpT3_.num_agpr, 0
	.set _ZL11k_bin_bcastIXadL_ZL6op_mulffEE6__halffS0_JPKfS2_S2_EEvPKT0_PKT1_PT2_iii15HIP_vector_typeIjLj3EESC_SC_SC_SC_iiiiiiiiiiiDpT3_.numbered_sgpr, 39
	.set _ZL11k_bin_bcastIXadL_ZL6op_mulffEE6__halffS0_JPKfS2_S2_EEvPKT0_PKT1_PT2_iii15HIP_vector_typeIjLj3EESC_SC_SC_SC_iiiiiiiiiiiDpT3_.num_named_barrier, 0
	.set _ZL11k_bin_bcastIXadL_ZL6op_mulffEE6__halffS0_JPKfS2_S2_EEvPKT0_PKT1_PT2_iii15HIP_vector_typeIjLj3EESC_SC_SC_SC_iiiiiiiiiiiDpT3_.private_seg_size, 0
	.set _ZL11k_bin_bcastIXadL_ZL6op_mulffEE6__halffS0_JPKfS2_S2_EEvPKT0_PKT1_PT2_iii15HIP_vector_typeIjLj3EESC_SC_SC_SC_iiiiiiiiiiiDpT3_.uses_vcc, 1
	.set _ZL11k_bin_bcastIXadL_ZL6op_mulffEE6__halffS0_JPKfS2_S2_EEvPKT0_PKT1_PT2_iii15HIP_vector_typeIjLj3EESC_SC_SC_SC_iiiiiiiiiiiDpT3_.uses_flat_scratch, 0
	.set _ZL11k_bin_bcastIXadL_ZL6op_mulffEE6__halffS0_JPKfS2_S2_EEvPKT0_PKT1_PT2_iii15HIP_vector_typeIjLj3EESC_SC_SC_SC_iiiiiiiiiiiDpT3_.has_dyn_sized_stack, 0
	.set _ZL11k_bin_bcastIXadL_ZL6op_mulffEE6__halffS0_JPKfS2_S2_EEvPKT0_PKT1_PT2_iii15HIP_vector_typeIjLj3EESC_SC_SC_SC_iiiiiiiiiiiDpT3_.has_recursion, 0
	.set _ZL11k_bin_bcastIXadL_ZL6op_mulffEE6__halffS0_JPKfS2_S2_EEvPKT0_PKT1_PT2_iii15HIP_vector_typeIjLj3EESC_SC_SC_SC_iiiiiiiiiiiDpT3_.has_indirect_call, 0
	.section	.AMDGPU.csdata,"",@progbits
; Kernel info:
; codeLenInByte = 948
; TotalNumSgprs: 41
; NumVgprs: 17
; ScratchSize: 0
; MemoryBound: 0
; FloatMode: 240
; IeeeMode: 1
; LDSByteSize: 0 bytes/workgroup (compile time only)
; SGPRBlocks: 0
; VGPRBlocks: 1
; NumSGPRsForWavesPerEU: 41
; NumVGPRsForWavesPerEU: 17
; NamedBarCnt: 0
; Occupancy: 16
; WaveLimiterHint : 1
; COMPUTE_PGM_RSRC2:SCRATCH_EN: 0
; COMPUTE_PGM_RSRC2:USER_SGPR: 2
; COMPUTE_PGM_RSRC2:TRAP_HANDLER: 0
; COMPUTE_PGM_RSRC2:TGID_X_EN: 1
; COMPUTE_PGM_RSRC2:TGID_Y_EN: 1
; COMPUTE_PGM_RSRC2:TGID_Z_EN: 1
; COMPUTE_PGM_RSRC2:TIDIG_COMP_CNT: 2
	.section	.text._ZL19k_bin_bcast_unravelIXadL_ZL6op_mulffEE6__halfffJPKfS2_S2_EEvPKT0_PKT1_PT2_15HIP_vector_typeIjLj3EESC_SC_jSC_SC_SC_SC_SC_SC_iiiiiiiiiiiDpT3_,"axG",@progbits,_ZL19k_bin_bcast_unravelIXadL_ZL6op_mulffEE6__halfffJPKfS2_S2_EEvPKT0_PKT1_PT2_15HIP_vector_typeIjLj3EESC_SC_jSC_SC_SC_SC_SC_SC_iiiiiiiiiiiDpT3_,comdat
	.globl	_ZL19k_bin_bcast_unravelIXadL_ZL6op_mulffEE6__halfffJPKfS2_S2_EEvPKT0_PKT1_PT2_15HIP_vector_typeIjLj3EESC_SC_jSC_SC_SC_SC_SC_SC_iiiiiiiiiiiDpT3_ ; -- Begin function _ZL19k_bin_bcast_unravelIXadL_ZL6op_mulffEE6__halfffJPKfS2_S2_EEvPKT0_PKT1_PT2_15HIP_vector_typeIjLj3EESC_SC_jSC_SC_SC_SC_SC_SC_iiiiiiiiiiiDpT3_
	.p2align	8
	.type	_ZL19k_bin_bcast_unravelIXadL_ZL6op_mulffEE6__halfffJPKfS2_S2_EEvPKT0_PKT1_PT2_15HIP_vector_typeIjLj3EESC_SC_jSC_SC_SC_SC_SC_SC_iiiiiiiiiiiDpT3_,@function
_ZL19k_bin_bcast_unravelIXadL_ZL6op_mulffEE6__halfffJPKfS2_S2_EEvPKT0_PKT1_PT2_15HIP_vector_typeIjLj3EESC_SC_jSC_SC_SC_SC_SC_SC_iiiiiiiiiiiDpT3_: ; @_ZL19k_bin_bcast_unravelIXadL_ZL6op_mulffEE6__halfffJPKfS2_S2_EEvPKT0_PKT1_PT2_15HIP_vector_typeIjLj3EESC_SC_jSC_SC_SC_SC_SC_SC_iiiiiiiiiiiDpT3_
; %bb.0:
	s_load_b32 s2, s[0:1], 0xdc
	s_bfe_u32 s3, ttmp6, 0x4000c
	s_load_b256 s[4:11], s[0:1], 0x38
	s_add_co_i32 s3, s3, 1
	s_and_b32 s12, ttmp6, 15
	s_mul_i32 s3, ttmp9, s3
	s_getreg_b32 s13, hwreg(HW_REG_IB_STS2, 6, 4)
	s_add_co_i32 s12, s12, s3
	s_wait_kmcnt 0x0
	s_and_b32 s2, s2, 0xffff
	s_cmp_eq_u32 s13, 0
	s_cselect_b32 s3, ttmp9, s12
	s_delay_alu instid0(SALU_CYCLE_1) | instskip(SKIP_1) | instid1(VALU_DEP_1)
	v_mad_u32 v0, s3, s2, v0
	s_load_b32 s2, s[0:1], 0x2c
	v_mul_hi_u32 v1, v0, s6
	s_delay_alu instid0(VALU_DEP_1) | instskip(NEXT) | instid1(VALU_DEP_1)
	v_add_nc_u32_e32 v1, v0, v1
	v_lshrrev_b32_e32 v1, s7, v1
	s_delay_alu instid0(VALU_DEP_1) | instskip(NEXT) | instid1(VALU_DEP_1)
	v_mul_lo_u32 v2, v1, s8
	v_sub_nc_u32_e32 v0, v0, v2
	s_delay_alu instid0(VALU_DEP_1) | instskip(NEXT) | instid1(VALU_DEP_1)
	v_mul_hi_u32 v2, v0, s9
	v_add_nc_u32_e32 v2, v0, v2
	s_delay_alu instid0(VALU_DEP_1) | instskip(SKIP_1) | instid1(VALU_DEP_1)
	v_lshrrev_b32_e32 v2, s10, v2
	s_load_b96 s[8:10], s[0:1], 0x18
	v_mul_lo_u32 v3, v2, s11
	s_delay_alu instid0(VALU_DEP_1) | instskip(SKIP_3) | instid1(VALU_DEP_3)
	v_sub_nc_u32_e32 v0, v0, v3
	v_cmp_gt_u32_e64 s3, s4, v2
	v_cmp_gt_u32_e64 s4, s5, v1
	s_wait_kmcnt 0x0
	v_mul_hi_u32 v3, v0, s8
	s_delay_alu instid0(VALU_DEP_1) | instskip(NEXT) | instid1(VALU_DEP_1)
	v_add_nc_u32_e32 v3, v0, v3
	v_lshrrev_b32_e32 v4, s9, v3
	s_delay_alu instid0(VALU_DEP_1) | instskip(NEXT) | instid1(VALU_DEP_1)
	v_mul_lo_u32 v3, v4, s10
	v_sub_nc_u32_e32 v0, v0, v3
	v_cmp_gt_u32_e64 s2, s2, v4
	s_delay_alu instid0(VALU_DEP_2) | instskip(SKIP_1) | instid1(SALU_CYCLE_1)
	v_cmp_gt_u32_e32 vcc_lo, s10, v0
	s_and_b32 s2, vcc_lo, s2
	s_and_b32 s2, s2, s3
	s_delay_alu instid0(SALU_CYCLE_1) | instskip(NEXT) | instid1(SALU_CYCLE_1)
	s_and_b32 s2, s4, s2
	s_and_saveexec_b32 s3, s2
	s_cbranch_execz .LBB110_4
; %bb.1:
	s_clause 0x4
	s_load_b64 s[2:3], s[0:1], 0x0
	s_load_b96 s[24:26], s[0:1], 0xa8
	s_load_b256 s[4:11], s[0:1], 0x88
	s_load_b128 s[20:23], s[0:1], 0x78
	s_load_b256 s[12:19], s[0:1], 0x58
	v_dual_mov_b32 v3, 0 :: v_dual_mov_b32 v5, 0
	s_wait_kmcnt 0x0
	s_cmp_eq_u64 s[2:3], 0
	s_cbranch_scc1 .LBB110_3
; %bb.2:
	v_mul_lo_u32 v5, v1, s10
	v_mov_b32_e32 v7, 0
	s_delay_alu instid0(VALU_DEP_2) | instskip(NEXT) | instid1(VALU_DEP_1)
	v_mad_u32 v5, v2, s9, v5
	v_mad_u32 v6, v4, s8, v5
	s_delay_alu instid0(VALU_DEP_1) | instskip(SKIP_1) | instid1(VALU_DEP_1)
	v_lshl_add_u64 v[8:9], v[6:7], 1, s[2:3]
	v_mul_lo_u32 v6, v0, s7
	v_lshl_add_u64 v[6:7], v[6:7], 1, v[8:9]
	global_load_u16 v5, v[6:7], off
	s_wait_loadcnt 0x0
	v_cvt_f32_f16_e32 v5, v5
.LBB110_3:
	v_mul_hi_u32 v6, s21, v1
	v_mul_hi_u32 v7, s18, v2
	;; [unrolled: 1-line block ×4, first 2 shown]
	s_load_b64 s[2:3], s[0:1], 0xc8
	s_delay_alu instid0(VALU_DEP_3) | instskip(NEXT) | instid1(VALU_DEP_1)
	v_dual_add_nc_u32 v6, v1, v6 :: v_dual_add_nc_u32 v7, v2, v7
	v_dual_lshrrev_b32 v6, s22, v6 :: v_dual_lshrrev_b32 v7, s19, v7
	s_delay_alu instid0(VALU_DEP_1) | instskip(SKIP_1) | instid1(VALU_DEP_3)
	v_mul_lo_u32 v6, v6, s23
	v_add_nc_u32_e32 v8, v4, v8
	v_mul_lo_u32 v7, v7, s20
	s_delay_alu instid0(VALU_DEP_3) | instskip(NEXT) | instid1(VALU_DEP_2)
	v_dual_sub_nc_u32 v6, v1, v6 :: v_dual_add_nc_u32 v9, v0, v9
	v_dual_lshrrev_b32 v8, s16, v8 :: v_dual_sub_nc_u32 v7, v2, v7
	v_mul_lo_u32 v1, v1, s6
	s_delay_alu instid0(VALU_DEP_3) | instskip(NEXT) | instid1(VALU_DEP_4)
	v_mul_lo_u32 v6, v6, s26
	v_lshrrev_b32_e32 v9, s13, v9
	s_delay_alu instid0(VALU_DEP_4) | instskip(NEXT) | instid1(VALU_DEP_2)
	v_mul_lo_u32 v8, v8, s17
	v_mul_lo_u32 v9, v9, s14
	v_mad_u32 v1, v2, s5, v1
	v_mad_u32 v7, v7, s25, v6
	s_delay_alu instid0(VALU_DEP_4) | instskip(NEXT) | instid1(VALU_DEP_3)
	v_sub_nc_u32_e32 v8, v4, v8
	v_mad_u32 v2, v4, s4, v1
	s_delay_alu instid0(VALU_DEP_2) | instskip(SKIP_1) | instid1(VALU_DEP_2)
	v_mad_u32 v8, v8, s24, v7
	v_dual_mov_b32 v1, v3 :: v_dual_sub_nc_u32 v6, v0, v9
	v_ashrrev_i32_e32 v9, 31, v8
	s_delay_alu instid0(VALU_DEP_2) | instskip(SKIP_1) | instid1(VALU_DEP_1)
	v_mul_lo_u32 v6, v6, s11
	s_load_b128 s[8:11], s[0:1], 0xb8
	v_ashrrev_i32_e32 v7, 31, v6
	s_wait_xcnt 0x0
	s_load_b64 s[0:1], s[0:1], 0x10
	s_delay_alu instid0(VALU_DEP_1) | instskip(NEXT) | instid1(VALU_DEP_1)
	v_add_nc_u64_e32 v[6:7], v[6:7], v[8:9]
	v_lshlrev_b64_e32 v[6:7], 2, v[6:7]
	s_wait_kmcnt 0x0
	s_delay_alu instid0(VALU_DEP_1)
	v_add_nc_u64_e32 v[8:9], s[8:9], v[6:7]
	v_add_nc_u64_e32 v[10:11], s[10:11], v[6:7]
	;; [unrolled: 1-line block ×3, first 2 shown]
	v_lshl_add_u64 v[2:3], v[2:3], 2, s[0:1]
	global_load_b32 v8, v[8:9], off
	global_load_b32 v9, v[10:11], off
	;; [unrolled: 1-line block ×3, first 2 shown]
	v_lshl_add_u64 v[0:1], v[0:1], 2, v[2:3]
	s_wait_loadcnt 0x2
	v_mul_f32_e32 v4, v5, v8
	s_wait_loadcnt 0x1
	s_delay_alu instid0(VALU_DEP_1) | instskip(SKIP_1) | instid1(VALU_DEP_1)
	v_mul_f32_e32 v4, v4, v9
	s_wait_loadcnt 0x0
	v_mul_f32_e32 v4, v4, v12
	global_store_b32 v[0:1], v4, off
.LBB110_4:
	s_endpgm
	.section	.rodata,"a",@progbits
	.p2align	6, 0x0
	.amdhsa_kernel _ZL19k_bin_bcast_unravelIXadL_ZL6op_mulffEE6__halfffJPKfS2_S2_EEvPKT0_PKT1_PT2_15HIP_vector_typeIjLj3EESC_SC_jSC_SC_SC_SC_SC_SC_iiiiiiiiiiiDpT3_
		.amdhsa_group_segment_fixed_size 0
		.amdhsa_private_segment_fixed_size 0
		.amdhsa_kernarg_size 464
		.amdhsa_user_sgpr_count 2
		.amdhsa_user_sgpr_dispatch_ptr 0
		.amdhsa_user_sgpr_queue_ptr 0
		.amdhsa_user_sgpr_kernarg_segment_ptr 1
		.amdhsa_user_sgpr_dispatch_id 0
		.amdhsa_user_sgpr_kernarg_preload_length 0
		.amdhsa_user_sgpr_kernarg_preload_offset 0
		.amdhsa_user_sgpr_private_segment_size 0
		.amdhsa_wavefront_size32 1
		.amdhsa_uses_dynamic_stack 0
		.amdhsa_enable_private_segment 0
		.amdhsa_system_sgpr_workgroup_id_x 1
		.amdhsa_system_sgpr_workgroup_id_y 0
		.amdhsa_system_sgpr_workgroup_id_z 0
		.amdhsa_system_sgpr_workgroup_info 0
		.amdhsa_system_vgpr_workitem_id 0
		.amdhsa_next_free_vgpr 13
		.amdhsa_next_free_sgpr 27
		.amdhsa_named_barrier_count 0
		.amdhsa_reserve_vcc 1
		.amdhsa_float_round_mode_32 0
		.amdhsa_float_round_mode_16_64 0
		.amdhsa_float_denorm_mode_32 3
		.amdhsa_float_denorm_mode_16_64 3
		.amdhsa_fp16_overflow 0
		.amdhsa_memory_ordered 1
		.amdhsa_forward_progress 1
		.amdhsa_inst_pref_size 7
		.amdhsa_round_robin_scheduling 0
		.amdhsa_exception_fp_ieee_invalid_op 0
		.amdhsa_exception_fp_denorm_src 0
		.amdhsa_exception_fp_ieee_div_zero 0
		.amdhsa_exception_fp_ieee_overflow 0
		.amdhsa_exception_fp_ieee_underflow 0
		.amdhsa_exception_fp_ieee_inexact 0
		.amdhsa_exception_int_div_zero 0
	.end_amdhsa_kernel
	.section	.text._ZL19k_bin_bcast_unravelIXadL_ZL6op_mulffEE6__halfffJPKfS2_S2_EEvPKT0_PKT1_PT2_15HIP_vector_typeIjLj3EESC_SC_jSC_SC_SC_SC_SC_SC_iiiiiiiiiiiDpT3_,"axG",@progbits,_ZL19k_bin_bcast_unravelIXadL_ZL6op_mulffEE6__halfffJPKfS2_S2_EEvPKT0_PKT1_PT2_15HIP_vector_typeIjLj3EESC_SC_jSC_SC_SC_SC_SC_SC_iiiiiiiiiiiDpT3_,comdat
.Lfunc_end110:
	.size	_ZL19k_bin_bcast_unravelIXadL_ZL6op_mulffEE6__halfffJPKfS2_S2_EEvPKT0_PKT1_PT2_15HIP_vector_typeIjLj3EESC_SC_jSC_SC_SC_SC_SC_SC_iiiiiiiiiiiDpT3_, .Lfunc_end110-_ZL19k_bin_bcast_unravelIXadL_ZL6op_mulffEE6__halfffJPKfS2_S2_EEvPKT0_PKT1_PT2_15HIP_vector_typeIjLj3EESC_SC_jSC_SC_SC_SC_SC_SC_iiiiiiiiiiiDpT3_
                                        ; -- End function
	.set _ZL19k_bin_bcast_unravelIXadL_ZL6op_mulffEE6__halfffJPKfS2_S2_EEvPKT0_PKT1_PT2_15HIP_vector_typeIjLj3EESC_SC_jSC_SC_SC_SC_SC_SC_iiiiiiiiiiiDpT3_.num_vgpr, 13
	.set _ZL19k_bin_bcast_unravelIXadL_ZL6op_mulffEE6__halfffJPKfS2_S2_EEvPKT0_PKT1_PT2_15HIP_vector_typeIjLj3EESC_SC_jSC_SC_SC_SC_SC_SC_iiiiiiiiiiiDpT3_.num_agpr, 0
	.set _ZL19k_bin_bcast_unravelIXadL_ZL6op_mulffEE6__halfffJPKfS2_S2_EEvPKT0_PKT1_PT2_15HIP_vector_typeIjLj3EESC_SC_jSC_SC_SC_SC_SC_SC_iiiiiiiiiiiDpT3_.numbered_sgpr, 27
	.set _ZL19k_bin_bcast_unravelIXadL_ZL6op_mulffEE6__halfffJPKfS2_S2_EEvPKT0_PKT1_PT2_15HIP_vector_typeIjLj3EESC_SC_jSC_SC_SC_SC_SC_SC_iiiiiiiiiiiDpT3_.num_named_barrier, 0
	.set _ZL19k_bin_bcast_unravelIXadL_ZL6op_mulffEE6__halfffJPKfS2_S2_EEvPKT0_PKT1_PT2_15HIP_vector_typeIjLj3EESC_SC_jSC_SC_SC_SC_SC_SC_iiiiiiiiiiiDpT3_.private_seg_size, 0
	.set _ZL19k_bin_bcast_unravelIXadL_ZL6op_mulffEE6__halfffJPKfS2_S2_EEvPKT0_PKT1_PT2_15HIP_vector_typeIjLj3EESC_SC_jSC_SC_SC_SC_SC_SC_iiiiiiiiiiiDpT3_.uses_vcc, 1
	.set _ZL19k_bin_bcast_unravelIXadL_ZL6op_mulffEE6__halfffJPKfS2_S2_EEvPKT0_PKT1_PT2_15HIP_vector_typeIjLj3EESC_SC_jSC_SC_SC_SC_SC_SC_iiiiiiiiiiiDpT3_.uses_flat_scratch, 0
	.set _ZL19k_bin_bcast_unravelIXadL_ZL6op_mulffEE6__halfffJPKfS2_S2_EEvPKT0_PKT1_PT2_15HIP_vector_typeIjLj3EESC_SC_jSC_SC_SC_SC_SC_SC_iiiiiiiiiiiDpT3_.has_dyn_sized_stack, 0
	.set _ZL19k_bin_bcast_unravelIXadL_ZL6op_mulffEE6__halfffJPKfS2_S2_EEvPKT0_PKT1_PT2_15HIP_vector_typeIjLj3EESC_SC_jSC_SC_SC_SC_SC_SC_iiiiiiiiiiiDpT3_.has_recursion, 0
	.set _ZL19k_bin_bcast_unravelIXadL_ZL6op_mulffEE6__halfffJPKfS2_S2_EEvPKT0_PKT1_PT2_15HIP_vector_typeIjLj3EESC_SC_jSC_SC_SC_SC_SC_SC_iiiiiiiiiiiDpT3_.has_indirect_call, 0
	.section	.AMDGPU.csdata,"",@progbits
; Kernel info:
; codeLenInByte = 796
; TotalNumSgprs: 29
; NumVgprs: 13
; ScratchSize: 0
; MemoryBound: 0
; FloatMode: 240
; IeeeMode: 1
; LDSByteSize: 0 bytes/workgroup (compile time only)
; SGPRBlocks: 0
; VGPRBlocks: 0
; NumSGPRsForWavesPerEU: 29
; NumVGPRsForWavesPerEU: 13
; NamedBarCnt: 0
; Occupancy: 16
; WaveLimiterHint : 1
; COMPUTE_PGM_RSRC2:SCRATCH_EN: 0
; COMPUTE_PGM_RSRC2:USER_SGPR: 2
; COMPUTE_PGM_RSRC2:TRAP_HANDLER: 0
; COMPUTE_PGM_RSRC2:TGID_X_EN: 1
; COMPUTE_PGM_RSRC2:TGID_Y_EN: 0
; COMPUTE_PGM_RSRC2:TGID_Z_EN: 0
; COMPUTE_PGM_RSRC2:TIDIG_COMP_CNT: 0
	.section	.text._ZL11k_bin_bcastIXadL_ZL6op_mulffEE6__halfffJPKfS2_S2_EEvPKT0_PKT1_PT2_iii15HIP_vector_typeIjLj3EESC_SC_SC_SC_iiiiiiiiiiiDpT3_,"axG",@progbits,_ZL11k_bin_bcastIXadL_ZL6op_mulffEE6__halfffJPKfS2_S2_EEvPKT0_PKT1_PT2_iii15HIP_vector_typeIjLj3EESC_SC_SC_SC_iiiiiiiiiiiDpT3_,comdat
	.globl	_ZL11k_bin_bcastIXadL_ZL6op_mulffEE6__halfffJPKfS2_S2_EEvPKT0_PKT1_PT2_iii15HIP_vector_typeIjLj3EESC_SC_SC_SC_iiiiiiiiiiiDpT3_ ; -- Begin function _ZL11k_bin_bcastIXadL_ZL6op_mulffEE6__halfffJPKfS2_S2_EEvPKT0_PKT1_PT2_iii15HIP_vector_typeIjLj3EESC_SC_SC_SC_iiiiiiiiiiiDpT3_
	.p2align	8
	.type	_ZL11k_bin_bcastIXadL_ZL6op_mulffEE6__halfffJPKfS2_S2_EEvPKT0_PKT1_PT2_iii15HIP_vector_typeIjLj3EESC_SC_SC_SC_iiiiiiiiiiiDpT3_,@function
_ZL11k_bin_bcastIXadL_ZL6op_mulffEE6__halfffJPKfS2_S2_EEvPKT0_PKT1_PT2_iii15HIP_vector_typeIjLj3EESC_SC_SC_SC_iiiiiiiiiiiDpT3_: ; @_ZL11k_bin_bcastIXadL_ZL6op_mulffEE6__halfffJPKfS2_S2_EEvPKT0_PKT1_PT2_iii15HIP_vector_typeIjLj3EESC_SC_SC_SC_iiiiiiiiiiiDpT3_
; %bb.0:
	s_load_b64 s[2:3], s[0:1], 0xb4
	s_bfe_u32 s5, ttmp6, 0x40014
	s_bfe_u32 s16, ttmp6, 0x40010
	;; [unrolled: 1-line block ×3, first 2 shown]
	s_lshr_b32 s4, ttmp7, 16
	s_add_co_i32 s5, s5, 1
	s_and_b32 s7, ttmp7, 0xffff
	s_load_b256 s[8:15], s[0:1], 0x18
	s_add_co_i32 s16, s16, 1
	s_add_co_i32 s19, s19, 1
	s_bfe_u32 s6, ttmp6, 0x40008
	s_mul_i32 s5, s4, s5
	s_bfe_u32 s17, ttmp6, 0x40004
	s_and_b32 s18, ttmp6, 15
	s_mul_i32 s16, s7, s16
	s_mul_i32 s19, ttmp9, s19
	s_add_co_i32 s6, s6, s5
	s_add_co_i32 s17, s17, s16
	;; [unrolled: 1-line block ×3, first 2 shown]
	v_bfe_u32 v1, v0, 20, 10
	s_wait_kmcnt 0x0
	s_lshr_b32 s5, s2, 16
	s_and_b32 s33, s2, 0xffff
	s_getreg_b32 s2, hwreg(HW_REG_IB_STS2, 6, 4)
	s_and_b32 s3, s3, 0xffff
	s_cmp_eq_u32 s2, 0
	v_and_b32_e32 v2, 0x3ff, v0
	s_cselect_b32 s2, s4, s6
	v_bfe_u32 v4, v0, 10, 10
	v_mad_u32 v3, s2, s3, v1
	s_cselect_b32 s2, ttmp9, s18
	s_cselect_b32 s3, s7, s17
	v_mad_u32 v0, s2, s33, v2
	v_mad_u32 v2, s3, s5, v4
	s_delay_alu instid0(VALU_DEP_3) | instskip(NEXT) | instid1(VALU_DEP_3)
	v_mul_hi_u32 v1, v3, s11
	v_cmp_gt_u32_e32 vcc_lo, s8, v0
	s_delay_alu instid0(VALU_DEP_3) | instskip(SKIP_2) | instid1(VALU_DEP_1)
	v_cmp_gt_u32_e64 s2, s9, v2
	s_and_b32 s2, vcc_lo, s2
	v_add_nc_u32_e32 v1, v3, v1
	v_lshrrev_b32_e32 v1, s12, v1
	s_delay_alu instid0(VALU_DEP_1) | instskip(SKIP_3) | instid1(VALU_DEP_1)
	v_mul_lo_u32 v5, v1, s13
	v_cmp_gt_u32_e64 s3, s10, v1
	s_and_b32 s2, s2, s3
	v_sub_nc_u32_e32 v3, v3, v5
	v_cmp_gt_u32_e64 s4, s13, v3
	s_and_b32 s2, s2, s4
	s_delay_alu instid0(SALU_CYCLE_1)
	s_and_saveexec_b32 s3, s2
	s_cbranch_execz .LBB111_6
; %bb.1:
	v_cmp_gt_i32_e32 vcc_lo, s8, v0
	s_and_b32 exec_lo, exec_lo, vcc_lo
	s_cbranch_execz .LBB111_6
; %bb.2:
	s_clause 0x6
	s_load_b256 s[24:31], s[0:1], 0x3c
	s_load_b32 s2, s[0:1], 0x5c
	s_load_b256 s[16:23], s[0:1], 0x60
	s_load_b96 s[36:38], s[0:1], 0x80
	s_load_b128 s[4:7], s[0:1], 0x90
	s_load_b64 s[10:11], s[0:1], 0x0
	s_load_b64 s[12:13], s[0:1], 0x10
	s_wait_kmcnt 0x0
	v_mul_hi_u32 v4, s30, v3
	v_mul_hi_u32 v5, s27, v1
	;; [unrolled: 1-line block ×3, first 2 shown]
	v_mul_lo_u32 v7, v2, s20
	v_mul_lo_u32 v8, v2, s16
	s_cmp_lg_u64 s[10:11], 0
	s_delay_alu instid0(VALU_DEP_4) | instskip(NEXT) | instid1(VALU_DEP_3)
	v_dual_add_nc_u32 v4, v3, v4 :: v_dual_add_nc_u32 v5, v1, v5
	v_mad_u32 v7, v1, s21, v7
	s_delay_alu instid0(VALU_DEP_3) | instskip(NEXT) | instid1(VALU_DEP_3)
	v_mad_u32 v8, v1, s17, v8
	v_dual_lshrrev_b32 v4, s31, v4 :: v_dual_lshrrev_b32 v5, s28, v5
	s_delay_alu instid0(VALU_DEP_1) | instskip(SKIP_1) | instid1(VALU_DEP_3)
	v_mul_lo_u32 v4, v4, s2
	v_add_nc_u32_e32 v6, v2, v6
	v_mul_lo_u32 v5, v5, s29
	s_add_nc_u64 s[2:3], s[0:1], 0xa8
	s_load_b32 s9, s[2:3], 0x0
	s_load_b32 s16, s[0:1], 0x38
	s_wait_xcnt 0x0
	s_load_b64 s[0:1], s[0:1], 0xa0
	v_mad_u32 v8, v3, s18, v8
	s_mov_b32 s3, 0
	s_mov_b32 s2, s14
	v_dual_sub_nc_u32 v4, v3, v4 :: v_dual_lshrrev_b32 v6, s25, v6
	s_delay_alu instid0(VALU_DEP_3) | instskip(NEXT) | instid1(VALU_DEP_2)
	v_sub_nc_u32_e32 v5, v1, v5
	v_mul_lo_u32 v9, v4, s38
	s_delay_alu instid0(VALU_DEP_3) | instskip(SKIP_4) | instid1(VALU_DEP_4)
	v_mul_lo_u32 v6, v6, s26
	v_mad_u32 v4, v3, s22, v7
	v_mov_b32_e32 v1, 0
	s_wait_kmcnt 0x0
	s_mul_i32 s9, s9, s33
	v_mad_u32 v7, v5, s37, v9
	s_delay_alu instid0(VALU_DEP_4) | instskip(SKIP_3) | instid1(VALU_DEP_2)
	v_sub_nc_u32_e32 v2, v2, v6
	v_mul_lo_u32 v6, s19, v0
	v_dual_mov_b32 v5, v1 :: v_dual_mov_b32 v9, v1
	v_mov_b32_e32 v3, v1
	v_lshl_add_u64 v[4:5], v[4:5], 1, s[10:11]
	s_delay_alu instid0(VALU_DEP_3)
	v_lshl_add_u64 v[8:9], v[8:9], 2, s[12:13]
	s_cselect_b32 s10, -1, 0
	v_mad_u32 v2, v2, s36, v7
	s_mul_i32 s11, s9, s19
	s_sub_co_i32 s12, 0, s16
	s_mov_b32 s13, s3
	s_branch .LBB111_4
.LBB111_3:                              ;   in Loop: Header=BB111_4 Depth=1
	s_wait_xcnt 0x0
	v_mul_u64_e32 v[10:11], s[2:3], v[0:1]
	s_delay_alu instid0(VALU_DEP_1) | instskip(NEXT) | instid1(VALU_DEP_1)
	v_dual_add_nc_u32 v6, s11, v6 :: v_dual_add_nc_u32 v10, v0, v11
	v_dual_mov_b32 v11, v1 :: v_dual_lshrrev_b32 v10, s15, v10
	s_delay_alu instid0(VALU_DEP_1) | instskip(NEXT) | instid1(VALU_DEP_1)
	v_mad_u32 v10, s12, v10, v0
	v_mul_lo_u32 v10, v10, s23
	s_delay_alu instid0(VALU_DEP_1) | instskip(NEXT) | instid1(VALU_DEP_1)
	v_add_nc_u64_e32 v[10:11], v[10:11], v[2:3]
	v_lshlrev_b64_e32 v[10:11], 2, v[10:11]
	s_delay_alu instid0(VALU_DEP_1)
	v_add_nc_u64_e32 v[12:13], s[4:5], v[10:11]
	v_add_nc_u64_e32 v[14:15], s[6:7], v[10:11]
	;; [unrolled: 1-line block ×3, first 2 shown]
	global_load_b32 v12, v[12:13], off
	global_load_b32 v13, v[14:15], off
	;; [unrolled: 1-line block ×3, first 2 shown]
	s_wait_xcnt 0x0
	v_dual_mov_b32 v10, v0 :: v_dual_ashrrev_i32 v11, 31, v0
	s_delay_alu instid0(VALU_DEP_1) | instskip(SKIP_3) | instid1(VALU_DEP_1)
	v_lshl_add_u64 v[10:11], v[10:11], 2, v[8:9]
	s_wait_loadcnt 0x2
	v_mul_f32_e32 v7, v7, v12
	s_wait_loadcnt 0x1
	v_dual_mul_f32 v7, v7, v13 :: v_dual_add_nc_u32 v0, s9, v0
	s_delay_alu instid0(VALU_DEP_1) | instskip(SKIP_1) | instid1(VALU_DEP_2)
	v_cmp_le_i32_e32 vcc_lo, s8, v0
	s_wait_loadcnt 0x0
	v_mul_f32_e32 v7, v7, v16
	s_or_b32 s13, vcc_lo, s13
	global_store_b32 v[10:11], v7, off
	s_wait_xcnt 0x0
	s_and_not1_b32 exec_lo, exec_lo, s13
	s_cbranch_execz .LBB111_6
.LBB111_4:                              ; =>This Inner Loop Header: Depth=1
	v_mov_b32_e32 v7, 0
	s_and_not1_b32 vcc_lo, exec_lo, s10
	s_cbranch_vccnz .LBB111_3
; %bb.5:                                ;   in Loop: Header=BB111_4 Depth=1
	v_ashrrev_i32_e32 v7, 31, v6
	s_delay_alu instid0(VALU_DEP_1)
	v_lshl_add_u64 v[10:11], v[6:7], 1, v[4:5]
	global_load_u16 v7, v[10:11], off
	s_wait_loadcnt 0x0
	v_cvt_f32_f16_e32 v7, v7
	s_branch .LBB111_3
.LBB111_6:
	s_endpgm
	.section	.rodata,"a",@progbits
	.p2align	6, 0x0
	.amdhsa_kernel _ZL11k_bin_bcastIXadL_ZL6op_mulffEE6__halfffJPKfS2_S2_EEvPKT0_PKT1_PT2_iii15HIP_vector_typeIjLj3EESC_SC_SC_SC_iiiiiiiiiiiDpT3_
		.amdhsa_group_segment_fixed_size 0
		.amdhsa_private_segment_fixed_size 0
		.amdhsa_kernarg_size 424
		.amdhsa_user_sgpr_count 2
		.amdhsa_user_sgpr_dispatch_ptr 0
		.amdhsa_user_sgpr_queue_ptr 0
		.amdhsa_user_sgpr_kernarg_segment_ptr 1
		.amdhsa_user_sgpr_dispatch_id 0
		.amdhsa_user_sgpr_kernarg_preload_length 0
		.amdhsa_user_sgpr_kernarg_preload_offset 0
		.amdhsa_user_sgpr_private_segment_size 0
		.amdhsa_wavefront_size32 1
		.amdhsa_uses_dynamic_stack 0
		.amdhsa_enable_private_segment 0
		.amdhsa_system_sgpr_workgroup_id_x 1
		.amdhsa_system_sgpr_workgroup_id_y 1
		.amdhsa_system_sgpr_workgroup_id_z 1
		.amdhsa_system_sgpr_workgroup_info 0
		.amdhsa_system_vgpr_workitem_id 2
		.amdhsa_next_free_vgpr 17
		.amdhsa_next_free_sgpr 39
		.amdhsa_named_barrier_count 0
		.amdhsa_reserve_vcc 1
		.amdhsa_float_round_mode_32 0
		.amdhsa_float_round_mode_16_64 0
		.amdhsa_float_denorm_mode_32 3
		.amdhsa_float_denorm_mode_16_64 3
		.amdhsa_fp16_overflow 0
		.amdhsa_memory_ordered 1
		.amdhsa_forward_progress 1
		.amdhsa_inst_pref_size 8
		.amdhsa_round_robin_scheduling 0
		.amdhsa_exception_fp_ieee_invalid_op 0
		.amdhsa_exception_fp_denorm_src 0
		.amdhsa_exception_fp_ieee_div_zero 0
		.amdhsa_exception_fp_ieee_overflow 0
		.amdhsa_exception_fp_ieee_underflow 0
		.amdhsa_exception_fp_ieee_inexact 0
		.amdhsa_exception_int_div_zero 0
	.end_amdhsa_kernel
	.section	.text._ZL11k_bin_bcastIXadL_ZL6op_mulffEE6__halfffJPKfS2_S2_EEvPKT0_PKT1_PT2_iii15HIP_vector_typeIjLj3EESC_SC_SC_SC_iiiiiiiiiiiDpT3_,"axG",@progbits,_ZL11k_bin_bcastIXadL_ZL6op_mulffEE6__halfffJPKfS2_S2_EEvPKT0_PKT1_PT2_iii15HIP_vector_typeIjLj3EESC_SC_SC_SC_iiiiiiiiiiiDpT3_,comdat
.Lfunc_end111:
	.size	_ZL11k_bin_bcastIXadL_ZL6op_mulffEE6__halfffJPKfS2_S2_EEvPKT0_PKT1_PT2_iii15HIP_vector_typeIjLj3EESC_SC_SC_SC_iiiiiiiiiiiDpT3_, .Lfunc_end111-_ZL11k_bin_bcastIXadL_ZL6op_mulffEE6__halfffJPKfS2_S2_EEvPKT0_PKT1_PT2_iii15HIP_vector_typeIjLj3EESC_SC_SC_SC_iiiiiiiiiiiDpT3_
                                        ; -- End function
	.set _ZL11k_bin_bcastIXadL_ZL6op_mulffEE6__halfffJPKfS2_S2_EEvPKT0_PKT1_PT2_iii15HIP_vector_typeIjLj3EESC_SC_SC_SC_iiiiiiiiiiiDpT3_.num_vgpr, 17
	.set _ZL11k_bin_bcastIXadL_ZL6op_mulffEE6__halfffJPKfS2_S2_EEvPKT0_PKT1_PT2_iii15HIP_vector_typeIjLj3EESC_SC_SC_SC_iiiiiiiiiiiDpT3_.num_agpr, 0
	.set _ZL11k_bin_bcastIXadL_ZL6op_mulffEE6__halfffJPKfS2_S2_EEvPKT0_PKT1_PT2_iii15HIP_vector_typeIjLj3EESC_SC_SC_SC_iiiiiiiiiiiDpT3_.numbered_sgpr, 39
	.set _ZL11k_bin_bcastIXadL_ZL6op_mulffEE6__halfffJPKfS2_S2_EEvPKT0_PKT1_PT2_iii15HIP_vector_typeIjLj3EESC_SC_SC_SC_iiiiiiiiiiiDpT3_.num_named_barrier, 0
	.set _ZL11k_bin_bcastIXadL_ZL6op_mulffEE6__halfffJPKfS2_S2_EEvPKT0_PKT1_PT2_iii15HIP_vector_typeIjLj3EESC_SC_SC_SC_iiiiiiiiiiiDpT3_.private_seg_size, 0
	.set _ZL11k_bin_bcastIXadL_ZL6op_mulffEE6__halfffJPKfS2_S2_EEvPKT0_PKT1_PT2_iii15HIP_vector_typeIjLj3EESC_SC_SC_SC_iiiiiiiiiiiDpT3_.uses_vcc, 1
	.set _ZL11k_bin_bcastIXadL_ZL6op_mulffEE6__halfffJPKfS2_S2_EEvPKT0_PKT1_PT2_iii15HIP_vector_typeIjLj3EESC_SC_SC_SC_iiiiiiiiiiiDpT3_.uses_flat_scratch, 0
	.set _ZL11k_bin_bcastIXadL_ZL6op_mulffEE6__halfffJPKfS2_S2_EEvPKT0_PKT1_PT2_iii15HIP_vector_typeIjLj3EESC_SC_SC_SC_iiiiiiiiiiiDpT3_.has_dyn_sized_stack, 0
	.set _ZL11k_bin_bcastIXadL_ZL6op_mulffEE6__halfffJPKfS2_S2_EEvPKT0_PKT1_PT2_iii15HIP_vector_typeIjLj3EESC_SC_SC_SC_iiiiiiiiiiiDpT3_.has_recursion, 0
	.set _ZL11k_bin_bcastIXadL_ZL6op_mulffEE6__halfffJPKfS2_S2_EEvPKT0_PKT1_PT2_iii15HIP_vector_typeIjLj3EESC_SC_SC_SC_iiiiiiiiiiiDpT3_.has_indirect_call, 0
	.section	.AMDGPU.csdata,"",@progbits
; Kernel info:
; codeLenInByte = 944
; TotalNumSgprs: 41
; NumVgprs: 17
; ScratchSize: 0
; MemoryBound: 0
; FloatMode: 240
; IeeeMode: 1
; LDSByteSize: 0 bytes/workgroup (compile time only)
; SGPRBlocks: 0
; VGPRBlocks: 1
; NumSGPRsForWavesPerEU: 41
; NumVGPRsForWavesPerEU: 17
; NamedBarCnt: 0
; Occupancy: 16
; WaveLimiterHint : 1
; COMPUTE_PGM_RSRC2:SCRATCH_EN: 0
; COMPUTE_PGM_RSRC2:USER_SGPR: 2
; COMPUTE_PGM_RSRC2:TRAP_HANDLER: 0
; COMPUTE_PGM_RSRC2:TGID_X_EN: 1
; COMPUTE_PGM_RSRC2:TGID_Y_EN: 1
; COMPUTE_PGM_RSRC2:TGID_Z_EN: 1
; COMPUTE_PGM_RSRC2:TIDIG_COMP_CNT: 2
	.section	.text._ZL19k_bin_bcast_unravelIXadL_ZL6op_mulffEEfffJPKfS1_S1_S1_EEvPKT0_PKT1_PT2_15HIP_vector_typeIjLj3EESB_SB_jSB_SB_SB_SB_SB_SB_iiiiiiiiiiiDpT3_,"axG",@progbits,_ZL19k_bin_bcast_unravelIXadL_ZL6op_mulffEEfffJPKfS1_S1_S1_EEvPKT0_PKT1_PT2_15HIP_vector_typeIjLj3EESB_SB_jSB_SB_SB_SB_SB_SB_iiiiiiiiiiiDpT3_,comdat
	.globl	_ZL19k_bin_bcast_unravelIXadL_ZL6op_mulffEEfffJPKfS1_S1_S1_EEvPKT0_PKT1_PT2_15HIP_vector_typeIjLj3EESB_SB_jSB_SB_SB_SB_SB_SB_iiiiiiiiiiiDpT3_ ; -- Begin function _ZL19k_bin_bcast_unravelIXadL_ZL6op_mulffEEfffJPKfS1_S1_S1_EEvPKT0_PKT1_PT2_15HIP_vector_typeIjLj3EESB_SB_jSB_SB_SB_SB_SB_SB_iiiiiiiiiiiDpT3_
	.p2align	8
	.type	_ZL19k_bin_bcast_unravelIXadL_ZL6op_mulffEEfffJPKfS1_S1_S1_EEvPKT0_PKT1_PT2_15HIP_vector_typeIjLj3EESB_SB_jSB_SB_SB_SB_SB_SB_iiiiiiiiiiiDpT3_,@function
_ZL19k_bin_bcast_unravelIXadL_ZL6op_mulffEEfffJPKfS1_S1_S1_EEvPKT0_PKT1_PT2_15HIP_vector_typeIjLj3EESB_SB_jSB_SB_SB_SB_SB_SB_iiiiiiiiiiiDpT3_: ; @_ZL19k_bin_bcast_unravelIXadL_ZL6op_mulffEEfffJPKfS1_S1_S1_EEvPKT0_PKT1_PT2_15HIP_vector_typeIjLj3EESB_SB_jSB_SB_SB_SB_SB_SB_iiiiiiiiiiiDpT3_
; %bb.0:
	s_load_b32 s2, s[0:1], 0xe4
	s_bfe_u32 s3, ttmp6, 0x4000c
	s_load_b256 s[4:11], s[0:1], 0x38
	s_add_co_i32 s3, s3, 1
	s_and_b32 s12, ttmp6, 15
	s_mul_i32 s3, ttmp9, s3
	s_getreg_b32 s13, hwreg(HW_REG_IB_STS2, 6, 4)
	s_add_co_i32 s12, s12, s3
	s_wait_kmcnt 0x0
	s_and_b32 s2, s2, 0xffff
	s_cmp_eq_u32 s13, 0
	s_cselect_b32 s3, ttmp9, s12
	s_delay_alu instid0(SALU_CYCLE_1) | instskip(SKIP_1) | instid1(VALU_DEP_1)
	v_mad_u32 v0, s3, s2, v0
	s_load_b32 s2, s[0:1], 0x2c
	v_mul_hi_u32 v1, v0, s6
	s_delay_alu instid0(VALU_DEP_1) | instskip(NEXT) | instid1(VALU_DEP_1)
	v_add_nc_u32_e32 v1, v0, v1
	v_lshrrev_b32_e32 v1, s7, v1
	s_delay_alu instid0(VALU_DEP_1) | instskip(NEXT) | instid1(VALU_DEP_1)
	v_mul_lo_u32 v2, v1, s8
	v_sub_nc_u32_e32 v0, v0, v2
	s_delay_alu instid0(VALU_DEP_1) | instskip(NEXT) | instid1(VALU_DEP_1)
	v_mul_hi_u32 v2, v0, s9
	v_add_nc_u32_e32 v2, v0, v2
	s_delay_alu instid0(VALU_DEP_1) | instskip(SKIP_1) | instid1(VALU_DEP_1)
	v_lshrrev_b32_e32 v2, s10, v2
	s_load_b96 s[8:10], s[0:1], 0x18
	v_mul_lo_u32 v3, v2, s11
	s_delay_alu instid0(VALU_DEP_1) | instskip(SKIP_3) | instid1(VALU_DEP_3)
	v_sub_nc_u32_e32 v0, v0, v3
	v_cmp_gt_u32_e64 s3, s4, v2
	v_cmp_gt_u32_e64 s4, s5, v1
	s_wait_kmcnt 0x0
	v_mul_hi_u32 v3, v0, s8
	s_delay_alu instid0(VALU_DEP_1) | instskip(NEXT) | instid1(VALU_DEP_1)
	v_add_nc_u32_e32 v3, v0, v3
	v_lshrrev_b32_e32 v4, s9, v3
	s_delay_alu instid0(VALU_DEP_1) | instskip(NEXT) | instid1(VALU_DEP_1)
	v_mul_lo_u32 v3, v4, s10
	v_sub_nc_u32_e32 v0, v0, v3
	v_cmp_gt_u32_e64 s2, s2, v4
	s_delay_alu instid0(VALU_DEP_2) | instskip(SKIP_1) | instid1(SALU_CYCLE_1)
	v_cmp_gt_u32_e32 vcc_lo, s10, v0
	s_and_b32 s2, vcc_lo, s2
	s_and_b32 s2, s2, s3
	s_delay_alu instid0(SALU_CYCLE_1) | instskip(NEXT) | instid1(SALU_CYCLE_1)
	s_and_b32 s2, s4, s2
	s_and_saveexec_b32 s3, s2
	s_cbranch_execz .LBB112_4
; %bb.1:
	s_clause 0x4
	s_load_b64 s[2:3], s[0:1], 0x0
	s_load_b96 s[24:26], s[0:1], 0xa8
	s_load_b256 s[4:11], s[0:1], 0x88
	s_load_b128 s[20:23], s[0:1], 0x78
	s_load_b256 s[12:19], s[0:1], 0x58
	v_dual_mov_b32 v3, 0 :: v_dual_mov_b32 v5, 0
	s_wait_kmcnt 0x0
	s_cmp_eq_u64 s[2:3], 0
	s_cbranch_scc1 .LBB112_3
; %bb.2:
	v_mul_lo_u32 v5, v1, s10
	v_mov_b32_e32 v7, 0
	s_delay_alu instid0(VALU_DEP_2) | instskip(NEXT) | instid1(VALU_DEP_1)
	v_mad_u32 v5, v2, s9, v5
	v_mad_u32 v6, v4, s8, v5
	s_delay_alu instid0(VALU_DEP_1) | instskip(SKIP_1) | instid1(VALU_DEP_1)
	v_lshl_add_u64 v[8:9], v[6:7], 2, s[2:3]
	v_mul_lo_u32 v6, v0, s7
	v_lshl_add_u64 v[6:7], v[6:7], 2, v[8:9]
	global_load_b32 v5, v[6:7], off
.LBB112_3:
	s_wait_xcnt 0x0
	v_mul_hi_u32 v6, s21, v1
	v_mul_hi_u32 v7, s18, v2
	;; [unrolled: 1-line block ×4, first 2 shown]
	s_delay_alu instid0(VALU_DEP_3) | instskip(NEXT) | instid1(VALU_DEP_1)
	v_dual_add_nc_u32 v6, v1, v6 :: v_dual_add_nc_u32 v7, v2, v7
	v_dual_lshrrev_b32 v6, s22, v6 :: v_dual_lshrrev_b32 v7, s19, v7
	s_delay_alu instid0(VALU_DEP_1) | instskip(SKIP_1) | instid1(VALU_DEP_3)
	v_mul_lo_u32 v6, v6, s23
	v_add_nc_u32_e32 v8, v4, v8
	v_mul_lo_u32 v7, v7, s20
	s_delay_alu instid0(VALU_DEP_3) | instskip(NEXT) | instid1(VALU_DEP_3)
	v_dual_sub_nc_u32 v6, v1, v6 :: v_dual_add_nc_u32 v9, v0, v9
	v_lshrrev_b32_e32 v8, s16, v8
	v_mul_lo_u32 v1, v1, s6
	s_delay_alu instid0(VALU_DEP_4) | instskip(NEXT) | instid1(VALU_DEP_4)
	v_sub_nc_u32_e32 v7, v2, v7
	v_mul_lo_u32 v6, v6, s26
	v_lshrrev_b32_e32 v9, s13, v9
	v_mul_lo_u32 v8, v8, s17
	s_delay_alu instid0(VALU_DEP_2) | instskip(SKIP_2) | instid1(VALU_DEP_4)
	v_mul_lo_u32 v9, v9, s14
	v_mad_u32 v1, v2, s5, v1
	v_mad_u32 v7, v7, s25, v6
	v_sub_nc_u32_e32 v8, v4, v8
	s_delay_alu instid0(VALU_DEP_3) | instskip(NEXT) | instid1(VALU_DEP_2)
	v_mad_u32 v2, v4, s4, v1
	v_mad_u32 v8, v8, s24, v7
	s_delay_alu instid0(VALU_DEP_1) | instskip(NEXT) | instid1(VALU_DEP_1)
	v_dual_sub_nc_u32 v6, v0, v9 :: v_dual_ashrrev_i32 v9, 31, v8
	v_mul_lo_u32 v6, v6, s11
	s_load_b256 s[8:15], s[0:1], 0xb8
	s_delay_alu instid0(VALU_DEP_1) | instskip(SKIP_2) | instid1(VALU_DEP_1)
	v_ashrrev_i32_e32 v7, 31, v6
	s_wait_xcnt 0x0
	s_load_b64 s[0:1], s[0:1], 0x10
	v_add_nc_u64_e32 v[6:7], v[6:7], v[8:9]
	s_delay_alu instid0(VALU_DEP_1) | instskip(SKIP_1) | instid1(VALU_DEP_1)
	v_lshlrev_b64_e32 v[6:7], 2, v[6:7]
	s_wait_kmcnt 0x0
	v_add_nc_u64_e32 v[8:9], s[8:9], v[6:7]
	v_add_nc_u64_e32 v[10:11], s[10:11], v[6:7]
	global_load_b32 v12, v[8:9], off
	s_wait_xcnt 0x0
	v_add_nc_u64_e32 v[8:9], s[12:13], v[6:7]
	global_load_b32 v10, v[10:11], off
	v_add_nc_u64_e32 v[6:7], s[14:15], v[6:7]
	global_load_b32 v11, v[8:9], off
	global_load_b32 v13, v[6:7], off
	s_wait_loadcnt 0x3
	v_mul_f32_e32 v1, v5, v12
	s_wait_loadcnt 0x2
	s_delay_alu instid0(VALU_DEP_1) | instskip(SKIP_2) | instid1(VALU_DEP_2)
	v_dual_mul_f32 v4, v1, v10 :: v_dual_mov_b32 v1, v3
	v_lshl_add_u64 v[2:3], v[2:3], 2, s[0:1]
	s_wait_loadcnt 0x1
	v_mul_f32_e32 v4, v4, v11
	s_delay_alu instid0(VALU_DEP_2) | instskip(SKIP_1) | instid1(VALU_DEP_2)
	v_lshl_add_u64 v[0:1], v[0:1], 2, v[2:3]
	s_wait_loadcnt 0x0
	v_mul_f32_e32 v4, v4, v13
	global_store_b32 v[0:1], v4, off
.LBB112_4:
	s_endpgm
	.section	.rodata,"a",@progbits
	.p2align	6, 0x0
	.amdhsa_kernel _ZL19k_bin_bcast_unravelIXadL_ZL6op_mulffEEfffJPKfS1_S1_S1_EEvPKT0_PKT1_PT2_15HIP_vector_typeIjLj3EESB_SB_jSB_SB_SB_SB_SB_SB_iiiiiiiiiiiDpT3_
		.amdhsa_group_segment_fixed_size 0
		.amdhsa_private_segment_fixed_size 0
		.amdhsa_kernarg_size 472
		.amdhsa_user_sgpr_count 2
		.amdhsa_user_sgpr_dispatch_ptr 0
		.amdhsa_user_sgpr_queue_ptr 0
		.amdhsa_user_sgpr_kernarg_segment_ptr 1
		.amdhsa_user_sgpr_dispatch_id 0
		.amdhsa_user_sgpr_kernarg_preload_length 0
		.amdhsa_user_sgpr_kernarg_preload_offset 0
		.amdhsa_user_sgpr_private_segment_size 0
		.amdhsa_wavefront_size32 1
		.amdhsa_uses_dynamic_stack 0
		.amdhsa_enable_private_segment 0
		.amdhsa_system_sgpr_workgroup_id_x 1
		.amdhsa_system_sgpr_workgroup_id_y 0
		.amdhsa_system_sgpr_workgroup_id_z 0
		.amdhsa_system_sgpr_workgroup_info 0
		.amdhsa_system_vgpr_workitem_id 0
		.amdhsa_next_free_vgpr 14
		.amdhsa_next_free_sgpr 27
		.amdhsa_named_barrier_count 0
		.amdhsa_reserve_vcc 1
		.amdhsa_float_round_mode_32 0
		.amdhsa_float_round_mode_16_64 0
		.amdhsa_float_denorm_mode_32 3
		.amdhsa_float_denorm_mode_16_64 3
		.amdhsa_fp16_overflow 0
		.amdhsa_memory_ordered 1
		.amdhsa_forward_progress 1
		.amdhsa_inst_pref_size 7
		.amdhsa_round_robin_scheduling 0
		.amdhsa_exception_fp_ieee_invalid_op 0
		.amdhsa_exception_fp_denorm_src 0
		.amdhsa_exception_fp_ieee_div_zero 0
		.amdhsa_exception_fp_ieee_overflow 0
		.amdhsa_exception_fp_ieee_underflow 0
		.amdhsa_exception_fp_ieee_inexact 0
		.amdhsa_exception_int_div_zero 0
	.end_amdhsa_kernel
	.section	.text._ZL19k_bin_bcast_unravelIXadL_ZL6op_mulffEEfffJPKfS1_S1_S1_EEvPKT0_PKT1_PT2_15HIP_vector_typeIjLj3EESB_SB_jSB_SB_SB_SB_SB_SB_iiiiiiiiiiiDpT3_,"axG",@progbits,_ZL19k_bin_bcast_unravelIXadL_ZL6op_mulffEEfffJPKfS1_S1_S1_EEvPKT0_PKT1_PT2_15HIP_vector_typeIjLj3EESB_SB_jSB_SB_SB_SB_SB_SB_iiiiiiiiiiiDpT3_,comdat
.Lfunc_end112:
	.size	_ZL19k_bin_bcast_unravelIXadL_ZL6op_mulffEEfffJPKfS1_S1_S1_EEvPKT0_PKT1_PT2_15HIP_vector_typeIjLj3EESB_SB_jSB_SB_SB_SB_SB_SB_iiiiiiiiiiiDpT3_, .Lfunc_end112-_ZL19k_bin_bcast_unravelIXadL_ZL6op_mulffEEfffJPKfS1_S1_S1_EEvPKT0_PKT1_PT2_15HIP_vector_typeIjLj3EESB_SB_jSB_SB_SB_SB_SB_SB_iiiiiiiiiiiDpT3_
                                        ; -- End function
	.set _ZL19k_bin_bcast_unravelIXadL_ZL6op_mulffEEfffJPKfS1_S1_S1_EEvPKT0_PKT1_PT2_15HIP_vector_typeIjLj3EESB_SB_jSB_SB_SB_SB_SB_SB_iiiiiiiiiiiDpT3_.num_vgpr, 14
	.set _ZL19k_bin_bcast_unravelIXadL_ZL6op_mulffEEfffJPKfS1_S1_S1_EEvPKT0_PKT1_PT2_15HIP_vector_typeIjLj3EESB_SB_jSB_SB_SB_SB_SB_SB_iiiiiiiiiiiDpT3_.num_agpr, 0
	.set _ZL19k_bin_bcast_unravelIXadL_ZL6op_mulffEEfffJPKfS1_S1_S1_EEvPKT0_PKT1_PT2_15HIP_vector_typeIjLj3EESB_SB_jSB_SB_SB_SB_SB_SB_iiiiiiiiiiiDpT3_.numbered_sgpr, 27
	.set _ZL19k_bin_bcast_unravelIXadL_ZL6op_mulffEEfffJPKfS1_S1_S1_EEvPKT0_PKT1_PT2_15HIP_vector_typeIjLj3EESB_SB_jSB_SB_SB_SB_SB_SB_iiiiiiiiiiiDpT3_.num_named_barrier, 0
	.set _ZL19k_bin_bcast_unravelIXadL_ZL6op_mulffEEfffJPKfS1_S1_S1_EEvPKT0_PKT1_PT2_15HIP_vector_typeIjLj3EESB_SB_jSB_SB_SB_SB_SB_SB_iiiiiiiiiiiDpT3_.private_seg_size, 0
	.set _ZL19k_bin_bcast_unravelIXadL_ZL6op_mulffEEfffJPKfS1_S1_S1_EEvPKT0_PKT1_PT2_15HIP_vector_typeIjLj3EESB_SB_jSB_SB_SB_SB_SB_SB_iiiiiiiiiiiDpT3_.uses_vcc, 1
	.set _ZL19k_bin_bcast_unravelIXadL_ZL6op_mulffEEfffJPKfS1_S1_S1_EEvPKT0_PKT1_PT2_15HIP_vector_typeIjLj3EESB_SB_jSB_SB_SB_SB_SB_SB_iiiiiiiiiiiDpT3_.uses_flat_scratch, 0
	.set _ZL19k_bin_bcast_unravelIXadL_ZL6op_mulffEEfffJPKfS1_S1_S1_EEvPKT0_PKT1_PT2_15HIP_vector_typeIjLj3EESB_SB_jSB_SB_SB_SB_SB_SB_iiiiiiiiiiiDpT3_.has_dyn_sized_stack, 0
	.set _ZL19k_bin_bcast_unravelIXadL_ZL6op_mulffEEfffJPKfS1_S1_S1_EEvPKT0_PKT1_PT2_15HIP_vector_typeIjLj3EESB_SB_jSB_SB_SB_SB_SB_SB_iiiiiiiiiiiDpT3_.has_recursion, 0
	.set _ZL19k_bin_bcast_unravelIXadL_ZL6op_mulffEEfffJPKfS1_S1_S1_EEvPKT0_PKT1_PT2_15HIP_vector_typeIjLj3EESB_SB_jSB_SB_SB_SB_SB_SB_iiiiiiiiiiiDpT3_.has_indirect_call, 0
	.section	.AMDGPU.csdata,"",@progbits
; Kernel info:
; codeLenInByte = 812
; TotalNumSgprs: 29
; NumVgprs: 14
; ScratchSize: 0
; MemoryBound: 0
; FloatMode: 240
; IeeeMode: 1
; LDSByteSize: 0 bytes/workgroup (compile time only)
; SGPRBlocks: 0
; VGPRBlocks: 0
; NumSGPRsForWavesPerEU: 29
; NumVGPRsForWavesPerEU: 14
; NamedBarCnt: 0
; Occupancy: 16
; WaveLimiterHint : 1
; COMPUTE_PGM_RSRC2:SCRATCH_EN: 0
; COMPUTE_PGM_RSRC2:USER_SGPR: 2
; COMPUTE_PGM_RSRC2:TRAP_HANDLER: 0
; COMPUTE_PGM_RSRC2:TGID_X_EN: 1
; COMPUTE_PGM_RSRC2:TGID_Y_EN: 0
; COMPUTE_PGM_RSRC2:TGID_Z_EN: 0
; COMPUTE_PGM_RSRC2:TIDIG_COMP_CNT: 0
	.section	.text._ZL11k_bin_bcastIXadL_ZL6op_mulffEEfffJPKfS1_S1_S1_EEvPKT0_PKT1_PT2_iii15HIP_vector_typeIjLj3EESB_SB_SB_SB_iiiiiiiiiiiDpT3_,"axG",@progbits,_ZL11k_bin_bcastIXadL_ZL6op_mulffEEfffJPKfS1_S1_S1_EEvPKT0_PKT1_PT2_iii15HIP_vector_typeIjLj3EESB_SB_SB_SB_iiiiiiiiiiiDpT3_,comdat
	.globl	_ZL11k_bin_bcastIXadL_ZL6op_mulffEEfffJPKfS1_S1_S1_EEvPKT0_PKT1_PT2_iii15HIP_vector_typeIjLj3EESB_SB_SB_SB_iiiiiiiiiiiDpT3_ ; -- Begin function _ZL11k_bin_bcastIXadL_ZL6op_mulffEEfffJPKfS1_S1_S1_EEvPKT0_PKT1_PT2_iii15HIP_vector_typeIjLj3EESB_SB_SB_SB_iiiiiiiiiiiDpT3_
	.p2align	8
	.type	_ZL11k_bin_bcastIXadL_ZL6op_mulffEEfffJPKfS1_S1_S1_EEvPKT0_PKT1_PT2_iii15HIP_vector_typeIjLj3EESB_SB_SB_SB_iiiiiiiiiiiDpT3_,@function
_ZL11k_bin_bcastIXadL_ZL6op_mulffEEfffJPKfS1_S1_S1_EEvPKT0_PKT1_PT2_iii15HIP_vector_typeIjLj3EESB_SB_SB_SB_iiiiiiiiiiiDpT3_: ; @_ZL11k_bin_bcastIXadL_ZL6op_mulffEEfffJPKfS1_S1_S1_EEvPKT0_PKT1_PT2_iii15HIP_vector_typeIjLj3EESB_SB_SB_SB_iiiiiiiiiiiDpT3_
; %bb.0:
	s_load_b64 s[2:3], s[0:1], 0xbc
	s_bfe_u32 s5, ttmp6, 0x40014
	s_bfe_u32 s16, ttmp6, 0x40010
	;; [unrolled: 1-line block ×3, first 2 shown]
	s_lshr_b32 s4, ttmp7, 16
	s_and_b32 s7, ttmp7, 0xffff
	s_add_co_i32 s5, s5, 1
	s_add_co_i32 s16, s16, 1
	s_load_b256 s[8:15], s[0:1], 0x18
	s_add_co_i32 s19, s19, 1
	s_bfe_u32 s6, ttmp6, 0x40008
	s_bfe_u32 s17, ttmp6, 0x40004
	s_mul_i32 s5, s4, s5
	s_mul_i32 s16, s7, s16
	s_and_b32 s18, ttmp6, 15
	s_mul_i32 s19, ttmp9, s19
	s_add_co_i32 s6, s6, s5
	s_add_co_i32 s17, s17, s16
	;; [unrolled: 1-line block ×3, first 2 shown]
	v_bfe_u32 v1, v0, 20, 10
	s_wait_kmcnt 0x0
	s_lshr_b32 s16, s2, 16
	s_and_b32 s5, s2, 0xffff
	s_getreg_b32 s2, hwreg(HW_REG_IB_STS2, 6, 4)
	s_and_b32 s3, s3, 0xffff
	s_cmp_eq_u32 s2, 0
	v_and_b32_e32 v2, 0x3ff, v0
	s_cselect_b32 s2, s4, s6
	v_bfe_u32 v4, v0, 10, 10
	v_mad_u32 v3, s2, s3, v1
	s_cselect_b32 s2, ttmp9, s18
	s_cselect_b32 s3, s7, s17
	v_mad_u32 v0, s2, s5, v2
	v_mad_u32 v2, s3, s16, v4
	s_delay_alu instid0(VALU_DEP_3) | instskip(NEXT) | instid1(VALU_DEP_3)
	v_mul_hi_u32 v1, v3, s11
	v_cmp_gt_u32_e32 vcc_lo, s8, v0
	s_delay_alu instid0(VALU_DEP_3) | instskip(SKIP_2) | instid1(VALU_DEP_1)
	v_cmp_gt_u32_e64 s2, s9, v2
	s_and_b32 s2, vcc_lo, s2
	v_add_nc_u32_e32 v1, v3, v1
	v_lshrrev_b32_e32 v1, s12, v1
	s_delay_alu instid0(VALU_DEP_1) | instskip(SKIP_3) | instid1(VALU_DEP_1)
	v_mul_lo_u32 v5, v1, s13
	v_cmp_gt_u32_e64 s3, s10, v1
	s_and_b32 s2, s2, s3
	v_sub_nc_u32_e32 v3, v3, v5
	v_cmp_gt_u32_e64 s4, s13, v3
	s_and_b32 s2, s2, s4
	s_delay_alu instid0(SALU_CYCLE_1)
	s_and_saveexec_b32 s3, s2
	s_cbranch_execz .LBB113_6
; %bb.1:
	v_cmp_gt_i32_e32 vcc_lo, s8, v0
	s_and_b32 exec_lo, exec_lo, vcc_lo
	s_cbranch_execz .LBB113_6
; %bb.2:
	s_clause 0x3
	s_load_b256 s[24:31], s[0:1], 0x3c
	s_load_b32 s2, s[0:1], 0x5c
	s_load_b256 s[16:23], s[0:1], 0x60
	s_load_b96 s[36:38], s[0:1], 0x80
	s_add_nc_u64 s[6:7], s[0:1], 0xb0
	s_load_b32 s4, s[6:7], 0x0
	s_clause 0x1
	s_load_b32 s9, s[0:1], 0x38
	s_load_b64 s[10:11], s[0:1], 0x10
	s_wait_kmcnt 0x0
	v_mul_hi_u32 v4, s30, v3
	v_mul_hi_u32 v5, s27, v1
	;; [unrolled: 1-line block ×3, first 2 shown]
	v_mul_lo_u32 v7, v2, s20
	v_mul_lo_u32 v8, v2, s16
	s_delay_alu instid0(VALU_DEP_4) | instskip(NEXT) | instid1(VALU_DEP_3)
	v_dual_add_nc_u32 v4, v3, v4 :: v_dual_add_nc_u32 v5, v1, v5
	v_mad_u32 v7, v1, s21, v7
	s_delay_alu instid0(VALU_DEP_3) | instskip(NEXT) | instid1(VALU_DEP_3)
	v_mad_u32 v8, v1, s17, v8
	v_dual_lshrrev_b32 v4, s31, v4 :: v_dual_lshrrev_b32 v5, s28, v5
	s_delay_alu instid0(VALU_DEP_1) | instskip(SKIP_1) | instid1(VALU_DEP_3)
	v_mul_lo_u32 v4, v4, s2
	v_add_nc_u32_e32 v6, v2, v6
	v_mul_lo_u32 v5, v5, s29
	s_load_b64 s[2:3], s[0:1], 0x0
	v_mad_u32 v8, v3, s18, v8
	s_delay_alu instid0(VALU_DEP_3) | instskip(NEXT) | instid1(VALU_DEP_3)
	v_dual_sub_nc_u32 v4, v3, v4 :: v_dual_lshrrev_b32 v6, s25, v6
	v_sub_nc_u32_e32 v5, v1, v5
	s_delay_alu instid0(VALU_DEP_2) | instskip(NEXT) | instid1(VALU_DEP_3)
	v_mul_lo_u32 v9, v4, s38
	v_mul_lo_u32 v6, v6, s26
	v_mad_u32 v4, v3, s22, v7
	s_load_b256 s[24:31], s[0:1], 0x90
	v_mov_b32_e32 v1, 0
	s_wait_xcnt 0x0
	s_mov_b32 s1, 0
	s_mov_b32 s0, s14
	s_wait_kmcnt 0x0
	s_cmp_lg_u64 s[2:3], 0
	s_mov_b32 s6, s1
	v_mad_u32 v7, v5, s37, v9
	v_sub_nc_u32_e32 v2, v2, v6
	v_mul_lo_u32 v6, s19, v0
	v_dual_mov_b32 v5, v1 :: v_dual_mov_b32 v9, v1
	v_mov_b32_e32 v3, v1
	s_delay_alu instid0(VALU_DEP_2) | instskip(NEXT) | instid1(VALU_DEP_3)
	v_lshl_add_u64 v[4:5], v[4:5], 2, s[2:3]
	v_lshl_add_u64 v[8:9], v[8:9], 2, s[10:11]
	s_mul_i32 s2, s4, s5
	v_mad_u32 v2, v2, s36, v7
	s_cselect_b32 s3, -1, 0
	s_mul_i32 s4, s2, s19
	s_sub_co_i32 s5, 0, s9
	s_branch .LBB113_4
.LBB113_3:                              ;   in Loop: Header=BB113_4 Depth=1
	s_wait_xcnt 0x0
	v_mul_u64_e32 v[10:11], s[0:1], v[0:1]
	s_delay_alu instid0(VALU_DEP_1) | instskip(NEXT) | instid1(VALU_DEP_1)
	v_dual_add_nc_u32 v6, s4, v6 :: v_dual_add_nc_u32 v10, v0, v11
	v_dual_mov_b32 v11, v1 :: v_dual_lshrrev_b32 v10, s15, v10
	s_delay_alu instid0(VALU_DEP_1) | instskip(NEXT) | instid1(VALU_DEP_1)
	v_mad_u32 v10, s5, v10, v0
	v_mul_lo_u32 v10, v10, s23
	s_delay_alu instid0(VALU_DEP_1) | instskip(NEXT) | instid1(VALU_DEP_1)
	v_add_nc_u64_e32 v[10:11], v[10:11], v[2:3]
	v_lshlrev_b64_e32 v[10:11], 2, v[10:11]
	s_delay_alu instid0(VALU_DEP_1)
	v_add_nc_u64_e32 v[12:13], s[24:25], v[10:11]
	v_add_nc_u64_e32 v[14:15], s[26:27], v[10:11]
	global_load_b32 v16, v[12:13], off
	s_wait_xcnt 0x0
	v_add_nc_u64_e32 v[12:13], s[28:29], v[10:11]
	global_load_b32 v14, v[14:15], off
	v_add_nc_u64_e32 v[10:11], s[30:31], v[10:11]
	global_load_b32 v15, v[12:13], off
	global_load_b32 v17, v[10:11], off
	s_wait_xcnt 0x0
	v_dual_mov_b32 v10, v0 :: v_dual_ashrrev_i32 v11, 31, v0
	v_add_nc_u32_e32 v0, s2, v0
	s_delay_alu instid0(VALU_DEP_2) | instskip(NEXT) | instid1(VALU_DEP_2)
	v_lshl_add_u64 v[10:11], v[10:11], 2, v[8:9]
	v_cmp_le_i32_e32 vcc_lo, s8, v0
	s_or_b32 s6, vcc_lo, s6
	s_wait_loadcnt 0x3
	v_mul_f32_e32 v7, v7, v16
	s_wait_loadcnt 0x2
	s_delay_alu instid0(VALU_DEP_1) | instskip(SKIP_1) | instid1(VALU_DEP_1)
	v_mul_f32_e32 v7, v7, v14
	s_wait_loadcnt 0x1
	v_mul_f32_e32 v7, v7, v15
	s_wait_loadcnt 0x0
	s_delay_alu instid0(VALU_DEP_1)
	v_mul_f32_e32 v7, v7, v17
	global_store_b32 v[10:11], v7, off
	s_wait_xcnt 0x0
	s_and_not1_b32 exec_lo, exec_lo, s6
	s_cbranch_execz .LBB113_6
.LBB113_4:                              ; =>This Inner Loop Header: Depth=1
	v_mov_b32_e32 v7, 0
	s_and_not1_b32 vcc_lo, exec_lo, s3
	s_cbranch_vccnz .LBB113_3
; %bb.5:                                ;   in Loop: Header=BB113_4 Depth=1
	v_ashrrev_i32_e32 v7, 31, v6
	s_delay_alu instid0(VALU_DEP_1)
	v_lshl_add_u64 v[10:11], v[6:7], 2, v[4:5]
	global_load_b32 v7, v[10:11], off
	s_branch .LBB113_3
.LBB113_6:
	s_endpgm
	.section	.rodata,"a",@progbits
	.p2align	6, 0x0
	.amdhsa_kernel _ZL11k_bin_bcastIXadL_ZL6op_mulffEEfffJPKfS1_S1_S1_EEvPKT0_PKT1_PT2_iii15HIP_vector_typeIjLj3EESB_SB_SB_SB_iiiiiiiiiiiDpT3_
		.amdhsa_group_segment_fixed_size 0
		.amdhsa_private_segment_fixed_size 0
		.amdhsa_kernarg_size 432
		.amdhsa_user_sgpr_count 2
		.amdhsa_user_sgpr_dispatch_ptr 0
		.amdhsa_user_sgpr_queue_ptr 0
		.amdhsa_user_sgpr_kernarg_segment_ptr 1
		.amdhsa_user_sgpr_dispatch_id 0
		.amdhsa_user_sgpr_kernarg_preload_length 0
		.amdhsa_user_sgpr_kernarg_preload_offset 0
		.amdhsa_user_sgpr_private_segment_size 0
		.amdhsa_wavefront_size32 1
		.amdhsa_uses_dynamic_stack 0
		.amdhsa_enable_private_segment 0
		.amdhsa_system_sgpr_workgroup_id_x 1
		.amdhsa_system_sgpr_workgroup_id_y 1
		.amdhsa_system_sgpr_workgroup_id_z 1
		.amdhsa_system_sgpr_workgroup_info 0
		.amdhsa_system_vgpr_workitem_id 2
		.amdhsa_next_free_vgpr 18
		.amdhsa_next_free_sgpr 39
		.amdhsa_named_barrier_count 0
		.amdhsa_reserve_vcc 1
		.amdhsa_float_round_mode_32 0
		.amdhsa_float_round_mode_16_64 0
		.amdhsa_float_denorm_mode_32 3
		.amdhsa_float_denorm_mode_16_64 3
		.amdhsa_fp16_overflow 0
		.amdhsa_memory_ordered 1
		.amdhsa_forward_progress 1
		.amdhsa_inst_pref_size 8
		.amdhsa_round_robin_scheduling 0
		.amdhsa_exception_fp_ieee_invalid_op 0
		.amdhsa_exception_fp_denorm_src 0
		.amdhsa_exception_fp_ieee_div_zero 0
		.amdhsa_exception_fp_ieee_overflow 0
		.amdhsa_exception_fp_ieee_underflow 0
		.amdhsa_exception_fp_ieee_inexact 0
		.amdhsa_exception_int_div_zero 0
	.end_amdhsa_kernel
	.section	.text._ZL11k_bin_bcastIXadL_ZL6op_mulffEEfffJPKfS1_S1_S1_EEvPKT0_PKT1_PT2_iii15HIP_vector_typeIjLj3EESB_SB_SB_SB_iiiiiiiiiiiDpT3_,"axG",@progbits,_ZL11k_bin_bcastIXadL_ZL6op_mulffEEfffJPKfS1_S1_S1_EEvPKT0_PKT1_PT2_iii15HIP_vector_typeIjLj3EESB_SB_SB_SB_iiiiiiiiiiiDpT3_,comdat
.Lfunc_end113:
	.size	_ZL11k_bin_bcastIXadL_ZL6op_mulffEEfffJPKfS1_S1_S1_EEvPKT0_PKT1_PT2_iii15HIP_vector_typeIjLj3EESB_SB_SB_SB_iiiiiiiiiiiDpT3_, .Lfunc_end113-_ZL11k_bin_bcastIXadL_ZL6op_mulffEEfffJPKfS1_S1_S1_EEvPKT0_PKT1_PT2_iii15HIP_vector_typeIjLj3EESB_SB_SB_SB_iiiiiiiiiiiDpT3_
                                        ; -- End function
	.set _ZL11k_bin_bcastIXadL_ZL6op_mulffEEfffJPKfS1_S1_S1_EEvPKT0_PKT1_PT2_iii15HIP_vector_typeIjLj3EESB_SB_SB_SB_iiiiiiiiiiiDpT3_.num_vgpr, 18
	.set _ZL11k_bin_bcastIXadL_ZL6op_mulffEEfffJPKfS1_S1_S1_EEvPKT0_PKT1_PT2_iii15HIP_vector_typeIjLj3EESB_SB_SB_SB_iiiiiiiiiiiDpT3_.num_agpr, 0
	.set _ZL11k_bin_bcastIXadL_ZL6op_mulffEEfffJPKfS1_S1_S1_EEvPKT0_PKT1_PT2_iii15HIP_vector_typeIjLj3EESB_SB_SB_SB_iiiiiiiiiiiDpT3_.numbered_sgpr, 39
	.set _ZL11k_bin_bcastIXadL_ZL6op_mulffEEfffJPKfS1_S1_S1_EEvPKT0_PKT1_PT2_iii15HIP_vector_typeIjLj3EESB_SB_SB_SB_iiiiiiiiiiiDpT3_.num_named_barrier, 0
	.set _ZL11k_bin_bcastIXadL_ZL6op_mulffEEfffJPKfS1_S1_S1_EEvPKT0_PKT1_PT2_iii15HIP_vector_typeIjLj3EESB_SB_SB_SB_iiiiiiiiiiiDpT3_.private_seg_size, 0
	.set _ZL11k_bin_bcastIXadL_ZL6op_mulffEEfffJPKfS1_S1_S1_EEvPKT0_PKT1_PT2_iii15HIP_vector_typeIjLj3EESB_SB_SB_SB_iiiiiiiiiiiDpT3_.uses_vcc, 1
	.set _ZL11k_bin_bcastIXadL_ZL6op_mulffEEfffJPKfS1_S1_S1_EEvPKT0_PKT1_PT2_iii15HIP_vector_typeIjLj3EESB_SB_SB_SB_iiiiiiiiiiiDpT3_.uses_flat_scratch, 0
	.set _ZL11k_bin_bcastIXadL_ZL6op_mulffEEfffJPKfS1_S1_S1_EEvPKT0_PKT1_PT2_iii15HIP_vector_typeIjLj3EESB_SB_SB_SB_iiiiiiiiiiiDpT3_.has_dyn_sized_stack, 0
	.set _ZL11k_bin_bcastIXadL_ZL6op_mulffEEfffJPKfS1_S1_S1_EEvPKT0_PKT1_PT2_iii15HIP_vector_typeIjLj3EESB_SB_SB_SB_iiiiiiiiiiiDpT3_.has_recursion, 0
	.set _ZL11k_bin_bcastIXadL_ZL6op_mulffEEfffJPKfS1_S1_S1_EEvPKT0_PKT1_PT2_iii15HIP_vector_typeIjLj3EESB_SB_SB_SB_iiiiiiiiiiiDpT3_.has_indirect_call, 0
	.section	.AMDGPU.csdata,"",@progbits
; Kernel info:
; codeLenInByte = 960
; TotalNumSgprs: 41
; NumVgprs: 18
; ScratchSize: 0
; MemoryBound: 0
; FloatMode: 240
; IeeeMode: 1
; LDSByteSize: 0 bytes/workgroup (compile time only)
; SGPRBlocks: 0
; VGPRBlocks: 1
; NumSGPRsForWavesPerEU: 41
; NumVGPRsForWavesPerEU: 18
; NamedBarCnt: 0
; Occupancy: 16
; WaveLimiterHint : 1
; COMPUTE_PGM_RSRC2:SCRATCH_EN: 0
; COMPUTE_PGM_RSRC2:USER_SGPR: 2
; COMPUTE_PGM_RSRC2:TRAP_HANDLER: 0
; COMPUTE_PGM_RSRC2:TGID_X_EN: 1
; COMPUTE_PGM_RSRC2:TGID_Y_EN: 1
; COMPUTE_PGM_RSRC2:TGID_Z_EN: 1
; COMPUTE_PGM_RSRC2:TIDIG_COMP_CNT: 2
	.section	.text._ZL19k_bin_bcast_unravelIXadL_ZL6op_mulffEE6__halfS0_S0_JPKS0_S2_S2_S2_EEvPKT0_PKT1_PT2_15HIP_vector_typeIjLj3EESC_SC_jSC_SC_SC_SC_SC_SC_iiiiiiiiiiiDpT3_,"axG",@progbits,_ZL19k_bin_bcast_unravelIXadL_ZL6op_mulffEE6__halfS0_S0_JPKS0_S2_S2_S2_EEvPKT0_PKT1_PT2_15HIP_vector_typeIjLj3EESC_SC_jSC_SC_SC_SC_SC_SC_iiiiiiiiiiiDpT3_,comdat
	.globl	_ZL19k_bin_bcast_unravelIXadL_ZL6op_mulffEE6__halfS0_S0_JPKS0_S2_S2_S2_EEvPKT0_PKT1_PT2_15HIP_vector_typeIjLj3EESC_SC_jSC_SC_SC_SC_SC_SC_iiiiiiiiiiiDpT3_ ; -- Begin function _ZL19k_bin_bcast_unravelIXadL_ZL6op_mulffEE6__halfS0_S0_JPKS0_S2_S2_S2_EEvPKT0_PKT1_PT2_15HIP_vector_typeIjLj3EESC_SC_jSC_SC_SC_SC_SC_SC_iiiiiiiiiiiDpT3_
	.p2align	8
	.type	_ZL19k_bin_bcast_unravelIXadL_ZL6op_mulffEE6__halfS0_S0_JPKS0_S2_S2_S2_EEvPKT0_PKT1_PT2_15HIP_vector_typeIjLj3EESC_SC_jSC_SC_SC_SC_SC_SC_iiiiiiiiiiiDpT3_,@function
_ZL19k_bin_bcast_unravelIXadL_ZL6op_mulffEE6__halfS0_S0_JPKS0_S2_S2_S2_EEvPKT0_PKT1_PT2_15HIP_vector_typeIjLj3EESC_SC_jSC_SC_SC_SC_SC_SC_iiiiiiiiiiiDpT3_: ; @_ZL19k_bin_bcast_unravelIXadL_ZL6op_mulffEE6__halfS0_S0_JPKS0_S2_S2_S2_EEvPKT0_PKT1_PT2_15HIP_vector_typeIjLj3EESC_SC_jSC_SC_SC_SC_SC_SC_iiiiiiiiiiiDpT3_
; %bb.0:
	s_load_b32 s2, s[0:1], 0xe4
	s_bfe_u32 s3, ttmp6, 0x4000c
	s_load_b256 s[4:11], s[0:1], 0x38
	s_add_co_i32 s3, s3, 1
	s_and_b32 s12, ttmp6, 15
	s_mul_i32 s3, ttmp9, s3
	s_getreg_b32 s13, hwreg(HW_REG_IB_STS2, 6, 4)
	s_add_co_i32 s12, s12, s3
	s_wait_kmcnt 0x0
	s_and_b32 s2, s2, 0xffff
	s_cmp_eq_u32 s13, 0
	s_cselect_b32 s3, ttmp9, s12
	s_delay_alu instid0(SALU_CYCLE_1) | instskip(SKIP_1) | instid1(VALU_DEP_1)
	v_mad_u32 v0, s3, s2, v0
	s_load_b32 s2, s[0:1], 0x2c
	v_mul_hi_u32 v1, v0, s6
	s_delay_alu instid0(VALU_DEP_1) | instskip(NEXT) | instid1(VALU_DEP_1)
	v_add_nc_u32_e32 v1, v0, v1
	v_lshrrev_b32_e32 v1, s7, v1
	s_delay_alu instid0(VALU_DEP_1) | instskip(NEXT) | instid1(VALU_DEP_1)
	v_mul_lo_u32 v2, v1, s8
	v_sub_nc_u32_e32 v0, v0, v2
	s_delay_alu instid0(VALU_DEP_1) | instskip(NEXT) | instid1(VALU_DEP_1)
	v_mul_hi_u32 v2, v0, s9
	v_add_nc_u32_e32 v2, v0, v2
	s_delay_alu instid0(VALU_DEP_1) | instskip(SKIP_1) | instid1(VALU_DEP_1)
	v_lshrrev_b32_e32 v2, s10, v2
	s_load_b96 s[8:10], s[0:1], 0x18
	v_mul_lo_u32 v3, v2, s11
	s_delay_alu instid0(VALU_DEP_1) | instskip(SKIP_3) | instid1(VALU_DEP_3)
	v_sub_nc_u32_e32 v0, v0, v3
	v_cmp_gt_u32_e64 s3, s4, v2
	v_cmp_gt_u32_e64 s4, s5, v1
	s_wait_kmcnt 0x0
	v_mul_hi_u32 v3, v0, s8
	s_delay_alu instid0(VALU_DEP_1) | instskip(NEXT) | instid1(VALU_DEP_1)
	v_add_nc_u32_e32 v3, v0, v3
	v_lshrrev_b32_e32 v4, s9, v3
	s_delay_alu instid0(VALU_DEP_1) | instskip(NEXT) | instid1(VALU_DEP_1)
	v_mul_lo_u32 v3, v4, s10
	v_sub_nc_u32_e32 v0, v0, v3
	v_cmp_gt_u32_e64 s2, s2, v4
	s_delay_alu instid0(VALU_DEP_2) | instskip(SKIP_1) | instid1(SALU_CYCLE_1)
	v_cmp_gt_u32_e32 vcc_lo, s10, v0
	s_and_b32 s2, vcc_lo, s2
	s_and_b32 s2, s2, s3
	s_delay_alu instid0(SALU_CYCLE_1) | instskip(NEXT) | instid1(SALU_CYCLE_1)
	s_and_b32 s2, s4, s2
	s_and_saveexec_b32 s3, s2
	s_cbranch_execz .LBB114_4
; %bb.1:
	s_clause 0x4
	s_load_b64 s[2:3], s[0:1], 0x0
	s_load_b96 s[24:26], s[0:1], 0xa8
	s_load_b256 s[4:11], s[0:1], 0x88
	s_load_b128 s[20:23], s[0:1], 0x78
	s_load_b256 s[12:19], s[0:1], 0x58
	v_dual_mov_b32 v3, 0 :: v_dual_mov_b32 v5, 0
	s_wait_kmcnt 0x0
	s_cmp_eq_u64 s[2:3], 0
	s_cbranch_scc1 .LBB114_3
; %bb.2:
	v_mul_lo_u32 v5, v1, s10
	v_mov_b32_e32 v7, 0
	s_delay_alu instid0(VALU_DEP_2) | instskip(NEXT) | instid1(VALU_DEP_1)
	v_mad_u32 v5, v2, s9, v5
	v_mad_u32 v6, v4, s8, v5
	s_delay_alu instid0(VALU_DEP_1) | instskip(SKIP_1) | instid1(VALU_DEP_1)
	v_lshl_add_u64 v[8:9], v[6:7], 1, s[2:3]
	v_mul_lo_u32 v6, v0, s7
	v_lshl_add_u64 v[6:7], v[6:7], 1, v[8:9]
	global_load_u16 v5, v[6:7], off
	s_wait_loadcnt 0x0
	v_cvt_f32_f16_e32 v5, v5
.LBB114_3:
	v_mul_hi_u32 v6, s21, v1
	v_mul_hi_u32 v7, s18, v2
	;; [unrolled: 1-line block ×4, first 2 shown]
	s_delay_alu instid0(VALU_DEP_3) | instskip(NEXT) | instid1(VALU_DEP_1)
	v_dual_add_nc_u32 v6, v1, v6 :: v_dual_add_nc_u32 v7, v2, v7
	v_dual_lshrrev_b32 v6, s22, v6 :: v_dual_lshrrev_b32 v7, s19, v7
	s_delay_alu instid0(VALU_DEP_1) | instskip(SKIP_1) | instid1(VALU_DEP_3)
	v_mul_lo_u32 v6, v6, s23
	v_add_nc_u32_e32 v8, v4, v8
	v_mul_lo_u32 v7, v7, s20
	s_delay_alu instid0(VALU_DEP_3) | instskip(NEXT) | instid1(VALU_DEP_3)
	v_dual_sub_nc_u32 v6, v1, v6 :: v_dual_add_nc_u32 v9, v0, v9
	v_lshrrev_b32_e32 v8, s16, v8
	v_mul_lo_u32 v1, v1, s6
	s_delay_alu instid0(VALU_DEP_4) | instskip(NEXT) | instid1(VALU_DEP_4)
	v_sub_nc_u32_e32 v7, v2, v7
	v_mul_lo_u32 v6, v6, s26
	v_lshrrev_b32_e32 v9, s13, v9
	v_mul_lo_u32 v8, v8, s17
	s_delay_alu instid0(VALU_DEP_2) | instskip(SKIP_2) | instid1(VALU_DEP_4)
	v_mul_lo_u32 v9, v9, s14
	v_mad_u32 v1, v2, s5, v1
	v_mad_u32 v7, v7, s25, v6
	v_sub_nc_u32_e32 v8, v4, v8
	s_delay_alu instid0(VALU_DEP_3) | instskip(NEXT) | instid1(VALU_DEP_2)
	v_mad_u32 v2, v4, s4, v1
	v_mad_u32 v8, v8, s24, v7
	s_delay_alu instid0(VALU_DEP_1) | instskip(NEXT) | instid1(VALU_DEP_1)
	v_dual_sub_nc_u32 v6, v0, v9 :: v_dual_ashrrev_i32 v9, 31, v8
	v_mul_lo_u32 v6, v6, s11
	s_load_b256 s[8:15], s[0:1], 0xb8
	s_delay_alu instid0(VALU_DEP_1) | instskip(SKIP_2) | instid1(VALU_DEP_1)
	v_ashrrev_i32_e32 v7, 31, v6
	s_wait_xcnt 0x0
	s_load_b64 s[0:1], s[0:1], 0x10
	v_add_nc_u64_e32 v[6:7], v[6:7], v[8:9]
	s_delay_alu instid0(VALU_DEP_1) | instskip(SKIP_1) | instid1(VALU_DEP_1)
	v_lshlrev_b64_e32 v[6:7], 1, v[6:7]
	s_wait_kmcnt 0x0
	v_add_nc_u64_e32 v[8:9], s[8:9], v[6:7]
	v_add_nc_u64_e32 v[10:11], s[10:11], v[6:7]
	global_load_u16 v12, v[8:9], off
	s_wait_xcnt 0x0
	v_add_nc_u64_e32 v[8:9], s[12:13], v[6:7]
	v_add_nc_u64_e32 v[6:7], s[14:15], v[6:7]
	global_load_u16 v13, v[10:11], off
	global_load_u16 v14, v[8:9], off
	;; [unrolled: 1-line block ×3, first 2 shown]
	s_wait_loadcnt 0x3
	s_wait_xcnt 0x0
	v_cvt_f32_f16_e32 v7, v12
	s_delay_alu instid0(VALU_DEP_1) | instskip(SKIP_4) | instid1(VALU_DEP_2)
	v_mul_f32_e32 v4, v5, v7
	s_wait_loadcnt 0x2
	v_cvt_f32_f16_e32 v1, v13
	s_wait_loadcnt 0x1
	v_cvt_f32_f16_e32 v5, v14
	v_dual_mul_f32 v4, v4, v1 :: v_dual_mov_b32 v1, v3
	v_lshl_add_u64 v[2:3], v[2:3], 1, s[0:1]
	s_delay_alu instid0(VALU_DEP_2) | instskip(NEXT) | instid1(VALU_DEP_2)
	v_mul_f32_e32 v4, v4, v5
	v_lshl_add_u64 v[0:1], v[0:1], 1, v[2:3]
	s_wait_loadcnt 0x0
	s_delay_alu instid0(VALU_DEP_2)
	v_fma_mixlo_f16 v4, v4, v6, 0 op_sel_hi:[0,1,0]
	global_store_b16 v[0:1], v4, off
.LBB114_4:
	s_endpgm
	.section	.rodata,"a",@progbits
	.p2align	6, 0x0
	.amdhsa_kernel _ZL19k_bin_bcast_unravelIXadL_ZL6op_mulffEE6__halfS0_S0_JPKS0_S2_S2_S2_EEvPKT0_PKT1_PT2_15HIP_vector_typeIjLj3EESC_SC_jSC_SC_SC_SC_SC_SC_iiiiiiiiiiiDpT3_
		.amdhsa_group_segment_fixed_size 0
		.amdhsa_private_segment_fixed_size 0
		.amdhsa_kernarg_size 472
		.amdhsa_user_sgpr_count 2
		.amdhsa_user_sgpr_dispatch_ptr 0
		.amdhsa_user_sgpr_queue_ptr 0
		.amdhsa_user_sgpr_kernarg_segment_ptr 1
		.amdhsa_user_sgpr_dispatch_id 0
		.amdhsa_user_sgpr_kernarg_preload_length 0
		.amdhsa_user_sgpr_kernarg_preload_offset 0
		.amdhsa_user_sgpr_private_segment_size 0
		.amdhsa_wavefront_size32 1
		.amdhsa_uses_dynamic_stack 0
		.amdhsa_enable_private_segment 0
		.amdhsa_system_sgpr_workgroup_id_x 1
		.amdhsa_system_sgpr_workgroup_id_y 0
		.amdhsa_system_sgpr_workgroup_id_z 0
		.amdhsa_system_sgpr_workgroup_info 0
		.amdhsa_system_vgpr_workitem_id 0
		.amdhsa_next_free_vgpr 15
		.amdhsa_next_free_sgpr 27
		.amdhsa_named_barrier_count 0
		.amdhsa_reserve_vcc 1
		.amdhsa_float_round_mode_32 0
		.amdhsa_float_round_mode_16_64 0
		.amdhsa_float_denorm_mode_32 3
		.amdhsa_float_denorm_mode_16_64 3
		.amdhsa_fp16_overflow 0
		.amdhsa_memory_ordered 1
		.amdhsa_forward_progress 1
		.amdhsa_inst_pref_size 7
		.amdhsa_round_robin_scheduling 0
		.amdhsa_exception_fp_ieee_invalid_op 0
		.amdhsa_exception_fp_denorm_src 0
		.amdhsa_exception_fp_ieee_div_zero 0
		.amdhsa_exception_fp_ieee_overflow 0
		.amdhsa_exception_fp_ieee_underflow 0
		.amdhsa_exception_fp_ieee_inexact 0
		.amdhsa_exception_int_div_zero 0
	.end_amdhsa_kernel
	.section	.text._ZL19k_bin_bcast_unravelIXadL_ZL6op_mulffEE6__halfS0_S0_JPKS0_S2_S2_S2_EEvPKT0_PKT1_PT2_15HIP_vector_typeIjLj3EESC_SC_jSC_SC_SC_SC_SC_SC_iiiiiiiiiiiDpT3_,"axG",@progbits,_ZL19k_bin_bcast_unravelIXadL_ZL6op_mulffEE6__halfS0_S0_JPKS0_S2_S2_S2_EEvPKT0_PKT1_PT2_15HIP_vector_typeIjLj3EESC_SC_jSC_SC_SC_SC_SC_SC_iiiiiiiiiiiDpT3_,comdat
.Lfunc_end114:
	.size	_ZL19k_bin_bcast_unravelIXadL_ZL6op_mulffEE6__halfS0_S0_JPKS0_S2_S2_S2_EEvPKT0_PKT1_PT2_15HIP_vector_typeIjLj3EESC_SC_jSC_SC_SC_SC_SC_SC_iiiiiiiiiiiDpT3_, .Lfunc_end114-_ZL19k_bin_bcast_unravelIXadL_ZL6op_mulffEE6__halfS0_S0_JPKS0_S2_S2_S2_EEvPKT0_PKT1_PT2_15HIP_vector_typeIjLj3EESC_SC_jSC_SC_SC_SC_SC_SC_iiiiiiiiiiiDpT3_
                                        ; -- End function
	.set _ZL19k_bin_bcast_unravelIXadL_ZL6op_mulffEE6__halfS0_S0_JPKS0_S2_S2_S2_EEvPKT0_PKT1_PT2_15HIP_vector_typeIjLj3EESC_SC_jSC_SC_SC_SC_SC_SC_iiiiiiiiiiiDpT3_.num_vgpr, 15
	.set _ZL19k_bin_bcast_unravelIXadL_ZL6op_mulffEE6__halfS0_S0_JPKS0_S2_S2_S2_EEvPKT0_PKT1_PT2_15HIP_vector_typeIjLj3EESC_SC_jSC_SC_SC_SC_SC_SC_iiiiiiiiiiiDpT3_.num_agpr, 0
	.set _ZL19k_bin_bcast_unravelIXadL_ZL6op_mulffEE6__halfS0_S0_JPKS0_S2_S2_S2_EEvPKT0_PKT1_PT2_15HIP_vector_typeIjLj3EESC_SC_jSC_SC_SC_SC_SC_SC_iiiiiiiiiiiDpT3_.numbered_sgpr, 27
	.set _ZL19k_bin_bcast_unravelIXadL_ZL6op_mulffEE6__halfS0_S0_JPKS0_S2_S2_S2_EEvPKT0_PKT1_PT2_15HIP_vector_typeIjLj3EESC_SC_jSC_SC_SC_SC_SC_SC_iiiiiiiiiiiDpT3_.num_named_barrier, 0
	.set _ZL19k_bin_bcast_unravelIXadL_ZL6op_mulffEE6__halfS0_S0_JPKS0_S2_S2_S2_EEvPKT0_PKT1_PT2_15HIP_vector_typeIjLj3EESC_SC_jSC_SC_SC_SC_SC_SC_iiiiiiiiiiiDpT3_.private_seg_size, 0
	.set _ZL19k_bin_bcast_unravelIXadL_ZL6op_mulffEE6__halfS0_S0_JPKS0_S2_S2_S2_EEvPKT0_PKT1_PT2_15HIP_vector_typeIjLj3EESC_SC_jSC_SC_SC_SC_SC_SC_iiiiiiiiiiiDpT3_.uses_vcc, 1
	.set _ZL19k_bin_bcast_unravelIXadL_ZL6op_mulffEE6__halfS0_S0_JPKS0_S2_S2_S2_EEvPKT0_PKT1_PT2_15HIP_vector_typeIjLj3EESC_SC_jSC_SC_SC_SC_SC_SC_iiiiiiiiiiiDpT3_.uses_flat_scratch, 0
	.set _ZL19k_bin_bcast_unravelIXadL_ZL6op_mulffEE6__halfS0_S0_JPKS0_S2_S2_S2_EEvPKT0_PKT1_PT2_15HIP_vector_typeIjLj3EESC_SC_jSC_SC_SC_SC_SC_SC_iiiiiiiiiiiDpT3_.has_dyn_sized_stack, 0
	.set _ZL19k_bin_bcast_unravelIXadL_ZL6op_mulffEE6__halfS0_S0_JPKS0_S2_S2_S2_EEvPKT0_PKT1_PT2_15HIP_vector_typeIjLj3EESC_SC_jSC_SC_SC_SC_SC_SC_iiiiiiiiiiiDpT3_.has_recursion, 0
	.set _ZL19k_bin_bcast_unravelIXadL_ZL6op_mulffEE6__halfS0_S0_JPKS0_S2_S2_S2_EEvPKT0_PKT1_PT2_15HIP_vector_typeIjLj3EESC_SC_jSC_SC_SC_SC_SC_SC_iiiiiiiiiiiDpT3_.has_indirect_call, 0
	.section	.AMDGPU.csdata,"",@progbits
; Kernel info:
; codeLenInByte = 840
; TotalNumSgprs: 29
; NumVgprs: 15
; ScratchSize: 0
; MemoryBound: 0
; FloatMode: 240
; IeeeMode: 1
; LDSByteSize: 0 bytes/workgroup (compile time only)
; SGPRBlocks: 0
; VGPRBlocks: 0
; NumSGPRsForWavesPerEU: 29
; NumVGPRsForWavesPerEU: 15
; NamedBarCnt: 0
; Occupancy: 16
; WaveLimiterHint : 1
; COMPUTE_PGM_RSRC2:SCRATCH_EN: 0
; COMPUTE_PGM_RSRC2:USER_SGPR: 2
; COMPUTE_PGM_RSRC2:TRAP_HANDLER: 0
; COMPUTE_PGM_RSRC2:TGID_X_EN: 1
; COMPUTE_PGM_RSRC2:TGID_Y_EN: 0
; COMPUTE_PGM_RSRC2:TGID_Z_EN: 0
; COMPUTE_PGM_RSRC2:TIDIG_COMP_CNT: 0
	.section	.text._ZL11k_bin_bcastIXadL_ZL6op_mulffEE6__halfS0_S0_JPKS0_S2_S2_S2_EEvPKT0_PKT1_PT2_iii15HIP_vector_typeIjLj3EESC_SC_SC_SC_iiiiiiiiiiiDpT3_,"axG",@progbits,_ZL11k_bin_bcastIXadL_ZL6op_mulffEE6__halfS0_S0_JPKS0_S2_S2_S2_EEvPKT0_PKT1_PT2_iii15HIP_vector_typeIjLj3EESC_SC_SC_SC_iiiiiiiiiiiDpT3_,comdat
	.globl	_ZL11k_bin_bcastIXadL_ZL6op_mulffEE6__halfS0_S0_JPKS0_S2_S2_S2_EEvPKT0_PKT1_PT2_iii15HIP_vector_typeIjLj3EESC_SC_SC_SC_iiiiiiiiiiiDpT3_ ; -- Begin function _ZL11k_bin_bcastIXadL_ZL6op_mulffEE6__halfS0_S0_JPKS0_S2_S2_S2_EEvPKT0_PKT1_PT2_iii15HIP_vector_typeIjLj3EESC_SC_SC_SC_iiiiiiiiiiiDpT3_
	.p2align	8
	.type	_ZL11k_bin_bcastIXadL_ZL6op_mulffEE6__halfS0_S0_JPKS0_S2_S2_S2_EEvPKT0_PKT1_PT2_iii15HIP_vector_typeIjLj3EESC_SC_SC_SC_iiiiiiiiiiiDpT3_,@function
_ZL11k_bin_bcastIXadL_ZL6op_mulffEE6__halfS0_S0_JPKS0_S2_S2_S2_EEvPKT0_PKT1_PT2_iii15HIP_vector_typeIjLj3EESC_SC_SC_SC_iiiiiiiiiiiDpT3_: ; @_ZL11k_bin_bcastIXadL_ZL6op_mulffEE6__halfS0_S0_JPKS0_S2_S2_S2_EEvPKT0_PKT1_PT2_iii15HIP_vector_typeIjLj3EESC_SC_SC_SC_iiiiiiiiiiiDpT3_
; %bb.0:
	s_load_b64 s[2:3], s[0:1], 0xbc
	s_bfe_u32 s5, ttmp6, 0x40014
	s_bfe_u32 s16, ttmp6, 0x40010
	;; [unrolled: 1-line block ×3, first 2 shown]
	s_lshr_b32 s4, ttmp7, 16
	s_and_b32 s7, ttmp7, 0xffff
	s_add_co_i32 s5, s5, 1
	s_add_co_i32 s16, s16, 1
	s_load_b256 s[8:15], s[0:1], 0x18
	s_add_co_i32 s19, s19, 1
	s_bfe_u32 s6, ttmp6, 0x40008
	s_bfe_u32 s17, ttmp6, 0x40004
	s_mul_i32 s5, s4, s5
	s_mul_i32 s16, s7, s16
	s_and_b32 s18, ttmp6, 15
	s_mul_i32 s19, ttmp9, s19
	s_add_co_i32 s6, s6, s5
	s_add_co_i32 s17, s17, s16
	;; [unrolled: 1-line block ×3, first 2 shown]
	v_bfe_u32 v1, v0, 20, 10
	s_wait_kmcnt 0x0
	s_lshr_b32 s16, s2, 16
	s_and_b32 s5, s2, 0xffff
	s_getreg_b32 s2, hwreg(HW_REG_IB_STS2, 6, 4)
	s_and_b32 s3, s3, 0xffff
	s_cmp_eq_u32 s2, 0
	v_and_b32_e32 v2, 0x3ff, v0
	s_cselect_b32 s2, s4, s6
	v_bfe_u32 v4, v0, 10, 10
	v_mad_u32 v3, s2, s3, v1
	s_cselect_b32 s2, ttmp9, s18
	s_cselect_b32 s3, s7, s17
	v_mad_u32 v0, s2, s5, v2
	v_mad_u32 v2, s3, s16, v4
	s_delay_alu instid0(VALU_DEP_3) | instskip(NEXT) | instid1(VALU_DEP_3)
	v_mul_hi_u32 v1, v3, s11
	v_cmp_gt_u32_e32 vcc_lo, s8, v0
	s_delay_alu instid0(VALU_DEP_3) | instskip(SKIP_2) | instid1(VALU_DEP_1)
	v_cmp_gt_u32_e64 s2, s9, v2
	s_and_b32 s2, vcc_lo, s2
	v_add_nc_u32_e32 v1, v3, v1
	v_lshrrev_b32_e32 v1, s12, v1
	s_delay_alu instid0(VALU_DEP_1) | instskip(SKIP_3) | instid1(VALU_DEP_1)
	v_mul_lo_u32 v5, v1, s13
	v_cmp_gt_u32_e64 s3, s10, v1
	s_and_b32 s2, s2, s3
	v_sub_nc_u32_e32 v3, v3, v5
	v_cmp_gt_u32_e64 s4, s13, v3
	s_and_b32 s2, s2, s4
	s_delay_alu instid0(SALU_CYCLE_1)
	s_and_saveexec_b32 s3, s2
	s_cbranch_execz .LBB115_6
; %bb.1:
	v_cmp_gt_i32_e32 vcc_lo, s8, v0
	s_and_b32 exec_lo, exec_lo, vcc_lo
	s_cbranch_execz .LBB115_6
; %bb.2:
	s_clause 0x3
	s_load_b256 s[24:31], s[0:1], 0x3c
	s_load_b32 s2, s[0:1], 0x5c
	s_load_b256 s[16:23], s[0:1], 0x60
	s_load_b96 s[36:38], s[0:1], 0x80
	s_add_nc_u64 s[6:7], s[0:1], 0xb0
	s_load_b32 s4, s[6:7], 0x0
	s_clause 0x1
	s_load_b32 s9, s[0:1], 0x38
	s_load_b64 s[10:11], s[0:1], 0x10
	s_wait_kmcnt 0x0
	v_mul_hi_u32 v4, s30, v3
	v_mul_hi_u32 v5, s27, v1
	;; [unrolled: 1-line block ×3, first 2 shown]
	v_mul_lo_u32 v7, v2, s20
	v_mul_lo_u32 v8, v2, s16
	s_delay_alu instid0(VALU_DEP_4) | instskip(NEXT) | instid1(VALU_DEP_3)
	v_dual_add_nc_u32 v4, v3, v4 :: v_dual_add_nc_u32 v5, v1, v5
	v_mad_u32 v7, v1, s21, v7
	s_delay_alu instid0(VALU_DEP_3) | instskip(NEXT) | instid1(VALU_DEP_3)
	v_mad_u32 v8, v1, s17, v8
	v_dual_lshrrev_b32 v4, s31, v4 :: v_dual_lshrrev_b32 v5, s28, v5
	s_delay_alu instid0(VALU_DEP_1) | instskip(SKIP_1) | instid1(VALU_DEP_3)
	v_mul_lo_u32 v4, v4, s2
	v_add_nc_u32_e32 v6, v2, v6
	v_mul_lo_u32 v5, v5, s29
	s_load_b64 s[2:3], s[0:1], 0x0
	v_mad_u32 v8, v3, s18, v8
	s_delay_alu instid0(VALU_DEP_3) | instskip(NEXT) | instid1(VALU_DEP_3)
	v_dual_sub_nc_u32 v4, v3, v4 :: v_dual_lshrrev_b32 v6, s25, v6
	v_sub_nc_u32_e32 v5, v1, v5
	s_delay_alu instid0(VALU_DEP_2) | instskip(NEXT) | instid1(VALU_DEP_3)
	v_mul_lo_u32 v9, v4, s38
	v_mul_lo_u32 v6, v6, s26
	v_mad_u32 v4, v3, s22, v7
	s_load_b256 s[24:31], s[0:1], 0x90
	v_mov_b32_e32 v1, 0
	s_wait_xcnt 0x0
	s_mov_b32 s1, 0
	s_mov_b32 s0, s14
	s_wait_kmcnt 0x0
	s_cmp_lg_u64 s[2:3], 0
	s_mov_b32 s6, s1
	v_mad_u32 v7, v5, s37, v9
	v_sub_nc_u32_e32 v2, v2, v6
	v_mul_lo_u32 v6, s19, v0
	v_dual_mov_b32 v5, v1 :: v_dual_mov_b32 v9, v1
	v_mov_b32_e32 v3, v1
	s_delay_alu instid0(VALU_DEP_2) | instskip(NEXT) | instid1(VALU_DEP_3)
	v_lshl_add_u64 v[4:5], v[4:5], 1, s[2:3]
	v_lshl_add_u64 v[8:9], v[8:9], 1, s[10:11]
	s_mul_i32 s2, s4, s5
	v_mad_u32 v2, v2, s36, v7
	s_cselect_b32 s3, -1, 0
	s_mul_i32 s4, s2, s19
	s_sub_co_i32 s5, 0, s9
	s_branch .LBB115_4
.LBB115_3:                              ;   in Loop: Header=BB115_4 Depth=1
	s_wait_xcnt 0x0
	v_mul_u64_e32 v[10:11], s[0:1], v[0:1]
	s_delay_alu instid0(VALU_DEP_1) | instskip(NEXT) | instid1(VALU_DEP_1)
	v_dual_add_nc_u32 v6, s4, v6 :: v_dual_add_nc_u32 v10, v0, v11
	v_dual_mov_b32 v11, v1 :: v_dual_lshrrev_b32 v10, s15, v10
	s_delay_alu instid0(VALU_DEP_1) | instskip(NEXT) | instid1(VALU_DEP_1)
	v_mad_u32 v10, s5, v10, v0
	v_mul_lo_u32 v10, v10, s23
	s_delay_alu instid0(VALU_DEP_1) | instskip(NEXT) | instid1(VALU_DEP_1)
	v_add_nc_u64_e32 v[10:11], v[10:11], v[2:3]
	v_lshlrev_b64_e32 v[10:11], 1, v[10:11]
	s_delay_alu instid0(VALU_DEP_1)
	v_add_nc_u64_e32 v[12:13], s[24:25], v[10:11]
	v_add_nc_u64_e32 v[14:15], s[26:27], v[10:11]
	global_load_u16 v16, v[12:13], off
	s_wait_xcnt 0x0
	v_add_nc_u64_e32 v[12:13], s[28:29], v[10:11]
	global_load_u16 v17, v[14:15], off
	global_load_u16 v18, v[12:13], off
	v_add_nc_u64_e32 v[10:11], s[30:31], v[10:11]
	global_load_u16 v12, v[10:11], off
	s_wait_loadcnt 0x3
	s_wait_xcnt 0x0
	v_cvt_f32_f16_e32 v10, v16
	s_delay_alu instid0(VALU_DEP_1) | instskip(SKIP_4) | instid1(VALU_DEP_2)
	v_mul_f32_e32 v7, v7, v10
	s_wait_loadcnt 0x2
	v_cvt_f32_f16_e32 v11, v17
	s_wait_loadcnt 0x1
	v_cvt_f32_f16_e32 v13, v18
	v_dual_mov_b32 v10, v0 :: v_dual_mul_f32 v7, v7, v11
	v_dual_ashrrev_i32 v11, 31, v0 :: v_dual_add_nc_u32 v0, s2, v0
	s_delay_alu instid0(VALU_DEP_2) | instskip(NEXT) | instid1(VALU_DEP_2)
	v_mul_f32_e32 v7, v7, v13
	v_lshl_add_u64 v[10:11], v[10:11], 1, v[8:9]
	s_delay_alu instid0(VALU_DEP_3) | instskip(SKIP_1) | instid1(VALU_DEP_3)
	v_cmp_le_i32_e32 vcc_lo, s8, v0
	s_wait_loadcnt 0x0
	v_fma_mixlo_f16 v7, v7, v12, 0 op_sel_hi:[0,1,0]
	s_or_b32 s6, vcc_lo, s6
	global_store_b16 v[10:11], v7, off
	s_wait_xcnt 0x0
	s_and_not1_b32 exec_lo, exec_lo, s6
	s_cbranch_execz .LBB115_6
.LBB115_4:                              ; =>This Inner Loop Header: Depth=1
	v_mov_b32_e32 v7, 0
	s_and_not1_b32 vcc_lo, exec_lo, s3
	s_cbranch_vccnz .LBB115_3
; %bb.5:                                ;   in Loop: Header=BB115_4 Depth=1
	v_ashrrev_i32_e32 v7, 31, v6
	s_delay_alu instid0(VALU_DEP_1)
	v_lshl_add_u64 v[10:11], v[6:7], 1, v[4:5]
	global_load_u16 v7, v[10:11], off
	s_wait_loadcnt 0x0
	v_cvt_f32_f16_e32 v7, v7
	s_branch .LBB115_3
.LBB115_6:
	s_endpgm
	.section	.rodata,"a",@progbits
	.p2align	6, 0x0
	.amdhsa_kernel _ZL11k_bin_bcastIXadL_ZL6op_mulffEE6__halfS0_S0_JPKS0_S2_S2_S2_EEvPKT0_PKT1_PT2_iii15HIP_vector_typeIjLj3EESC_SC_SC_SC_iiiiiiiiiiiDpT3_
		.amdhsa_group_segment_fixed_size 0
		.amdhsa_private_segment_fixed_size 0
		.amdhsa_kernarg_size 432
		.amdhsa_user_sgpr_count 2
		.amdhsa_user_sgpr_dispatch_ptr 0
		.amdhsa_user_sgpr_queue_ptr 0
		.amdhsa_user_sgpr_kernarg_segment_ptr 1
		.amdhsa_user_sgpr_dispatch_id 0
		.amdhsa_user_sgpr_kernarg_preload_length 0
		.amdhsa_user_sgpr_kernarg_preload_offset 0
		.amdhsa_user_sgpr_private_segment_size 0
		.amdhsa_wavefront_size32 1
		.amdhsa_uses_dynamic_stack 0
		.amdhsa_enable_private_segment 0
		.amdhsa_system_sgpr_workgroup_id_x 1
		.amdhsa_system_sgpr_workgroup_id_y 1
		.amdhsa_system_sgpr_workgroup_id_z 1
		.amdhsa_system_sgpr_workgroup_info 0
		.amdhsa_system_vgpr_workitem_id 2
		.amdhsa_next_free_vgpr 19
		.amdhsa_next_free_sgpr 39
		.amdhsa_named_barrier_count 0
		.amdhsa_reserve_vcc 1
		.amdhsa_float_round_mode_32 0
		.amdhsa_float_round_mode_16_64 0
		.amdhsa_float_denorm_mode_32 3
		.amdhsa_float_denorm_mode_16_64 3
		.amdhsa_fp16_overflow 0
		.amdhsa_memory_ordered 1
		.amdhsa_forward_progress 1
		.amdhsa_inst_pref_size 8
		.amdhsa_round_robin_scheduling 0
		.amdhsa_exception_fp_ieee_invalid_op 0
		.amdhsa_exception_fp_denorm_src 0
		.amdhsa_exception_fp_ieee_div_zero 0
		.amdhsa_exception_fp_ieee_overflow 0
		.amdhsa_exception_fp_ieee_underflow 0
		.amdhsa_exception_fp_ieee_inexact 0
		.amdhsa_exception_int_div_zero 0
	.end_amdhsa_kernel
	.section	.text._ZL11k_bin_bcastIXadL_ZL6op_mulffEE6__halfS0_S0_JPKS0_S2_S2_S2_EEvPKT0_PKT1_PT2_iii15HIP_vector_typeIjLj3EESC_SC_SC_SC_iiiiiiiiiiiDpT3_,"axG",@progbits,_ZL11k_bin_bcastIXadL_ZL6op_mulffEE6__halfS0_S0_JPKS0_S2_S2_S2_EEvPKT0_PKT1_PT2_iii15HIP_vector_typeIjLj3EESC_SC_SC_SC_iiiiiiiiiiiDpT3_,comdat
.Lfunc_end115:
	.size	_ZL11k_bin_bcastIXadL_ZL6op_mulffEE6__halfS0_S0_JPKS0_S2_S2_S2_EEvPKT0_PKT1_PT2_iii15HIP_vector_typeIjLj3EESC_SC_SC_SC_iiiiiiiiiiiDpT3_, .Lfunc_end115-_ZL11k_bin_bcastIXadL_ZL6op_mulffEE6__halfS0_S0_JPKS0_S2_S2_S2_EEvPKT0_PKT1_PT2_iii15HIP_vector_typeIjLj3EESC_SC_SC_SC_iiiiiiiiiiiDpT3_
                                        ; -- End function
	.set _ZL11k_bin_bcastIXadL_ZL6op_mulffEE6__halfS0_S0_JPKS0_S2_S2_S2_EEvPKT0_PKT1_PT2_iii15HIP_vector_typeIjLj3EESC_SC_SC_SC_iiiiiiiiiiiDpT3_.num_vgpr, 19
	.set _ZL11k_bin_bcastIXadL_ZL6op_mulffEE6__halfS0_S0_JPKS0_S2_S2_S2_EEvPKT0_PKT1_PT2_iii15HIP_vector_typeIjLj3EESC_SC_SC_SC_iiiiiiiiiiiDpT3_.num_agpr, 0
	.set _ZL11k_bin_bcastIXadL_ZL6op_mulffEE6__halfS0_S0_JPKS0_S2_S2_S2_EEvPKT0_PKT1_PT2_iii15HIP_vector_typeIjLj3EESC_SC_SC_SC_iiiiiiiiiiiDpT3_.numbered_sgpr, 39
	.set _ZL11k_bin_bcastIXadL_ZL6op_mulffEE6__halfS0_S0_JPKS0_S2_S2_S2_EEvPKT0_PKT1_PT2_iii15HIP_vector_typeIjLj3EESC_SC_SC_SC_iiiiiiiiiiiDpT3_.num_named_barrier, 0
	.set _ZL11k_bin_bcastIXadL_ZL6op_mulffEE6__halfS0_S0_JPKS0_S2_S2_S2_EEvPKT0_PKT1_PT2_iii15HIP_vector_typeIjLj3EESC_SC_SC_SC_iiiiiiiiiiiDpT3_.private_seg_size, 0
	.set _ZL11k_bin_bcastIXadL_ZL6op_mulffEE6__halfS0_S0_JPKS0_S2_S2_S2_EEvPKT0_PKT1_PT2_iii15HIP_vector_typeIjLj3EESC_SC_SC_SC_iiiiiiiiiiiDpT3_.uses_vcc, 1
	.set _ZL11k_bin_bcastIXadL_ZL6op_mulffEE6__halfS0_S0_JPKS0_S2_S2_S2_EEvPKT0_PKT1_PT2_iii15HIP_vector_typeIjLj3EESC_SC_SC_SC_iiiiiiiiiiiDpT3_.uses_flat_scratch, 0
	.set _ZL11k_bin_bcastIXadL_ZL6op_mulffEE6__halfS0_S0_JPKS0_S2_S2_S2_EEvPKT0_PKT1_PT2_iii15HIP_vector_typeIjLj3EESC_SC_SC_SC_iiiiiiiiiiiDpT3_.has_dyn_sized_stack, 0
	.set _ZL11k_bin_bcastIXadL_ZL6op_mulffEE6__halfS0_S0_JPKS0_S2_S2_S2_EEvPKT0_PKT1_PT2_iii15HIP_vector_typeIjLj3EESC_SC_SC_SC_iiiiiiiiiiiDpT3_.has_recursion, 0
	.set _ZL11k_bin_bcastIXadL_ZL6op_mulffEE6__halfS0_S0_JPKS0_S2_S2_S2_EEvPKT0_PKT1_PT2_iii15HIP_vector_typeIjLj3EESC_SC_SC_SC_iiiiiiiiiiiDpT3_.has_indirect_call, 0
	.section	.AMDGPU.csdata,"",@progbits
; Kernel info:
; codeLenInByte = 988
; TotalNumSgprs: 41
; NumVgprs: 19
; ScratchSize: 0
; MemoryBound: 0
; FloatMode: 240
; IeeeMode: 1
; LDSByteSize: 0 bytes/workgroup (compile time only)
; SGPRBlocks: 0
; VGPRBlocks: 1
; NumSGPRsForWavesPerEU: 41
; NumVGPRsForWavesPerEU: 19
; NamedBarCnt: 0
; Occupancy: 16
; WaveLimiterHint : 1
; COMPUTE_PGM_RSRC2:SCRATCH_EN: 0
; COMPUTE_PGM_RSRC2:USER_SGPR: 2
; COMPUTE_PGM_RSRC2:TRAP_HANDLER: 0
; COMPUTE_PGM_RSRC2:TGID_X_EN: 1
; COMPUTE_PGM_RSRC2:TGID_Y_EN: 1
; COMPUTE_PGM_RSRC2:TGID_Z_EN: 1
; COMPUTE_PGM_RSRC2:TIDIG_COMP_CNT: 2
	.section	.text._ZL19k_bin_bcast_unravelIXadL_ZL6op_mulffEE6__halffS0_JPKfS2_S2_S2_EEvPKT0_PKT1_PT2_15HIP_vector_typeIjLj3EESC_SC_jSC_SC_SC_SC_SC_SC_iiiiiiiiiiiDpT3_,"axG",@progbits,_ZL19k_bin_bcast_unravelIXadL_ZL6op_mulffEE6__halffS0_JPKfS2_S2_S2_EEvPKT0_PKT1_PT2_15HIP_vector_typeIjLj3EESC_SC_jSC_SC_SC_SC_SC_SC_iiiiiiiiiiiDpT3_,comdat
	.globl	_ZL19k_bin_bcast_unravelIXadL_ZL6op_mulffEE6__halffS0_JPKfS2_S2_S2_EEvPKT0_PKT1_PT2_15HIP_vector_typeIjLj3EESC_SC_jSC_SC_SC_SC_SC_SC_iiiiiiiiiiiDpT3_ ; -- Begin function _ZL19k_bin_bcast_unravelIXadL_ZL6op_mulffEE6__halffS0_JPKfS2_S2_S2_EEvPKT0_PKT1_PT2_15HIP_vector_typeIjLj3EESC_SC_jSC_SC_SC_SC_SC_SC_iiiiiiiiiiiDpT3_
	.p2align	8
	.type	_ZL19k_bin_bcast_unravelIXadL_ZL6op_mulffEE6__halffS0_JPKfS2_S2_S2_EEvPKT0_PKT1_PT2_15HIP_vector_typeIjLj3EESC_SC_jSC_SC_SC_SC_SC_SC_iiiiiiiiiiiDpT3_,@function
_ZL19k_bin_bcast_unravelIXadL_ZL6op_mulffEE6__halffS0_JPKfS2_S2_S2_EEvPKT0_PKT1_PT2_15HIP_vector_typeIjLj3EESC_SC_jSC_SC_SC_SC_SC_SC_iiiiiiiiiiiDpT3_: ; @_ZL19k_bin_bcast_unravelIXadL_ZL6op_mulffEE6__halffS0_JPKfS2_S2_S2_EEvPKT0_PKT1_PT2_15HIP_vector_typeIjLj3EESC_SC_jSC_SC_SC_SC_SC_SC_iiiiiiiiiiiDpT3_
; %bb.0:
	s_load_b32 s2, s[0:1], 0xe4
	s_bfe_u32 s3, ttmp6, 0x4000c
	s_load_b256 s[4:11], s[0:1], 0x38
	s_add_co_i32 s3, s3, 1
	s_and_b32 s12, ttmp6, 15
	s_mul_i32 s3, ttmp9, s3
	s_getreg_b32 s13, hwreg(HW_REG_IB_STS2, 6, 4)
	s_add_co_i32 s12, s12, s3
	s_wait_kmcnt 0x0
	s_and_b32 s2, s2, 0xffff
	s_cmp_eq_u32 s13, 0
	s_cselect_b32 s3, ttmp9, s12
	s_delay_alu instid0(SALU_CYCLE_1) | instskip(SKIP_1) | instid1(VALU_DEP_1)
	v_mad_u32 v0, s3, s2, v0
	s_load_b32 s2, s[0:1], 0x2c
	v_mul_hi_u32 v1, v0, s6
	s_delay_alu instid0(VALU_DEP_1) | instskip(NEXT) | instid1(VALU_DEP_1)
	v_add_nc_u32_e32 v1, v0, v1
	v_lshrrev_b32_e32 v1, s7, v1
	s_delay_alu instid0(VALU_DEP_1) | instskip(NEXT) | instid1(VALU_DEP_1)
	v_mul_lo_u32 v2, v1, s8
	v_sub_nc_u32_e32 v0, v0, v2
	s_delay_alu instid0(VALU_DEP_1) | instskip(NEXT) | instid1(VALU_DEP_1)
	v_mul_hi_u32 v2, v0, s9
	v_add_nc_u32_e32 v2, v0, v2
	s_delay_alu instid0(VALU_DEP_1) | instskip(SKIP_1) | instid1(VALU_DEP_1)
	v_lshrrev_b32_e32 v2, s10, v2
	s_load_b96 s[8:10], s[0:1], 0x18
	v_mul_lo_u32 v3, v2, s11
	s_delay_alu instid0(VALU_DEP_1) | instskip(SKIP_3) | instid1(VALU_DEP_3)
	v_sub_nc_u32_e32 v0, v0, v3
	v_cmp_gt_u32_e64 s3, s4, v2
	v_cmp_gt_u32_e64 s4, s5, v1
	s_wait_kmcnt 0x0
	v_mul_hi_u32 v3, v0, s8
	s_delay_alu instid0(VALU_DEP_1) | instskip(NEXT) | instid1(VALU_DEP_1)
	v_add_nc_u32_e32 v3, v0, v3
	v_lshrrev_b32_e32 v4, s9, v3
	s_delay_alu instid0(VALU_DEP_1) | instskip(NEXT) | instid1(VALU_DEP_1)
	v_mul_lo_u32 v3, v4, s10
	v_sub_nc_u32_e32 v0, v0, v3
	v_cmp_gt_u32_e64 s2, s2, v4
	s_delay_alu instid0(VALU_DEP_2) | instskip(SKIP_1) | instid1(SALU_CYCLE_1)
	v_cmp_gt_u32_e32 vcc_lo, s10, v0
	s_and_b32 s2, vcc_lo, s2
	s_and_b32 s2, s2, s3
	s_delay_alu instid0(SALU_CYCLE_1) | instskip(NEXT) | instid1(SALU_CYCLE_1)
	s_and_b32 s2, s4, s2
	s_and_saveexec_b32 s3, s2
	s_cbranch_execz .LBB116_4
; %bb.1:
	s_clause 0x4
	s_load_b64 s[2:3], s[0:1], 0x0
	s_load_b96 s[24:26], s[0:1], 0xa8
	s_load_b256 s[4:11], s[0:1], 0x88
	s_load_b128 s[20:23], s[0:1], 0x78
	s_load_b256 s[12:19], s[0:1], 0x58
	v_dual_mov_b32 v3, 0 :: v_dual_mov_b32 v5, 0
	s_wait_kmcnt 0x0
	s_cmp_eq_u64 s[2:3], 0
	s_cbranch_scc1 .LBB116_3
; %bb.2:
	v_mul_lo_u32 v5, v1, s10
	v_mov_b32_e32 v7, 0
	s_delay_alu instid0(VALU_DEP_2) | instskip(NEXT) | instid1(VALU_DEP_1)
	v_mad_u32 v5, v2, s9, v5
	v_mad_u32 v6, v4, s8, v5
	s_delay_alu instid0(VALU_DEP_1) | instskip(SKIP_1) | instid1(VALU_DEP_1)
	v_lshl_add_u64 v[8:9], v[6:7], 1, s[2:3]
	v_mul_lo_u32 v6, v0, s7
	v_lshl_add_u64 v[6:7], v[6:7], 1, v[8:9]
	global_load_u16 v5, v[6:7], off
	s_wait_loadcnt 0x0
	v_cvt_f32_f16_e32 v5, v5
.LBB116_3:
	v_mul_hi_u32 v6, s21, v1
	v_mul_hi_u32 v7, s18, v2
	;; [unrolled: 1-line block ×4, first 2 shown]
	s_delay_alu instid0(VALU_DEP_3) | instskip(NEXT) | instid1(VALU_DEP_1)
	v_dual_add_nc_u32 v6, v1, v6 :: v_dual_add_nc_u32 v7, v2, v7
	v_dual_lshrrev_b32 v6, s22, v6 :: v_dual_lshrrev_b32 v7, s19, v7
	s_delay_alu instid0(VALU_DEP_1) | instskip(SKIP_1) | instid1(VALU_DEP_3)
	v_mul_lo_u32 v6, v6, s23
	v_add_nc_u32_e32 v8, v4, v8
	v_mul_lo_u32 v7, v7, s20
	s_delay_alu instid0(VALU_DEP_3) | instskip(NEXT) | instid1(VALU_DEP_3)
	v_dual_sub_nc_u32 v6, v1, v6 :: v_dual_add_nc_u32 v9, v0, v9
	v_lshrrev_b32_e32 v8, s16, v8
	v_mul_lo_u32 v1, v1, s6
	s_delay_alu instid0(VALU_DEP_4) | instskip(NEXT) | instid1(VALU_DEP_4)
	v_sub_nc_u32_e32 v7, v2, v7
	v_mul_lo_u32 v6, v6, s26
	v_lshrrev_b32_e32 v9, s13, v9
	v_mul_lo_u32 v8, v8, s17
	s_delay_alu instid0(VALU_DEP_2) | instskip(SKIP_2) | instid1(VALU_DEP_4)
	v_mul_lo_u32 v9, v9, s14
	v_mad_u32 v1, v2, s5, v1
	v_mad_u32 v7, v7, s25, v6
	v_sub_nc_u32_e32 v8, v4, v8
	s_delay_alu instid0(VALU_DEP_3) | instskip(NEXT) | instid1(VALU_DEP_2)
	v_mad_u32 v2, v4, s4, v1
	v_mad_u32 v8, v8, s24, v7
	s_delay_alu instid0(VALU_DEP_1) | instskip(NEXT) | instid1(VALU_DEP_1)
	v_dual_sub_nc_u32 v6, v0, v9 :: v_dual_ashrrev_i32 v9, 31, v8
	v_mul_lo_u32 v6, v6, s11
	s_load_b256 s[8:15], s[0:1], 0xb8
	s_delay_alu instid0(VALU_DEP_1) | instskip(SKIP_2) | instid1(VALU_DEP_1)
	v_ashrrev_i32_e32 v7, 31, v6
	s_wait_xcnt 0x0
	s_load_b64 s[0:1], s[0:1], 0x10
	v_add_nc_u64_e32 v[6:7], v[6:7], v[8:9]
	s_delay_alu instid0(VALU_DEP_1) | instskip(SKIP_1) | instid1(VALU_DEP_1)
	v_lshlrev_b64_e32 v[6:7], 2, v[6:7]
	s_wait_kmcnt 0x0
	v_add_nc_u64_e32 v[8:9], s[8:9], v[6:7]
	v_add_nc_u64_e32 v[10:11], s[10:11], v[6:7]
	global_load_b32 v12, v[8:9], off
	s_wait_xcnt 0x0
	v_add_nc_u64_e32 v[8:9], s[12:13], v[6:7]
	global_load_b32 v10, v[10:11], off
	v_add_nc_u64_e32 v[6:7], s[14:15], v[6:7]
	global_load_b32 v11, v[8:9], off
	global_load_b32 v13, v[6:7], off
	s_wait_loadcnt 0x3
	v_mul_f32_e32 v1, v5, v12
	s_wait_loadcnt 0x2
	s_delay_alu instid0(VALU_DEP_1) | instskip(SKIP_2) | instid1(VALU_DEP_2)
	v_dual_mul_f32 v4, v1, v10 :: v_dual_mov_b32 v1, v3
	v_lshl_add_u64 v[2:3], v[2:3], 1, s[0:1]
	s_wait_loadcnt 0x1
	v_mul_f32_e32 v4, v4, v11
	s_delay_alu instid0(VALU_DEP_2) | instskip(SKIP_1) | instid1(VALU_DEP_2)
	v_lshl_add_u64 v[0:1], v[0:1], 1, v[2:3]
	s_wait_loadcnt 0x0
	v_fma_mixlo_f16 v4, v4, v13, 0
	global_store_b16 v[0:1], v4, off
.LBB116_4:
	s_endpgm
	.section	.rodata,"a",@progbits
	.p2align	6, 0x0
	.amdhsa_kernel _ZL19k_bin_bcast_unravelIXadL_ZL6op_mulffEE6__halffS0_JPKfS2_S2_S2_EEvPKT0_PKT1_PT2_15HIP_vector_typeIjLj3EESC_SC_jSC_SC_SC_SC_SC_SC_iiiiiiiiiiiDpT3_
		.amdhsa_group_segment_fixed_size 0
		.amdhsa_private_segment_fixed_size 0
		.amdhsa_kernarg_size 472
		.amdhsa_user_sgpr_count 2
		.amdhsa_user_sgpr_dispatch_ptr 0
		.amdhsa_user_sgpr_queue_ptr 0
		.amdhsa_user_sgpr_kernarg_segment_ptr 1
		.amdhsa_user_sgpr_dispatch_id 0
		.amdhsa_user_sgpr_kernarg_preload_length 0
		.amdhsa_user_sgpr_kernarg_preload_offset 0
		.amdhsa_user_sgpr_private_segment_size 0
		.amdhsa_wavefront_size32 1
		.amdhsa_uses_dynamic_stack 0
		.amdhsa_enable_private_segment 0
		.amdhsa_system_sgpr_workgroup_id_x 1
		.amdhsa_system_sgpr_workgroup_id_y 0
		.amdhsa_system_sgpr_workgroup_id_z 0
		.amdhsa_system_sgpr_workgroup_info 0
		.amdhsa_system_vgpr_workitem_id 0
		.amdhsa_next_free_vgpr 14
		.amdhsa_next_free_sgpr 27
		.amdhsa_named_barrier_count 0
		.amdhsa_reserve_vcc 1
		.amdhsa_float_round_mode_32 0
		.amdhsa_float_round_mode_16_64 0
		.amdhsa_float_denorm_mode_32 3
		.amdhsa_float_denorm_mode_16_64 3
		.amdhsa_fp16_overflow 0
		.amdhsa_memory_ordered 1
		.amdhsa_forward_progress 1
		.amdhsa_inst_pref_size 7
		.amdhsa_round_robin_scheduling 0
		.amdhsa_exception_fp_ieee_invalid_op 0
		.amdhsa_exception_fp_denorm_src 0
		.amdhsa_exception_fp_ieee_div_zero 0
		.amdhsa_exception_fp_ieee_overflow 0
		.amdhsa_exception_fp_ieee_underflow 0
		.amdhsa_exception_fp_ieee_inexact 0
		.amdhsa_exception_int_div_zero 0
	.end_amdhsa_kernel
	.section	.text._ZL19k_bin_bcast_unravelIXadL_ZL6op_mulffEE6__halffS0_JPKfS2_S2_S2_EEvPKT0_PKT1_PT2_15HIP_vector_typeIjLj3EESC_SC_jSC_SC_SC_SC_SC_SC_iiiiiiiiiiiDpT3_,"axG",@progbits,_ZL19k_bin_bcast_unravelIXadL_ZL6op_mulffEE6__halffS0_JPKfS2_S2_S2_EEvPKT0_PKT1_PT2_15HIP_vector_typeIjLj3EESC_SC_jSC_SC_SC_SC_SC_SC_iiiiiiiiiiiDpT3_,comdat
.Lfunc_end116:
	.size	_ZL19k_bin_bcast_unravelIXadL_ZL6op_mulffEE6__halffS0_JPKfS2_S2_S2_EEvPKT0_PKT1_PT2_15HIP_vector_typeIjLj3EESC_SC_jSC_SC_SC_SC_SC_SC_iiiiiiiiiiiDpT3_, .Lfunc_end116-_ZL19k_bin_bcast_unravelIXadL_ZL6op_mulffEE6__halffS0_JPKfS2_S2_S2_EEvPKT0_PKT1_PT2_15HIP_vector_typeIjLj3EESC_SC_jSC_SC_SC_SC_SC_SC_iiiiiiiiiiiDpT3_
                                        ; -- End function
	.set _ZL19k_bin_bcast_unravelIXadL_ZL6op_mulffEE6__halffS0_JPKfS2_S2_S2_EEvPKT0_PKT1_PT2_15HIP_vector_typeIjLj3EESC_SC_jSC_SC_SC_SC_SC_SC_iiiiiiiiiiiDpT3_.num_vgpr, 14
	.set _ZL19k_bin_bcast_unravelIXadL_ZL6op_mulffEE6__halffS0_JPKfS2_S2_S2_EEvPKT0_PKT1_PT2_15HIP_vector_typeIjLj3EESC_SC_jSC_SC_SC_SC_SC_SC_iiiiiiiiiiiDpT3_.num_agpr, 0
	.set _ZL19k_bin_bcast_unravelIXadL_ZL6op_mulffEE6__halffS0_JPKfS2_S2_S2_EEvPKT0_PKT1_PT2_15HIP_vector_typeIjLj3EESC_SC_jSC_SC_SC_SC_SC_SC_iiiiiiiiiiiDpT3_.numbered_sgpr, 27
	.set _ZL19k_bin_bcast_unravelIXadL_ZL6op_mulffEE6__halffS0_JPKfS2_S2_S2_EEvPKT0_PKT1_PT2_15HIP_vector_typeIjLj3EESC_SC_jSC_SC_SC_SC_SC_SC_iiiiiiiiiiiDpT3_.num_named_barrier, 0
	.set _ZL19k_bin_bcast_unravelIXadL_ZL6op_mulffEE6__halffS0_JPKfS2_S2_S2_EEvPKT0_PKT1_PT2_15HIP_vector_typeIjLj3EESC_SC_jSC_SC_SC_SC_SC_SC_iiiiiiiiiiiDpT3_.private_seg_size, 0
	.set _ZL19k_bin_bcast_unravelIXadL_ZL6op_mulffEE6__halffS0_JPKfS2_S2_S2_EEvPKT0_PKT1_PT2_15HIP_vector_typeIjLj3EESC_SC_jSC_SC_SC_SC_SC_SC_iiiiiiiiiiiDpT3_.uses_vcc, 1
	.set _ZL19k_bin_bcast_unravelIXadL_ZL6op_mulffEE6__halffS0_JPKfS2_S2_S2_EEvPKT0_PKT1_PT2_15HIP_vector_typeIjLj3EESC_SC_jSC_SC_SC_SC_SC_SC_iiiiiiiiiiiDpT3_.uses_flat_scratch, 0
	.set _ZL19k_bin_bcast_unravelIXadL_ZL6op_mulffEE6__halffS0_JPKfS2_S2_S2_EEvPKT0_PKT1_PT2_15HIP_vector_typeIjLj3EESC_SC_jSC_SC_SC_SC_SC_SC_iiiiiiiiiiiDpT3_.has_dyn_sized_stack, 0
	.set _ZL19k_bin_bcast_unravelIXadL_ZL6op_mulffEE6__halffS0_JPKfS2_S2_S2_EEvPKT0_PKT1_PT2_15HIP_vector_typeIjLj3EESC_SC_jSC_SC_SC_SC_SC_SC_iiiiiiiiiiiDpT3_.has_recursion, 0
	.set _ZL19k_bin_bcast_unravelIXadL_ZL6op_mulffEE6__halffS0_JPKfS2_S2_S2_EEvPKT0_PKT1_PT2_15HIP_vector_typeIjLj3EESC_SC_jSC_SC_SC_SC_SC_SC_iiiiiiiiiiiDpT3_.has_indirect_call, 0
	.section	.AMDGPU.csdata,"",@progbits
; Kernel info:
; codeLenInByte = 820
; TotalNumSgprs: 29
; NumVgprs: 14
; ScratchSize: 0
; MemoryBound: 0
; FloatMode: 240
; IeeeMode: 1
; LDSByteSize: 0 bytes/workgroup (compile time only)
; SGPRBlocks: 0
; VGPRBlocks: 0
; NumSGPRsForWavesPerEU: 29
; NumVGPRsForWavesPerEU: 14
; NamedBarCnt: 0
; Occupancy: 16
; WaveLimiterHint : 1
; COMPUTE_PGM_RSRC2:SCRATCH_EN: 0
; COMPUTE_PGM_RSRC2:USER_SGPR: 2
; COMPUTE_PGM_RSRC2:TRAP_HANDLER: 0
; COMPUTE_PGM_RSRC2:TGID_X_EN: 1
; COMPUTE_PGM_RSRC2:TGID_Y_EN: 0
; COMPUTE_PGM_RSRC2:TGID_Z_EN: 0
; COMPUTE_PGM_RSRC2:TIDIG_COMP_CNT: 0
	.section	.text._ZL11k_bin_bcastIXadL_ZL6op_mulffEE6__halffS0_JPKfS2_S2_S2_EEvPKT0_PKT1_PT2_iii15HIP_vector_typeIjLj3EESC_SC_SC_SC_iiiiiiiiiiiDpT3_,"axG",@progbits,_ZL11k_bin_bcastIXadL_ZL6op_mulffEE6__halffS0_JPKfS2_S2_S2_EEvPKT0_PKT1_PT2_iii15HIP_vector_typeIjLj3EESC_SC_SC_SC_iiiiiiiiiiiDpT3_,comdat
	.globl	_ZL11k_bin_bcastIXadL_ZL6op_mulffEE6__halffS0_JPKfS2_S2_S2_EEvPKT0_PKT1_PT2_iii15HIP_vector_typeIjLj3EESC_SC_SC_SC_iiiiiiiiiiiDpT3_ ; -- Begin function _ZL11k_bin_bcastIXadL_ZL6op_mulffEE6__halffS0_JPKfS2_S2_S2_EEvPKT0_PKT1_PT2_iii15HIP_vector_typeIjLj3EESC_SC_SC_SC_iiiiiiiiiiiDpT3_
	.p2align	8
	.type	_ZL11k_bin_bcastIXadL_ZL6op_mulffEE6__halffS0_JPKfS2_S2_S2_EEvPKT0_PKT1_PT2_iii15HIP_vector_typeIjLj3EESC_SC_SC_SC_iiiiiiiiiiiDpT3_,@function
_ZL11k_bin_bcastIXadL_ZL6op_mulffEE6__halffS0_JPKfS2_S2_S2_EEvPKT0_PKT1_PT2_iii15HIP_vector_typeIjLj3EESC_SC_SC_SC_iiiiiiiiiiiDpT3_: ; @_ZL11k_bin_bcastIXadL_ZL6op_mulffEE6__halffS0_JPKfS2_S2_S2_EEvPKT0_PKT1_PT2_iii15HIP_vector_typeIjLj3EESC_SC_SC_SC_iiiiiiiiiiiDpT3_
; %bb.0:
	s_load_b64 s[2:3], s[0:1], 0xbc
	s_bfe_u32 s5, ttmp6, 0x40014
	s_bfe_u32 s16, ttmp6, 0x40010
	;; [unrolled: 1-line block ×3, first 2 shown]
	s_lshr_b32 s4, ttmp7, 16
	s_and_b32 s7, ttmp7, 0xffff
	s_add_co_i32 s5, s5, 1
	s_add_co_i32 s16, s16, 1
	s_load_b256 s[8:15], s[0:1], 0x18
	s_add_co_i32 s19, s19, 1
	s_bfe_u32 s6, ttmp6, 0x40008
	s_bfe_u32 s17, ttmp6, 0x40004
	s_mul_i32 s5, s4, s5
	s_mul_i32 s16, s7, s16
	s_and_b32 s18, ttmp6, 15
	s_mul_i32 s19, ttmp9, s19
	s_add_co_i32 s6, s6, s5
	s_add_co_i32 s17, s17, s16
	;; [unrolled: 1-line block ×3, first 2 shown]
	v_bfe_u32 v1, v0, 20, 10
	s_wait_kmcnt 0x0
	s_lshr_b32 s16, s2, 16
	s_and_b32 s5, s2, 0xffff
	s_getreg_b32 s2, hwreg(HW_REG_IB_STS2, 6, 4)
	s_and_b32 s3, s3, 0xffff
	s_cmp_eq_u32 s2, 0
	v_and_b32_e32 v2, 0x3ff, v0
	s_cselect_b32 s2, s4, s6
	v_bfe_u32 v4, v0, 10, 10
	v_mad_u32 v3, s2, s3, v1
	s_cselect_b32 s2, ttmp9, s18
	s_cselect_b32 s3, s7, s17
	v_mad_u32 v0, s2, s5, v2
	v_mad_u32 v2, s3, s16, v4
	s_delay_alu instid0(VALU_DEP_3) | instskip(NEXT) | instid1(VALU_DEP_3)
	v_mul_hi_u32 v1, v3, s11
	v_cmp_gt_u32_e32 vcc_lo, s8, v0
	s_delay_alu instid0(VALU_DEP_3) | instskip(SKIP_2) | instid1(VALU_DEP_1)
	v_cmp_gt_u32_e64 s2, s9, v2
	s_and_b32 s2, vcc_lo, s2
	v_add_nc_u32_e32 v1, v3, v1
	v_lshrrev_b32_e32 v1, s12, v1
	s_delay_alu instid0(VALU_DEP_1) | instskip(SKIP_3) | instid1(VALU_DEP_1)
	v_mul_lo_u32 v5, v1, s13
	v_cmp_gt_u32_e64 s3, s10, v1
	s_and_b32 s2, s2, s3
	v_sub_nc_u32_e32 v3, v3, v5
	v_cmp_gt_u32_e64 s4, s13, v3
	s_and_b32 s2, s2, s4
	s_delay_alu instid0(SALU_CYCLE_1)
	s_and_saveexec_b32 s3, s2
	s_cbranch_execz .LBB117_6
; %bb.1:
	v_cmp_gt_i32_e32 vcc_lo, s8, v0
	s_and_b32 exec_lo, exec_lo, vcc_lo
	s_cbranch_execz .LBB117_6
; %bb.2:
	s_clause 0x3
	s_load_b256 s[24:31], s[0:1], 0x3c
	s_load_b32 s2, s[0:1], 0x5c
	s_load_b256 s[16:23], s[0:1], 0x60
	s_load_b96 s[36:38], s[0:1], 0x80
	s_add_nc_u64 s[6:7], s[0:1], 0xb0
	s_load_b32 s4, s[6:7], 0x0
	s_clause 0x1
	s_load_b32 s9, s[0:1], 0x38
	s_load_b64 s[10:11], s[0:1], 0x10
	s_wait_kmcnt 0x0
	v_mul_hi_u32 v4, s30, v3
	v_mul_hi_u32 v5, s27, v1
	;; [unrolled: 1-line block ×3, first 2 shown]
	v_mul_lo_u32 v7, v2, s20
	v_mul_lo_u32 v8, v2, s16
	s_delay_alu instid0(VALU_DEP_4) | instskip(NEXT) | instid1(VALU_DEP_3)
	v_dual_add_nc_u32 v4, v3, v4 :: v_dual_add_nc_u32 v5, v1, v5
	v_mad_u32 v7, v1, s21, v7
	s_delay_alu instid0(VALU_DEP_3) | instskip(NEXT) | instid1(VALU_DEP_3)
	v_mad_u32 v8, v1, s17, v8
	v_dual_lshrrev_b32 v4, s31, v4 :: v_dual_lshrrev_b32 v5, s28, v5
	s_delay_alu instid0(VALU_DEP_1) | instskip(SKIP_1) | instid1(VALU_DEP_3)
	v_mul_lo_u32 v4, v4, s2
	v_add_nc_u32_e32 v6, v2, v6
	v_mul_lo_u32 v5, v5, s29
	s_load_b64 s[2:3], s[0:1], 0x0
	v_mad_u32 v8, v3, s18, v8
	s_delay_alu instid0(VALU_DEP_3) | instskip(NEXT) | instid1(VALU_DEP_3)
	v_dual_sub_nc_u32 v4, v3, v4 :: v_dual_lshrrev_b32 v6, s25, v6
	v_sub_nc_u32_e32 v5, v1, v5
	s_delay_alu instid0(VALU_DEP_2) | instskip(NEXT) | instid1(VALU_DEP_3)
	v_mul_lo_u32 v9, v4, s38
	v_mul_lo_u32 v6, v6, s26
	v_mad_u32 v4, v3, s22, v7
	s_load_b256 s[24:31], s[0:1], 0x90
	v_mov_b32_e32 v1, 0
	s_wait_xcnt 0x0
	s_mov_b32 s1, 0
	s_mov_b32 s0, s14
	s_wait_kmcnt 0x0
	s_cmp_lg_u64 s[2:3], 0
	s_mov_b32 s6, s1
	v_mad_u32 v7, v5, s37, v9
	v_sub_nc_u32_e32 v2, v2, v6
	v_mul_lo_u32 v6, s19, v0
	v_dual_mov_b32 v5, v1 :: v_dual_mov_b32 v9, v1
	v_mov_b32_e32 v3, v1
	s_delay_alu instid0(VALU_DEP_2) | instskip(NEXT) | instid1(VALU_DEP_3)
	v_lshl_add_u64 v[4:5], v[4:5], 1, s[2:3]
	v_lshl_add_u64 v[8:9], v[8:9], 1, s[10:11]
	s_mul_i32 s2, s4, s5
	v_mad_u32 v2, v2, s36, v7
	s_cselect_b32 s3, -1, 0
	s_mul_i32 s4, s2, s19
	s_sub_co_i32 s5, 0, s9
	s_branch .LBB117_4
.LBB117_3:                              ;   in Loop: Header=BB117_4 Depth=1
	s_wait_xcnt 0x0
	v_mul_u64_e32 v[10:11], s[0:1], v[0:1]
	s_delay_alu instid0(VALU_DEP_1) | instskip(NEXT) | instid1(VALU_DEP_1)
	v_dual_add_nc_u32 v6, s4, v6 :: v_dual_add_nc_u32 v10, v0, v11
	v_dual_mov_b32 v11, v1 :: v_dual_lshrrev_b32 v10, s15, v10
	s_delay_alu instid0(VALU_DEP_1) | instskip(NEXT) | instid1(VALU_DEP_1)
	v_mad_u32 v10, s5, v10, v0
	v_mul_lo_u32 v10, v10, s23
	s_delay_alu instid0(VALU_DEP_1) | instskip(NEXT) | instid1(VALU_DEP_1)
	v_add_nc_u64_e32 v[10:11], v[10:11], v[2:3]
	v_lshlrev_b64_e32 v[10:11], 2, v[10:11]
	s_delay_alu instid0(VALU_DEP_1)
	v_add_nc_u64_e32 v[12:13], s[24:25], v[10:11]
	v_add_nc_u64_e32 v[14:15], s[26:27], v[10:11]
	global_load_b32 v16, v[12:13], off
	s_wait_xcnt 0x0
	v_add_nc_u64_e32 v[12:13], s[28:29], v[10:11]
	global_load_b32 v14, v[14:15], off
	v_add_nc_u64_e32 v[10:11], s[30:31], v[10:11]
	global_load_b32 v15, v[12:13], off
	global_load_b32 v17, v[10:11], off
	s_wait_xcnt 0x0
	v_dual_mov_b32 v10, v0 :: v_dual_ashrrev_i32 v11, 31, v0
	v_add_nc_u32_e32 v0, s2, v0
	s_delay_alu instid0(VALU_DEP_2) | instskip(NEXT) | instid1(VALU_DEP_2)
	v_lshl_add_u64 v[10:11], v[10:11], 1, v[8:9]
	v_cmp_le_i32_e32 vcc_lo, s8, v0
	s_or_b32 s6, vcc_lo, s6
	s_wait_loadcnt 0x3
	v_mul_f32_e32 v7, v7, v16
	s_wait_loadcnt 0x2
	s_delay_alu instid0(VALU_DEP_1) | instskip(SKIP_1) | instid1(VALU_DEP_1)
	v_mul_f32_e32 v7, v7, v14
	s_wait_loadcnt 0x1
	v_mul_f32_e32 v7, v7, v15
	s_wait_loadcnt 0x0
	s_delay_alu instid0(VALU_DEP_1)
	v_fma_mixlo_f16 v7, v7, v17, 0
	global_store_b16 v[10:11], v7, off
	s_wait_xcnt 0x0
	s_and_not1_b32 exec_lo, exec_lo, s6
	s_cbranch_execz .LBB117_6
.LBB117_4:                              ; =>This Inner Loop Header: Depth=1
	v_mov_b32_e32 v7, 0
	s_and_not1_b32 vcc_lo, exec_lo, s3
	s_cbranch_vccnz .LBB117_3
; %bb.5:                                ;   in Loop: Header=BB117_4 Depth=1
	v_ashrrev_i32_e32 v7, 31, v6
	s_delay_alu instid0(VALU_DEP_1)
	v_lshl_add_u64 v[10:11], v[6:7], 1, v[4:5]
	global_load_u16 v7, v[10:11], off
	s_wait_loadcnt 0x0
	v_cvt_f32_f16_e32 v7, v7
	s_branch .LBB117_3
.LBB117_6:
	s_endpgm
	.section	.rodata,"a",@progbits
	.p2align	6, 0x0
	.amdhsa_kernel _ZL11k_bin_bcastIXadL_ZL6op_mulffEE6__halffS0_JPKfS2_S2_S2_EEvPKT0_PKT1_PT2_iii15HIP_vector_typeIjLj3EESC_SC_SC_SC_iiiiiiiiiiiDpT3_
		.amdhsa_group_segment_fixed_size 0
		.amdhsa_private_segment_fixed_size 0
		.amdhsa_kernarg_size 432
		.amdhsa_user_sgpr_count 2
		.amdhsa_user_sgpr_dispatch_ptr 0
		.amdhsa_user_sgpr_queue_ptr 0
		.amdhsa_user_sgpr_kernarg_segment_ptr 1
		.amdhsa_user_sgpr_dispatch_id 0
		.amdhsa_user_sgpr_kernarg_preload_length 0
		.amdhsa_user_sgpr_kernarg_preload_offset 0
		.amdhsa_user_sgpr_private_segment_size 0
		.amdhsa_wavefront_size32 1
		.amdhsa_uses_dynamic_stack 0
		.amdhsa_enable_private_segment 0
		.amdhsa_system_sgpr_workgroup_id_x 1
		.amdhsa_system_sgpr_workgroup_id_y 1
		.amdhsa_system_sgpr_workgroup_id_z 1
		.amdhsa_system_sgpr_workgroup_info 0
		.amdhsa_system_vgpr_workitem_id 2
		.amdhsa_next_free_vgpr 18
		.amdhsa_next_free_sgpr 39
		.amdhsa_named_barrier_count 0
		.amdhsa_reserve_vcc 1
		.amdhsa_float_round_mode_32 0
		.amdhsa_float_round_mode_16_64 0
		.amdhsa_float_denorm_mode_32 3
		.amdhsa_float_denorm_mode_16_64 3
		.amdhsa_fp16_overflow 0
		.amdhsa_memory_ordered 1
		.amdhsa_forward_progress 1
		.amdhsa_inst_pref_size 8
		.amdhsa_round_robin_scheduling 0
		.amdhsa_exception_fp_ieee_invalid_op 0
		.amdhsa_exception_fp_denorm_src 0
		.amdhsa_exception_fp_ieee_div_zero 0
		.amdhsa_exception_fp_ieee_overflow 0
		.amdhsa_exception_fp_ieee_underflow 0
		.amdhsa_exception_fp_ieee_inexact 0
		.amdhsa_exception_int_div_zero 0
	.end_amdhsa_kernel
	.section	.text._ZL11k_bin_bcastIXadL_ZL6op_mulffEE6__halffS0_JPKfS2_S2_S2_EEvPKT0_PKT1_PT2_iii15HIP_vector_typeIjLj3EESC_SC_SC_SC_iiiiiiiiiiiDpT3_,"axG",@progbits,_ZL11k_bin_bcastIXadL_ZL6op_mulffEE6__halffS0_JPKfS2_S2_S2_EEvPKT0_PKT1_PT2_iii15HIP_vector_typeIjLj3EESC_SC_SC_SC_iiiiiiiiiiiDpT3_,comdat
.Lfunc_end117:
	.size	_ZL11k_bin_bcastIXadL_ZL6op_mulffEE6__halffS0_JPKfS2_S2_S2_EEvPKT0_PKT1_PT2_iii15HIP_vector_typeIjLj3EESC_SC_SC_SC_iiiiiiiiiiiDpT3_, .Lfunc_end117-_ZL11k_bin_bcastIXadL_ZL6op_mulffEE6__halffS0_JPKfS2_S2_S2_EEvPKT0_PKT1_PT2_iii15HIP_vector_typeIjLj3EESC_SC_SC_SC_iiiiiiiiiiiDpT3_
                                        ; -- End function
	.set _ZL11k_bin_bcastIXadL_ZL6op_mulffEE6__halffS0_JPKfS2_S2_S2_EEvPKT0_PKT1_PT2_iii15HIP_vector_typeIjLj3EESC_SC_SC_SC_iiiiiiiiiiiDpT3_.num_vgpr, 18
	.set _ZL11k_bin_bcastIXadL_ZL6op_mulffEE6__halffS0_JPKfS2_S2_S2_EEvPKT0_PKT1_PT2_iii15HIP_vector_typeIjLj3EESC_SC_SC_SC_iiiiiiiiiiiDpT3_.num_agpr, 0
	.set _ZL11k_bin_bcastIXadL_ZL6op_mulffEE6__halffS0_JPKfS2_S2_S2_EEvPKT0_PKT1_PT2_iii15HIP_vector_typeIjLj3EESC_SC_SC_SC_iiiiiiiiiiiDpT3_.numbered_sgpr, 39
	.set _ZL11k_bin_bcastIXadL_ZL6op_mulffEE6__halffS0_JPKfS2_S2_S2_EEvPKT0_PKT1_PT2_iii15HIP_vector_typeIjLj3EESC_SC_SC_SC_iiiiiiiiiiiDpT3_.num_named_barrier, 0
	.set _ZL11k_bin_bcastIXadL_ZL6op_mulffEE6__halffS0_JPKfS2_S2_S2_EEvPKT0_PKT1_PT2_iii15HIP_vector_typeIjLj3EESC_SC_SC_SC_iiiiiiiiiiiDpT3_.private_seg_size, 0
	.set _ZL11k_bin_bcastIXadL_ZL6op_mulffEE6__halffS0_JPKfS2_S2_S2_EEvPKT0_PKT1_PT2_iii15HIP_vector_typeIjLj3EESC_SC_SC_SC_iiiiiiiiiiiDpT3_.uses_vcc, 1
	.set _ZL11k_bin_bcastIXadL_ZL6op_mulffEE6__halffS0_JPKfS2_S2_S2_EEvPKT0_PKT1_PT2_iii15HIP_vector_typeIjLj3EESC_SC_SC_SC_iiiiiiiiiiiDpT3_.uses_flat_scratch, 0
	.set _ZL11k_bin_bcastIXadL_ZL6op_mulffEE6__halffS0_JPKfS2_S2_S2_EEvPKT0_PKT1_PT2_iii15HIP_vector_typeIjLj3EESC_SC_SC_SC_iiiiiiiiiiiDpT3_.has_dyn_sized_stack, 0
	.set _ZL11k_bin_bcastIXadL_ZL6op_mulffEE6__halffS0_JPKfS2_S2_S2_EEvPKT0_PKT1_PT2_iii15HIP_vector_typeIjLj3EESC_SC_SC_SC_iiiiiiiiiiiDpT3_.has_recursion, 0
	.set _ZL11k_bin_bcastIXadL_ZL6op_mulffEE6__halffS0_JPKfS2_S2_S2_EEvPKT0_PKT1_PT2_iii15HIP_vector_typeIjLj3EESC_SC_SC_SC_iiiiiiiiiiiDpT3_.has_indirect_call, 0
	.section	.AMDGPU.csdata,"",@progbits
; Kernel info:
; codeLenInByte = 972
; TotalNumSgprs: 41
; NumVgprs: 18
; ScratchSize: 0
; MemoryBound: 0
; FloatMode: 240
; IeeeMode: 1
; LDSByteSize: 0 bytes/workgroup (compile time only)
; SGPRBlocks: 0
; VGPRBlocks: 1
; NumSGPRsForWavesPerEU: 41
; NumVGPRsForWavesPerEU: 18
; NamedBarCnt: 0
; Occupancy: 16
; WaveLimiterHint : 1
; COMPUTE_PGM_RSRC2:SCRATCH_EN: 0
; COMPUTE_PGM_RSRC2:USER_SGPR: 2
; COMPUTE_PGM_RSRC2:TRAP_HANDLER: 0
; COMPUTE_PGM_RSRC2:TGID_X_EN: 1
; COMPUTE_PGM_RSRC2:TGID_Y_EN: 1
; COMPUTE_PGM_RSRC2:TGID_Z_EN: 1
; COMPUTE_PGM_RSRC2:TIDIG_COMP_CNT: 2
	.section	.text._ZL19k_bin_bcast_unravelIXadL_ZL6op_mulffEE6__halfffJPKfS2_S2_S2_EEvPKT0_PKT1_PT2_15HIP_vector_typeIjLj3EESC_SC_jSC_SC_SC_SC_SC_SC_iiiiiiiiiiiDpT3_,"axG",@progbits,_ZL19k_bin_bcast_unravelIXadL_ZL6op_mulffEE6__halfffJPKfS2_S2_S2_EEvPKT0_PKT1_PT2_15HIP_vector_typeIjLj3EESC_SC_jSC_SC_SC_SC_SC_SC_iiiiiiiiiiiDpT3_,comdat
	.globl	_ZL19k_bin_bcast_unravelIXadL_ZL6op_mulffEE6__halfffJPKfS2_S2_S2_EEvPKT0_PKT1_PT2_15HIP_vector_typeIjLj3EESC_SC_jSC_SC_SC_SC_SC_SC_iiiiiiiiiiiDpT3_ ; -- Begin function _ZL19k_bin_bcast_unravelIXadL_ZL6op_mulffEE6__halfffJPKfS2_S2_S2_EEvPKT0_PKT1_PT2_15HIP_vector_typeIjLj3EESC_SC_jSC_SC_SC_SC_SC_SC_iiiiiiiiiiiDpT3_
	.p2align	8
	.type	_ZL19k_bin_bcast_unravelIXadL_ZL6op_mulffEE6__halfffJPKfS2_S2_S2_EEvPKT0_PKT1_PT2_15HIP_vector_typeIjLj3EESC_SC_jSC_SC_SC_SC_SC_SC_iiiiiiiiiiiDpT3_,@function
_ZL19k_bin_bcast_unravelIXadL_ZL6op_mulffEE6__halfffJPKfS2_S2_S2_EEvPKT0_PKT1_PT2_15HIP_vector_typeIjLj3EESC_SC_jSC_SC_SC_SC_SC_SC_iiiiiiiiiiiDpT3_: ; @_ZL19k_bin_bcast_unravelIXadL_ZL6op_mulffEE6__halfffJPKfS2_S2_S2_EEvPKT0_PKT1_PT2_15HIP_vector_typeIjLj3EESC_SC_jSC_SC_SC_SC_SC_SC_iiiiiiiiiiiDpT3_
; %bb.0:
	s_load_b32 s2, s[0:1], 0xe4
	s_bfe_u32 s3, ttmp6, 0x4000c
	s_load_b256 s[4:11], s[0:1], 0x38
	s_add_co_i32 s3, s3, 1
	s_and_b32 s12, ttmp6, 15
	s_mul_i32 s3, ttmp9, s3
	s_getreg_b32 s13, hwreg(HW_REG_IB_STS2, 6, 4)
	s_add_co_i32 s12, s12, s3
	s_wait_kmcnt 0x0
	s_and_b32 s2, s2, 0xffff
	s_cmp_eq_u32 s13, 0
	s_cselect_b32 s3, ttmp9, s12
	s_delay_alu instid0(SALU_CYCLE_1) | instskip(SKIP_1) | instid1(VALU_DEP_1)
	v_mad_u32 v0, s3, s2, v0
	s_load_b32 s2, s[0:1], 0x2c
	v_mul_hi_u32 v1, v0, s6
	s_delay_alu instid0(VALU_DEP_1) | instskip(NEXT) | instid1(VALU_DEP_1)
	v_add_nc_u32_e32 v1, v0, v1
	v_lshrrev_b32_e32 v1, s7, v1
	s_delay_alu instid0(VALU_DEP_1) | instskip(NEXT) | instid1(VALU_DEP_1)
	v_mul_lo_u32 v2, v1, s8
	v_sub_nc_u32_e32 v0, v0, v2
	s_delay_alu instid0(VALU_DEP_1) | instskip(NEXT) | instid1(VALU_DEP_1)
	v_mul_hi_u32 v2, v0, s9
	v_add_nc_u32_e32 v2, v0, v2
	s_delay_alu instid0(VALU_DEP_1) | instskip(SKIP_1) | instid1(VALU_DEP_1)
	v_lshrrev_b32_e32 v2, s10, v2
	s_load_b96 s[8:10], s[0:1], 0x18
	v_mul_lo_u32 v3, v2, s11
	s_delay_alu instid0(VALU_DEP_1) | instskip(SKIP_3) | instid1(VALU_DEP_3)
	v_sub_nc_u32_e32 v0, v0, v3
	v_cmp_gt_u32_e64 s3, s4, v2
	v_cmp_gt_u32_e64 s4, s5, v1
	s_wait_kmcnt 0x0
	v_mul_hi_u32 v3, v0, s8
	s_delay_alu instid0(VALU_DEP_1) | instskip(NEXT) | instid1(VALU_DEP_1)
	v_add_nc_u32_e32 v3, v0, v3
	v_lshrrev_b32_e32 v4, s9, v3
	s_delay_alu instid0(VALU_DEP_1) | instskip(NEXT) | instid1(VALU_DEP_1)
	v_mul_lo_u32 v3, v4, s10
	v_sub_nc_u32_e32 v0, v0, v3
	v_cmp_gt_u32_e64 s2, s2, v4
	s_delay_alu instid0(VALU_DEP_2) | instskip(SKIP_1) | instid1(SALU_CYCLE_1)
	v_cmp_gt_u32_e32 vcc_lo, s10, v0
	s_and_b32 s2, vcc_lo, s2
	s_and_b32 s2, s2, s3
	s_delay_alu instid0(SALU_CYCLE_1) | instskip(NEXT) | instid1(SALU_CYCLE_1)
	s_and_b32 s2, s4, s2
	s_and_saveexec_b32 s3, s2
	s_cbranch_execz .LBB118_4
; %bb.1:
	s_clause 0x4
	s_load_b64 s[2:3], s[0:1], 0x0
	s_load_b96 s[24:26], s[0:1], 0xa8
	s_load_b256 s[4:11], s[0:1], 0x88
	s_load_b128 s[20:23], s[0:1], 0x78
	s_load_b256 s[12:19], s[0:1], 0x58
	v_dual_mov_b32 v3, 0 :: v_dual_mov_b32 v5, 0
	s_wait_kmcnt 0x0
	s_cmp_eq_u64 s[2:3], 0
	s_cbranch_scc1 .LBB118_3
; %bb.2:
	v_mul_lo_u32 v5, v1, s10
	v_mov_b32_e32 v7, 0
	s_delay_alu instid0(VALU_DEP_2) | instskip(NEXT) | instid1(VALU_DEP_1)
	v_mad_u32 v5, v2, s9, v5
	v_mad_u32 v6, v4, s8, v5
	s_delay_alu instid0(VALU_DEP_1) | instskip(SKIP_1) | instid1(VALU_DEP_1)
	v_lshl_add_u64 v[8:9], v[6:7], 1, s[2:3]
	v_mul_lo_u32 v6, v0, s7
	v_lshl_add_u64 v[6:7], v[6:7], 1, v[8:9]
	global_load_u16 v5, v[6:7], off
	s_wait_loadcnt 0x0
	v_cvt_f32_f16_e32 v5, v5
.LBB118_3:
	v_mul_hi_u32 v6, s21, v1
	v_mul_hi_u32 v7, s18, v2
	;; [unrolled: 1-line block ×4, first 2 shown]
	s_delay_alu instid0(VALU_DEP_3) | instskip(NEXT) | instid1(VALU_DEP_1)
	v_dual_add_nc_u32 v6, v1, v6 :: v_dual_add_nc_u32 v7, v2, v7
	v_dual_lshrrev_b32 v6, s22, v6 :: v_dual_lshrrev_b32 v7, s19, v7
	s_delay_alu instid0(VALU_DEP_1) | instskip(SKIP_1) | instid1(VALU_DEP_3)
	v_mul_lo_u32 v6, v6, s23
	v_add_nc_u32_e32 v8, v4, v8
	v_mul_lo_u32 v7, v7, s20
	s_delay_alu instid0(VALU_DEP_3) | instskip(NEXT) | instid1(VALU_DEP_3)
	v_dual_sub_nc_u32 v6, v1, v6 :: v_dual_add_nc_u32 v9, v0, v9
	v_lshrrev_b32_e32 v8, s16, v8
	v_mul_lo_u32 v1, v1, s6
	s_delay_alu instid0(VALU_DEP_4) | instskip(NEXT) | instid1(VALU_DEP_4)
	v_sub_nc_u32_e32 v7, v2, v7
	v_mul_lo_u32 v6, v6, s26
	v_lshrrev_b32_e32 v9, s13, v9
	v_mul_lo_u32 v8, v8, s17
	s_delay_alu instid0(VALU_DEP_2) | instskip(SKIP_2) | instid1(VALU_DEP_4)
	v_mul_lo_u32 v9, v9, s14
	v_mad_u32 v1, v2, s5, v1
	v_mad_u32 v7, v7, s25, v6
	v_sub_nc_u32_e32 v8, v4, v8
	s_delay_alu instid0(VALU_DEP_3) | instskip(NEXT) | instid1(VALU_DEP_2)
	v_mad_u32 v2, v4, s4, v1
	v_mad_u32 v8, v8, s24, v7
	s_delay_alu instid0(VALU_DEP_1) | instskip(NEXT) | instid1(VALU_DEP_1)
	v_dual_sub_nc_u32 v6, v0, v9 :: v_dual_ashrrev_i32 v9, 31, v8
	v_mul_lo_u32 v6, v6, s11
	s_load_b256 s[8:15], s[0:1], 0xb8
	s_delay_alu instid0(VALU_DEP_1) | instskip(SKIP_2) | instid1(VALU_DEP_1)
	v_ashrrev_i32_e32 v7, 31, v6
	s_wait_xcnt 0x0
	s_load_b64 s[0:1], s[0:1], 0x10
	v_add_nc_u64_e32 v[6:7], v[6:7], v[8:9]
	s_delay_alu instid0(VALU_DEP_1) | instskip(SKIP_1) | instid1(VALU_DEP_1)
	v_lshlrev_b64_e32 v[6:7], 2, v[6:7]
	s_wait_kmcnt 0x0
	v_add_nc_u64_e32 v[8:9], s[8:9], v[6:7]
	v_add_nc_u64_e32 v[10:11], s[10:11], v[6:7]
	global_load_b32 v12, v[8:9], off
	s_wait_xcnt 0x0
	v_add_nc_u64_e32 v[8:9], s[12:13], v[6:7]
	global_load_b32 v10, v[10:11], off
	v_add_nc_u64_e32 v[6:7], s[14:15], v[6:7]
	global_load_b32 v11, v[8:9], off
	global_load_b32 v13, v[6:7], off
	s_wait_loadcnt 0x3
	v_mul_f32_e32 v1, v5, v12
	s_wait_loadcnt 0x2
	s_delay_alu instid0(VALU_DEP_1) | instskip(SKIP_2) | instid1(VALU_DEP_2)
	v_dual_mul_f32 v4, v1, v10 :: v_dual_mov_b32 v1, v3
	v_lshl_add_u64 v[2:3], v[2:3], 2, s[0:1]
	s_wait_loadcnt 0x1
	v_mul_f32_e32 v4, v4, v11
	s_delay_alu instid0(VALU_DEP_2) | instskip(SKIP_1) | instid1(VALU_DEP_2)
	v_lshl_add_u64 v[0:1], v[0:1], 2, v[2:3]
	s_wait_loadcnt 0x0
	v_mul_f32_e32 v4, v4, v13
	global_store_b32 v[0:1], v4, off
.LBB118_4:
	s_endpgm
	.section	.rodata,"a",@progbits
	.p2align	6, 0x0
	.amdhsa_kernel _ZL19k_bin_bcast_unravelIXadL_ZL6op_mulffEE6__halfffJPKfS2_S2_S2_EEvPKT0_PKT1_PT2_15HIP_vector_typeIjLj3EESC_SC_jSC_SC_SC_SC_SC_SC_iiiiiiiiiiiDpT3_
		.amdhsa_group_segment_fixed_size 0
		.amdhsa_private_segment_fixed_size 0
		.amdhsa_kernarg_size 472
		.amdhsa_user_sgpr_count 2
		.amdhsa_user_sgpr_dispatch_ptr 0
		.amdhsa_user_sgpr_queue_ptr 0
		.amdhsa_user_sgpr_kernarg_segment_ptr 1
		.amdhsa_user_sgpr_dispatch_id 0
		.amdhsa_user_sgpr_kernarg_preload_length 0
		.amdhsa_user_sgpr_kernarg_preload_offset 0
		.amdhsa_user_sgpr_private_segment_size 0
		.amdhsa_wavefront_size32 1
		.amdhsa_uses_dynamic_stack 0
		.amdhsa_enable_private_segment 0
		.amdhsa_system_sgpr_workgroup_id_x 1
		.amdhsa_system_sgpr_workgroup_id_y 0
		.amdhsa_system_sgpr_workgroup_id_z 0
		.amdhsa_system_sgpr_workgroup_info 0
		.amdhsa_system_vgpr_workitem_id 0
		.amdhsa_next_free_vgpr 14
		.amdhsa_next_free_sgpr 27
		.amdhsa_named_barrier_count 0
		.amdhsa_reserve_vcc 1
		.amdhsa_float_round_mode_32 0
		.amdhsa_float_round_mode_16_64 0
		.amdhsa_float_denorm_mode_32 3
		.amdhsa_float_denorm_mode_16_64 3
		.amdhsa_fp16_overflow 0
		.amdhsa_memory_ordered 1
		.amdhsa_forward_progress 1
		.amdhsa_inst_pref_size 7
		.amdhsa_round_robin_scheduling 0
		.amdhsa_exception_fp_ieee_invalid_op 0
		.amdhsa_exception_fp_denorm_src 0
		.amdhsa_exception_fp_ieee_div_zero 0
		.amdhsa_exception_fp_ieee_overflow 0
		.amdhsa_exception_fp_ieee_underflow 0
		.amdhsa_exception_fp_ieee_inexact 0
		.amdhsa_exception_int_div_zero 0
	.end_amdhsa_kernel
	.section	.text._ZL19k_bin_bcast_unravelIXadL_ZL6op_mulffEE6__halfffJPKfS2_S2_S2_EEvPKT0_PKT1_PT2_15HIP_vector_typeIjLj3EESC_SC_jSC_SC_SC_SC_SC_SC_iiiiiiiiiiiDpT3_,"axG",@progbits,_ZL19k_bin_bcast_unravelIXadL_ZL6op_mulffEE6__halfffJPKfS2_S2_S2_EEvPKT0_PKT1_PT2_15HIP_vector_typeIjLj3EESC_SC_jSC_SC_SC_SC_SC_SC_iiiiiiiiiiiDpT3_,comdat
.Lfunc_end118:
	.size	_ZL19k_bin_bcast_unravelIXadL_ZL6op_mulffEE6__halfffJPKfS2_S2_S2_EEvPKT0_PKT1_PT2_15HIP_vector_typeIjLj3EESC_SC_jSC_SC_SC_SC_SC_SC_iiiiiiiiiiiDpT3_, .Lfunc_end118-_ZL19k_bin_bcast_unravelIXadL_ZL6op_mulffEE6__halfffJPKfS2_S2_S2_EEvPKT0_PKT1_PT2_15HIP_vector_typeIjLj3EESC_SC_jSC_SC_SC_SC_SC_SC_iiiiiiiiiiiDpT3_
                                        ; -- End function
	.set _ZL19k_bin_bcast_unravelIXadL_ZL6op_mulffEE6__halfffJPKfS2_S2_S2_EEvPKT0_PKT1_PT2_15HIP_vector_typeIjLj3EESC_SC_jSC_SC_SC_SC_SC_SC_iiiiiiiiiiiDpT3_.num_vgpr, 14
	.set _ZL19k_bin_bcast_unravelIXadL_ZL6op_mulffEE6__halfffJPKfS2_S2_S2_EEvPKT0_PKT1_PT2_15HIP_vector_typeIjLj3EESC_SC_jSC_SC_SC_SC_SC_SC_iiiiiiiiiiiDpT3_.num_agpr, 0
	.set _ZL19k_bin_bcast_unravelIXadL_ZL6op_mulffEE6__halfffJPKfS2_S2_S2_EEvPKT0_PKT1_PT2_15HIP_vector_typeIjLj3EESC_SC_jSC_SC_SC_SC_SC_SC_iiiiiiiiiiiDpT3_.numbered_sgpr, 27
	.set _ZL19k_bin_bcast_unravelIXadL_ZL6op_mulffEE6__halfffJPKfS2_S2_S2_EEvPKT0_PKT1_PT2_15HIP_vector_typeIjLj3EESC_SC_jSC_SC_SC_SC_SC_SC_iiiiiiiiiiiDpT3_.num_named_barrier, 0
	.set _ZL19k_bin_bcast_unravelIXadL_ZL6op_mulffEE6__halfffJPKfS2_S2_S2_EEvPKT0_PKT1_PT2_15HIP_vector_typeIjLj3EESC_SC_jSC_SC_SC_SC_SC_SC_iiiiiiiiiiiDpT3_.private_seg_size, 0
	.set _ZL19k_bin_bcast_unravelIXadL_ZL6op_mulffEE6__halfffJPKfS2_S2_S2_EEvPKT0_PKT1_PT2_15HIP_vector_typeIjLj3EESC_SC_jSC_SC_SC_SC_SC_SC_iiiiiiiiiiiDpT3_.uses_vcc, 1
	.set _ZL19k_bin_bcast_unravelIXadL_ZL6op_mulffEE6__halfffJPKfS2_S2_S2_EEvPKT0_PKT1_PT2_15HIP_vector_typeIjLj3EESC_SC_jSC_SC_SC_SC_SC_SC_iiiiiiiiiiiDpT3_.uses_flat_scratch, 0
	.set _ZL19k_bin_bcast_unravelIXadL_ZL6op_mulffEE6__halfffJPKfS2_S2_S2_EEvPKT0_PKT1_PT2_15HIP_vector_typeIjLj3EESC_SC_jSC_SC_SC_SC_SC_SC_iiiiiiiiiiiDpT3_.has_dyn_sized_stack, 0
	.set _ZL19k_bin_bcast_unravelIXadL_ZL6op_mulffEE6__halfffJPKfS2_S2_S2_EEvPKT0_PKT1_PT2_15HIP_vector_typeIjLj3EESC_SC_jSC_SC_SC_SC_SC_SC_iiiiiiiiiiiDpT3_.has_recursion, 0
	.set _ZL19k_bin_bcast_unravelIXadL_ZL6op_mulffEE6__halfffJPKfS2_S2_S2_EEvPKT0_PKT1_PT2_15HIP_vector_typeIjLj3EESC_SC_jSC_SC_SC_SC_SC_SC_iiiiiiiiiiiDpT3_.has_indirect_call, 0
	.section	.AMDGPU.csdata,"",@progbits
; Kernel info:
; codeLenInByte = 816
; TotalNumSgprs: 29
; NumVgprs: 14
; ScratchSize: 0
; MemoryBound: 0
; FloatMode: 240
; IeeeMode: 1
; LDSByteSize: 0 bytes/workgroup (compile time only)
; SGPRBlocks: 0
; VGPRBlocks: 0
; NumSGPRsForWavesPerEU: 29
; NumVGPRsForWavesPerEU: 14
; NamedBarCnt: 0
; Occupancy: 16
; WaveLimiterHint : 1
; COMPUTE_PGM_RSRC2:SCRATCH_EN: 0
; COMPUTE_PGM_RSRC2:USER_SGPR: 2
; COMPUTE_PGM_RSRC2:TRAP_HANDLER: 0
; COMPUTE_PGM_RSRC2:TGID_X_EN: 1
; COMPUTE_PGM_RSRC2:TGID_Y_EN: 0
; COMPUTE_PGM_RSRC2:TGID_Z_EN: 0
; COMPUTE_PGM_RSRC2:TIDIG_COMP_CNT: 0
	.section	.text._ZL11k_bin_bcastIXadL_ZL6op_mulffEE6__halfffJPKfS2_S2_S2_EEvPKT0_PKT1_PT2_iii15HIP_vector_typeIjLj3EESC_SC_SC_SC_iiiiiiiiiiiDpT3_,"axG",@progbits,_ZL11k_bin_bcastIXadL_ZL6op_mulffEE6__halfffJPKfS2_S2_S2_EEvPKT0_PKT1_PT2_iii15HIP_vector_typeIjLj3EESC_SC_SC_SC_iiiiiiiiiiiDpT3_,comdat
	.globl	_ZL11k_bin_bcastIXadL_ZL6op_mulffEE6__halfffJPKfS2_S2_S2_EEvPKT0_PKT1_PT2_iii15HIP_vector_typeIjLj3EESC_SC_SC_SC_iiiiiiiiiiiDpT3_ ; -- Begin function _ZL11k_bin_bcastIXadL_ZL6op_mulffEE6__halfffJPKfS2_S2_S2_EEvPKT0_PKT1_PT2_iii15HIP_vector_typeIjLj3EESC_SC_SC_SC_iiiiiiiiiiiDpT3_
	.p2align	8
	.type	_ZL11k_bin_bcastIXadL_ZL6op_mulffEE6__halfffJPKfS2_S2_S2_EEvPKT0_PKT1_PT2_iii15HIP_vector_typeIjLj3EESC_SC_SC_SC_iiiiiiiiiiiDpT3_,@function
_ZL11k_bin_bcastIXadL_ZL6op_mulffEE6__halfffJPKfS2_S2_S2_EEvPKT0_PKT1_PT2_iii15HIP_vector_typeIjLj3EESC_SC_SC_SC_iiiiiiiiiiiDpT3_: ; @_ZL11k_bin_bcastIXadL_ZL6op_mulffEE6__halfffJPKfS2_S2_S2_EEvPKT0_PKT1_PT2_iii15HIP_vector_typeIjLj3EESC_SC_SC_SC_iiiiiiiiiiiDpT3_
; %bb.0:
	s_load_b64 s[2:3], s[0:1], 0xbc
	s_bfe_u32 s5, ttmp6, 0x40014
	s_bfe_u32 s16, ttmp6, 0x40010
	;; [unrolled: 1-line block ×3, first 2 shown]
	s_lshr_b32 s4, ttmp7, 16
	s_and_b32 s7, ttmp7, 0xffff
	s_add_co_i32 s5, s5, 1
	s_add_co_i32 s16, s16, 1
	s_load_b256 s[8:15], s[0:1], 0x18
	s_add_co_i32 s19, s19, 1
	s_bfe_u32 s6, ttmp6, 0x40008
	s_bfe_u32 s17, ttmp6, 0x40004
	s_mul_i32 s5, s4, s5
	s_mul_i32 s16, s7, s16
	s_and_b32 s18, ttmp6, 15
	s_mul_i32 s19, ttmp9, s19
	s_add_co_i32 s6, s6, s5
	s_add_co_i32 s17, s17, s16
	;; [unrolled: 1-line block ×3, first 2 shown]
	v_bfe_u32 v1, v0, 20, 10
	s_wait_kmcnt 0x0
	s_lshr_b32 s16, s2, 16
	s_and_b32 s5, s2, 0xffff
	s_getreg_b32 s2, hwreg(HW_REG_IB_STS2, 6, 4)
	s_and_b32 s3, s3, 0xffff
	s_cmp_eq_u32 s2, 0
	v_and_b32_e32 v2, 0x3ff, v0
	s_cselect_b32 s2, s4, s6
	v_bfe_u32 v4, v0, 10, 10
	v_mad_u32 v3, s2, s3, v1
	s_cselect_b32 s2, ttmp9, s18
	s_cselect_b32 s3, s7, s17
	v_mad_u32 v0, s2, s5, v2
	v_mad_u32 v2, s3, s16, v4
	s_delay_alu instid0(VALU_DEP_3) | instskip(NEXT) | instid1(VALU_DEP_3)
	v_mul_hi_u32 v1, v3, s11
	v_cmp_gt_u32_e32 vcc_lo, s8, v0
	s_delay_alu instid0(VALU_DEP_3) | instskip(SKIP_2) | instid1(VALU_DEP_1)
	v_cmp_gt_u32_e64 s2, s9, v2
	s_and_b32 s2, vcc_lo, s2
	v_add_nc_u32_e32 v1, v3, v1
	v_lshrrev_b32_e32 v1, s12, v1
	s_delay_alu instid0(VALU_DEP_1) | instskip(SKIP_3) | instid1(VALU_DEP_1)
	v_mul_lo_u32 v5, v1, s13
	v_cmp_gt_u32_e64 s3, s10, v1
	s_and_b32 s2, s2, s3
	v_sub_nc_u32_e32 v3, v3, v5
	v_cmp_gt_u32_e64 s4, s13, v3
	s_and_b32 s2, s2, s4
	s_delay_alu instid0(SALU_CYCLE_1)
	s_and_saveexec_b32 s3, s2
	s_cbranch_execz .LBB119_6
; %bb.1:
	v_cmp_gt_i32_e32 vcc_lo, s8, v0
	s_and_b32 exec_lo, exec_lo, vcc_lo
	s_cbranch_execz .LBB119_6
; %bb.2:
	s_clause 0x3
	s_load_b256 s[24:31], s[0:1], 0x3c
	s_load_b32 s2, s[0:1], 0x5c
	s_load_b256 s[16:23], s[0:1], 0x60
	s_load_b96 s[36:38], s[0:1], 0x80
	s_add_nc_u64 s[6:7], s[0:1], 0xb0
	s_load_b32 s4, s[6:7], 0x0
	s_clause 0x1
	s_load_b32 s9, s[0:1], 0x38
	s_load_b64 s[10:11], s[0:1], 0x10
	s_wait_kmcnt 0x0
	v_mul_hi_u32 v4, s30, v3
	v_mul_hi_u32 v5, s27, v1
	;; [unrolled: 1-line block ×3, first 2 shown]
	v_mul_lo_u32 v7, v2, s20
	v_mul_lo_u32 v8, v2, s16
	s_delay_alu instid0(VALU_DEP_4) | instskip(NEXT) | instid1(VALU_DEP_3)
	v_dual_add_nc_u32 v4, v3, v4 :: v_dual_add_nc_u32 v5, v1, v5
	v_mad_u32 v7, v1, s21, v7
	s_delay_alu instid0(VALU_DEP_3) | instskip(NEXT) | instid1(VALU_DEP_3)
	v_mad_u32 v8, v1, s17, v8
	v_dual_lshrrev_b32 v4, s31, v4 :: v_dual_lshrrev_b32 v5, s28, v5
	s_delay_alu instid0(VALU_DEP_1) | instskip(SKIP_1) | instid1(VALU_DEP_3)
	v_mul_lo_u32 v4, v4, s2
	v_add_nc_u32_e32 v6, v2, v6
	v_mul_lo_u32 v5, v5, s29
	s_load_b64 s[2:3], s[0:1], 0x0
	v_mad_u32 v8, v3, s18, v8
	s_delay_alu instid0(VALU_DEP_3) | instskip(NEXT) | instid1(VALU_DEP_3)
	v_dual_sub_nc_u32 v4, v3, v4 :: v_dual_lshrrev_b32 v6, s25, v6
	v_sub_nc_u32_e32 v5, v1, v5
	s_delay_alu instid0(VALU_DEP_2) | instskip(NEXT) | instid1(VALU_DEP_3)
	v_mul_lo_u32 v9, v4, s38
	v_mul_lo_u32 v6, v6, s26
	v_mad_u32 v4, v3, s22, v7
	s_load_b256 s[24:31], s[0:1], 0x90
	v_mov_b32_e32 v1, 0
	s_wait_xcnt 0x0
	s_mov_b32 s1, 0
	s_mov_b32 s0, s14
	s_wait_kmcnt 0x0
	s_cmp_lg_u64 s[2:3], 0
	s_mov_b32 s6, s1
	v_mad_u32 v7, v5, s37, v9
	v_sub_nc_u32_e32 v2, v2, v6
	v_mul_lo_u32 v6, s19, v0
	v_dual_mov_b32 v5, v1 :: v_dual_mov_b32 v9, v1
	v_mov_b32_e32 v3, v1
	s_delay_alu instid0(VALU_DEP_2) | instskip(NEXT) | instid1(VALU_DEP_3)
	v_lshl_add_u64 v[4:5], v[4:5], 1, s[2:3]
	v_lshl_add_u64 v[8:9], v[8:9], 2, s[10:11]
	s_mul_i32 s2, s4, s5
	v_mad_u32 v2, v2, s36, v7
	s_cselect_b32 s3, -1, 0
	s_mul_i32 s4, s2, s19
	s_sub_co_i32 s5, 0, s9
	s_branch .LBB119_4
.LBB119_3:                              ;   in Loop: Header=BB119_4 Depth=1
	s_wait_xcnt 0x0
	v_mul_u64_e32 v[10:11], s[0:1], v[0:1]
	s_delay_alu instid0(VALU_DEP_1) | instskip(NEXT) | instid1(VALU_DEP_1)
	v_dual_add_nc_u32 v6, s4, v6 :: v_dual_add_nc_u32 v10, v0, v11
	v_dual_mov_b32 v11, v1 :: v_dual_lshrrev_b32 v10, s15, v10
	s_delay_alu instid0(VALU_DEP_1) | instskip(NEXT) | instid1(VALU_DEP_1)
	v_mad_u32 v10, s5, v10, v0
	v_mul_lo_u32 v10, v10, s23
	s_delay_alu instid0(VALU_DEP_1) | instskip(NEXT) | instid1(VALU_DEP_1)
	v_add_nc_u64_e32 v[10:11], v[10:11], v[2:3]
	v_lshlrev_b64_e32 v[10:11], 2, v[10:11]
	s_delay_alu instid0(VALU_DEP_1)
	v_add_nc_u64_e32 v[12:13], s[24:25], v[10:11]
	v_add_nc_u64_e32 v[14:15], s[26:27], v[10:11]
	global_load_b32 v16, v[12:13], off
	s_wait_xcnt 0x0
	v_add_nc_u64_e32 v[12:13], s[28:29], v[10:11]
	global_load_b32 v14, v[14:15], off
	v_add_nc_u64_e32 v[10:11], s[30:31], v[10:11]
	global_load_b32 v15, v[12:13], off
	global_load_b32 v17, v[10:11], off
	s_wait_xcnt 0x0
	v_dual_mov_b32 v10, v0 :: v_dual_ashrrev_i32 v11, 31, v0
	v_add_nc_u32_e32 v0, s2, v0
	s_delay_alu instid0(VALU_DEP_2) | instskip(NEXT) | instid1(VALU_DEP_2)
	v_lshl_add_u64 v[10:11], v[10:11], 2, v[8:9]
	v_cmp_le_i32_e32 vcc_lo, s8, v0
	s_or_b32 s6, vcc_lo, s6
	s_wait_loadcnt 0x3
	v_mul_f32_e32 v7, v7, v16
	s_wait_loadcnt 0x2
	s_delay_alu instid0(VALU_DEP_1) | instskip(SKIP_1) | instid1(VALU_DEP_1)
	v_mul_f32_e32 v7, v7, v14
	s_wait_loadcnt 0x1
	v_mul_f32_e32 v7, v7, v15
	s_wait_loadcnt 0x0
	s_delay_alu instid0(VALU_DEP_1)
	v_mul_f32_e32 v7, v7, v17
	global_store_b32 v[10:11], v7, off
	s_wait_xcnt 0x0
	s_and_not1_b32 exec_lo, exec_lo, s6
	s_cbranch_execz .LBB119_6
.LBB119_4:                              ; =>This Inner Loop Header: Depth=1
	v_mov_b32_e32 v7, 0
	s_and_not1_b32 vcc_lo, exec_lo, s3
	s_cbranch_vccnz .LBB119_3
; %bb.5:                                ;   in Loop: Header=BB119_4 Depth=1
	v_ashrrev_i32_e32 v7, 31, v6
	s_delay_alu instid0(VALU_DEP_1)
	v_lshl_add_u64 v[10:11], v[6:7], 1, v[4:5]
	global_load_u16 v7, v[10:11], off
	s_wait_loadcnt 0x0
	v_cvt_f32_f16_e32 v7, v7
	s_branch .LBB119_3
.LBB119_6:
	s_endpgm
	.section	.rodata,"a",@progbits
	.p2align	6, 0x0
	.amdhsa_kernel _ZL11k_bin_bcastIXadL_ZL6op_mulffEE6__halfffJPKfS2_S2_S2_EEvPKT0_PKT1_PT2_iii15HIP_vector_typeIjLj3EESC_SC_SC_SC_iiiiiiiiiiiDpT3_
		.amdhsa_group_segment_fixed_size 0
		.amdhsa_private_segment_fixed_size 0
		.amdhsa_kernarg_size 432
		.amdhsa_user_sgpr_count 2
		.amdhsa_user_sgpr_dispatch_ptr 0
		.amdhsa_user_sgpr_queue_ptr 0
		.amdhsa_user_sgpr_kernarg_segment_ptr 1
		.amdhsa_user_sgpr_dispatch_id 0
		.amdhsa_user_sgpr_kernarg_preload_length 0
		.amdhsa_user_sgpr_kernarg_preload_offset 0
		.amdhsa_user_sgpr_private_segment_size 0
		.amdhsa_wavefront_size32 1
		.amdhsa_uses_dynamic_stack 0
		.amdhsa_enable_private_segment 0
		.amdhsa_system_sgpr_workgroup_id_x 1
		.amdhsa_system_sgpr_workgroup_id_y 1
		.amdhsa_system_sgpr_workgroup_id_z 1
		.amdhsa_system_sgpr_workgroup_info 0
		.amdhsa_system_vgpr_workitem_id 2
		.amdhsa_next_free_vgpr 18
		.amdhsa_next_free_sgpr 39
		.amdhsa_named_barrier_count 0
		.amdhsa_reserve_vcc 1
		.amdhsa_float_round_mode_32 0
		.amdhsa_float_round_mode_16_64 0
		.amdhsa_float_denorm_mode_32 3
		.amdhsa_float_denorm_mode_16_64 3
		.amdhsa_fp16_overflow 0
		.amdhsa_memory_ordered 1
		.amdhsa_forward_progress 1
		.amdhsa_inst_pref_size 8
		.amdhsa_round_robin_scheduling 0
		.amdhsa_exception_fp_ieee_invalid_op 0
		.amdhsa_exception_fp_denorm_src 0
		.amdhsa_exception_fp_ieee_div_zero 0
		.amdhsa_exception_fp_ieee_overflow 0
		.amdhsa_exception_fp_ieee_underflow 0
		.amdhsa_exception_fp_ieee_inexact 0
		.amdhsa_exception_int_div_zero 0
	.end_amdhsa_kernel
	.section	.text._ZL11k_bin_bcastIXadL_ZL6op_mulffEE6__halfffJPKfS2_S2_S2_EEvPKT0_PKT1_PT2_iii15HIP_vector_typeIjLj3EESC_SC_SC_SC_iiiiiiiiiiiDpT3_,"axG",@progbits,_ZL11k_bin_bcastIXadL_ZL6op_mulffEE6__halfffJPKfS2_S2_S2_EEvPKT0_PKT1_PT2_iii15HIP_vector_typeIjLj3EESC_SC_SC_SC_iiiiiiiiiiiDpT3_,comdat
.Lfunc_end119:
	.size	_ZL11k_bin_bcastIXadL_ZL6op_mulffEE6__halfffJPKfS2_S2_S2_EEvPKT0_PKT1_PT2_iii15HIP_vector_typeIjLj3EESC_SC_SC_SC_iiiiiiiiiiiDpT3_, .Lfunc_end119-_ZL11k_bin_bcastIXadL_ZL6op_mulffEE6__halfffJPKfS2_S2_S2_EEvPKT0_PKT1_PT2_iii15HIP_vector_typeIjLj3EESC_SC_SC_SC_iiiiiiiiiiiDpT3_
                                        ; -- End function
	.set _ZL11k_bin_bcastIXadL_ZL6op_mulffEE6__halfffJPKfS2_S2_S2_EEvPKT0_PKT1_PT2_iii15HIP_vector_typeIjLj3EESC_SC_SC_SC_iiiiiiiiiiiDpT3_.num_vgpr, 18
	.set _ZL11k_bin_bcastIXadL_ZL6op_mulffEE6__halfffJPKfS2_S2_S2_EEvPKT0_PKT1_PT2_iii15HIP_vector_typeIjLj3EESC_SC_SC_SC_iiiiiiiiiiiDpT3_.num_agpr, 0
	.set _ZL11k_bin_bcastIXadL_ZL6op_mulffEE6__halfffJPKfS2_S2_S2_EEvPKT0_PKT1_PT2_iii15HIP_vector_typeIjLj3EESC_SC_SC_SC_iiiiiiiiiiiDpT3_.numbered_sgpr, 39
	.set _ZL11k_bin_bcastIXadL_ZL6op_mulffEE6__halfffJPKfS2_S2_S2_EEvPKT0_PKT1_PT2_iii15HIP_vector_typeIjLj3EESC_SC_SC_SC_iiiiiiiiiiiDpT3_.num_named_barrier, 0
	.set _ZL11k_bin_bcastIXadL_ZL6op_mulffEE6__halfffJPKfS2_S2_S2_EEvPKT0_PKT1_PT2_iii15HIP_vector_typeIjLj3EESC_SC_SC_SC_iiiiiiiiiiiDpT3_.private_seg_size, 0
	.set _ZL11k_bin_bcastIXadL_ZL6op_mulffEE6__halfffJPKfS2_S2_S2_EEvPKT0_PKT1_PT2_iii15HIP_vector_typeIjLj3EESC_SC_SC_SC_iiiiiiiiiiiDpT3_.uses_vcc, 1
	.set _ZL11k_bin_bcastIXadL_ZL6op_mulffEE6__halfffJPKfS2_S2_S2_EEvPKT0_PKT1_PT2_iii15HIP_vector_typeIjLj3EESC_SC_SC_SC_iiiiiiiiiiiDpT3_.uses_flat_scratch, 0
	.set _ZL11k_bin_bcastIXadL_ZL6op_mulffEE6__halfffJPKfS2_S2_S2_EEvPKT0_PKT1_PT2_iii15HIP_vector_typeIjLj3EESC_SC_SC_SC_iiiiiiiiiiiDpT3_.has_dyn_sized_stack, 0
	.set _ZL11k_bin_bcastIXadL_ZL6op_mulffEE6__halfffJPKfS2_S2_S2_EEvPKT0_PKT1_PT2_iii15HIP_vector_typeIjLj3EESC_SC_SC_SC_iiiiiiiiiiiDpT3_.has_recursion, 0
	.set _ZL11k_bin_bcastIXadL_ZL6op_mulffEE6__halfffJPKfS2_S2_S2_EEvPKT0_PKT1_PT2_iii15HIP_vector_typeIjLj3EESC_SC_SC_SC_iiiiiiiiiiiDpT3_.has_indirect_call, 0
	.section	.AMDGPU.csdata,"",@progbits
; Kernel info:
; codeLenInByte = 968
; TotalNumSgprs: 41
; NumVgprs: 18
; ScratchSize: 0
; MemoryBound: 0
; FloatMode: 240
; IeeeMode: 1
; LDSByteSize: 0 bytes/workgroup (compile time only)
; SGPRBlocks: 0
; VGPRBlocks: 1
; NumSGPRsForWavesPerEU: 41
; NumVGPRsForWavesPerEU: 18
; NamedBarCnt: 0
; Occupancy: 16
; WaveLimiterHint : 1
; COMPUTE_PGM_RSRC2:SCRATCH_EN: 0
; COMPUTE_PGM_RSRC2:USER_SGPR: 2
; COMPUTE_PGM_RSRC2:TRAP_HANDLER: 0
; COMPUTE_PGM_RSRC2:TGID_X_EN: 1
; COMPUTE_PGM_RSRC2:TGID_Y_EN: 1
; COMPUTE_PGM_RSRC2:TGID_Z_EN: 1
; COMPUTE_PGM_RSRC2:TIDIG_COMP_CNT: 2
	.section	.text._ZL19k_bin_bcast_unravelIXadL_ZL6op_mulffEEfffJPKfS1_S1_S1_S1_EEvPKT0_PKT1_PT2_15HIP_vector_typeIjLj3EESB_SB_jSB_SB_SB_SB_SB_SB_iiiiiiiiiiiDpT3_,"axG",@progbits,_ZL19k_bin_bcast_unravelIXadL_ZL6op_mulffEEfffJPKfS1_S1_S1_S1_EEvPKT0_PKT1_PT2_15HIP_vector_typeIjLj3EESB_SB_jSB_SB_SB_SB_SB_SB_iiiiiiiiiiiDpT3_,comdat
	.globl	_ZL19k_bin_bcast_unravelIXadL_ZL6op_mulffEEfffJPKfS1_S1_S1_S1_EEvPKT0_PKT1_PT2_15HIP_vector_typeIjLj3EESB_SB_jSB_SB_SB_SB_SB_SB_iiiiiiiiiiiDpT3_ ; -- Begin function _ZL19k_bin_bcast_unravelIXadL_ZL6op_mulffEEfffJPKfS1_S1_S1_S1_EEvPKT0_PKT1_PT2_15HIP_vector_typeIjLj3EESB_SB_jSB_SB_SB_SB_SB_SB_iiiiiiiiiiiDpT3_
	.p2align	8
	.type	_ZL19k_bin_bcast_unravelIXadL_ZL6op_mulffEEfffJPKfS1_S1_S1_S1_EEvPKT0_PKT1_PT2_15HIP_vector_typeIjLj3EESB_SB_jSB_SB_SB_SB_SB_SB_iiiiiiiiiiiDpT3_,@function
_ZL19k_bin_bcast_unravelIXadL_ZL6op_mulffEEfffJPKfS1_S1_S1_S1_EEvPKT0_PKT1_PT2_15HIP_vector_typeIjLj3EESB_SB_jSB_SB_SB_SB_SB_SB_iiiiiiiiiiiDpT3_: ; @_ZL19k_bin_bcast_unravelIXadL_ZL6op_mulffEEfffJPKfS1_S1_S1_S1_EEvPKT0_PKT1_PT2_15HIP_vector_typeIjLj3EESB_SB_jSB_SB_SB_SB_SB_SB_iiiiiiiiiiiDpT3_
; %bb.0:
	s_load_b32 s2, s[0:1], 0xec
	s_bfe_u32 s3, ttmp6, 0x4000c
	s_load_b256 s[4:11], s[0:1], 0x38
	s_add_co_i32 s3, s3, 1
	s_and_b32 s12, ttmp6, 15
	s_mul_i32 s3, ttmp9, s3
	s_getreg_b32 s13, hwreg(HW_REG_IB_STS2, 6, 4)
	s_add_co_i32 s12, s12, s3
	s_wait_kmcnt 0x0
	s_and_b32 s2, s2, 0xffff
	s_cmp_eq_u32 s13, 0
	s_cselect_b32 s3, ttmp9, s12
	s_delay_alu instid0(SALU_CYCLE_1) | instskip(SKIP_1) | instid1(VALU_DEP_1)
	v_mad_u32 v0, s3, s2, v0
	s_load_b32 s2, s[0:1], 0x2c
	v_mul_hi_u32 v1, v0, s6
	s_delay_alu instid0(VALU_DEP_1) | instskip(NEXT) | instid1(VALU_DEP_1)
	v_add_nc_u32_e32 v1, v0, v1
	v_lshrrev_b32_e32 v1, s7, v1
	s_delay_alu instid0(VALU_DEP_1) | instskip(NEXT) | instid1(VALU_DEP_1)
	v_mul_lo_u32 v2, v1, s8
	v_sub_nc_u32_e32 v0, v0, v2
	s_delay_alu instid0(VALU_DEP_1) | instskip(NEXT) | instid1(VALU_DEP_1)
	v_mul_hi_u32 v2, v0, s9
	v_add_nc_u32_e32 v2, v0, v2
	s_delay_alu instid0(VALU_DEP_1) | instskip(SKIP_1) | instid1(VALU_DEP_1)
	v_lshrrev_b32_e32 v2, s10, v2
	s_load_b96 s[8:10], s[0:1], 0x18
	v_mul_lo_u32 v3, v2, s11
	s_delay_alu instid0(VALU_DEP_1) | instskip(SKIP_3) | instid1(VALU_DEP_3)
	v_sub_nc_u32_e32 v0, v0, v3
	v_cmp_gt_u32_e64 s3, s4, v2
	v_cmp_gt_u32_e64 s4, s5, v1
	s_wait_kmcnt 0x0
	v_mul_hi_u32 v3, v0, s8
	s_delay_alu instid0(VALU_DEP_1) | instskip(NEXT) | instid1(VALU_DEP_1)
	v_add_nc_u32_e32 v3, v0, v3
	v_lshrrev_b32_e32 v4, s9, v3
	s_delay_alu instid0(VALU_DEP_1) | instskip(NEXT) | instid1(VALU_DEP_1)
	v_mul_lo_u32 v3, v4, s10
	v_sub_nc_u32_e32 v0, v0, v3
	v_cmp_gt_u32_e64 s2, s2, v4
	s_delay_alu instid0(VALU_DEP_2) | instskip(SKIP_1) | instid1(SALU_CYCLE_1)
	v_cmp_gt_u32_e32 vcc_lo, s10, v0
	s_and_b32 s2, vcc_lo, s2
	s_and_b32 s2, s2, s3
	s_delay_alu instid0(SALU_CYCLE_1) | instskip(NEXT) | instid1(SALU_CYCLE_1)
	s_and_b32 s2, s4, s2
	s_and_saveexec_b32 s3, s2
	s_cbranch_execz .LBB120_4
; %bb.1:
	s_clause 0x4
	s_load_b64 s[2:3], s[0:1], 0x0
	s_load_b96 s[24:26], s[0:1], 0xa8
	s_load_b256 s[4:11], s[0:1], 0x88
	s_load_b128 s[20:23], s[0:1], 0x78
	s_load_b256 s[12:19], s[0:1], 0x58
	v_dual_mov_b32 v3, 0 :: v_dual_mov_b32 v5, 0
	s_wait_kmcnt 0x0
	s_cmp_eq_u64 s[2:3], 0
	s_cbranch_scc1 .LBB120_3
; %bb.2:
	v_mul_lo_u32 v5, v1, s10
	v_mov_b32_e32 v7, 0
	s_delay_alu instid0(VALU_DEP_2) | instskip(NEXT) | instid1(VALU_DEP_1)
	v_mad_u32 v5, v2, s9, v5
	v_mad_u32 v6, v4, s8, v5
	s_delay_alu instid0(VALU_DEP_1) | instskip(SKIP_1) | instid1(VALU_DEP_1)
	v_lshl_add_u64 v[8:9], v[6:7], 2, s[2:3]
	v_mul_lo_u32 v6, v0, s7
	v_lshl_add_u64 v[6:7], v[6:7], 2, v[8:9]
	global_load_b32 v5, v[6:7], off
.LBB120_3:
	s_wait_xcnt 0x0
	v_mul_hi_u32 v6, s21, v1
	v_mul_hi_u32 v7, s18, v2
	;; [unrolled: 1-line block ×4, first 2 shown]
	s_load_b64 s[2:3], s[0:1], 0xd8
	s_delay_alu instid0(VALU_DEP_3) | instskip(NEXT) | instid1(VALU_DEP_1)
	v_dual_add_nc_u32 v6, v1, v6 :: v_dual_add_nc_u32 v7, v2, v7
	v_dual_lshrrev_b32 v6, s22, v6 :: v_dual_lshrrev_b32 v7, s19, v7
	s_delay_alu instid0(VALU_DEP_1) | instskip(SKIP_1) | instid1(VALU_DEP_3)
	v_mul_lo_u32 v6, v6, s23
	v_add_nc_u32_e32 v8, v4, v8
	v_mul_lo_u32 v7, v7, s20
	s_delay_alu instid0(VALU_DEP_3) | instskip(NEXT) | instid1(VALU_DEP_3)
	v_dual_sub_nc_u32 v6, v1, v6 :: v_dual_add_nc_u32 v9, v0, v9
	v_lshrrev_b32_e32 v8, s16, v8
	v_mul_lo_u32 v1, v1, s6
	s_delay_alu instid0(VALU_DEP_4) | instskip(NEXT) | instid1(VALU_DEP_4)
	v_sub_nc_u32_e32 v7, v2, v7
	v_mul_lo_u32 v6, v6, s26
	v_lshrrev_b32_e32 v9, s13, v9
	v_mul_lo_u32 v8, v8, s17
	s_delay_alu instid0(VALU_DEP_2) | instskip(SKIP_2) | instid1(VALU_DEP_4)
	v_mul_lo_u32 v9, v9, s14
	v_mad_u32 v1, v2, s5, v1
	v_mad_u32 v7, v7, s25, v6
	v_sub_nc_u32_e32 v8, v4, v8
	s_delay_alu instid0(VALU_DEP_3) | instskip(NEXT) | instid1(VALU_DEP_2)
	v_mad_u32 v2, v4, s4, v1
	v_mad_u32 v8, v8, s24, v7
	s_delay_alu instid0(VALU_DEP_1) | instskip(NEXT) | instid1(VALU_DEP_1)
	v_dual_sub_nc_u32 v6, v0, v9 :: v_dual_ashrrev_i32 v9, 31, v8
	v_mul_lo_u32 v6, v6, s11
	s_load_b256 s[8:15], s[0:1], 0xb8
	s_delay_alu instid0(VALU_DEP_1) | instskip(SKIP_2) | instid1(VALU_DEP_1)
	v_ashrrev_i32_e32 v7, 31, v6
	s_wait_xcnt 0x0
	s_load_b64 s[0:1], s[0:1], 0x10
	v_add_nc_u64_e32 v[6:7], v[6:7], v[8:9]
	s_delay_alu instid0(VALU_DEP_1) | instskip(SKIP_1) | instid1(VALU_DEP_1)
	v_lshlrev_b64_e32 v[6:7], 2, v[6:7]
	s_wait_kmcnt 0x0
	v_add_nc_u64_e32 v[8:9], s[8:9], v[6:7]
	v_add_nc_u64_e32 v[10:11], s[10:11], v[6:7]
	global_load_b32 v12, v[8:9], off
	s_wait_xcnt 0x0
	v_add_nc_u64_e32 v[8:9], s[12:13], v[6:7]
	global_load_b32 v13, v[10:11], off
	s_wait_xcnt 0x0
	v_add_nc_u64_e32 v[10:11], s[14:15], v[6:7]
	v_add_nc_u64_e32 v[6:7], s[2:3], v[6:7]
	global_load_b32 v8, v[8:9], off
	global_load_b32 v9, v[10:11], off
	;; [unrolled: 1-line block ×3, first 2 shown]
	s_wait_loadcnt 0x4
	v_mul_f32_e32 v5, v5, v12
	s_wait_loadcnt 0x3
	s_delay_alu instid0(VALU_DEP_1) | instskip(SKIP_1) | instid1(VALU_DEP_1)
	v_mul_f32_e32 v1, v5, v13
	s_wait_loadcnt 0x2
	v_dual_mul_f32 v4, v1, v8 :: v_dual_mov_b32 v1, v3
	v_lshl_add_u64 v[2:3], v[2:3], 2, s[0:1]
	s_wait_loadcnt 0x1
	s_delay_alu instid0(VALU_DEP_2) | instskip(NEXT) | instid1(VALU_DEP_2)
	v_mul_f32_e32 v4, v4, v9
	v_lshl_add_u64 v[0:1], v[0:1], 2, v[2:3]
	s_wait_loadcnt 0x0
	s_delay_alu instid0(VALU_DEP_2)
	v_mul_f32_e32 v4, v4, v14
	global_store_b32 v[0:1], v4, off
.LBB120_4:
	s_endpgm
	.section	.rodata,"a",@progbits
	.p2align	6, 0x0
	.amdhsa_kernel _ZL19k_bin_bcast_unravelIXadL_ZL6op_mulffEEfffJPKfS1_S1_S1_S1_EEvPKT0_PKT1_PT2_15HIP_vector_typeIjLj3EESB_SB_jSB_SB_SB_SB_SB_SB_iiiiiiiiiiiDpT3_
		.amdhsa_group_segment_fixed_size 0
		.amdhsa_private_segment_fixed_size 0
		.amdhsa_kernarg_size 480
		.amdhsa_user_sgpr_count 2
		.amdhsa_user_sgpr_dispatch_ptr 0
		.amdhsa_user_sgpr_queue_ptr 0
		.amdhsa_user_sgpr_kernarg_segment_ptr 1
		.amdhsa_user_sgpr_dispatch_id 0
		.amdhsa_user_sgpr_kernarg_preload_length 0
		.amdhsa_user_sgpr_kernarg_preload_offset 0
		.amdhsa_user_sgpr_private_segment_size 0
		.amdhsa_wavefront_size32 1
		.amdhsa_uses_dynamic_stack 0
		.amdhsa_enable_private_segment 0
		.amdhsa_system_sgpr_workgroup_id_x 1
		.amdhsa_system_sgpr_workgroup_id_y 0
		.amdhsa_system_sgpr_workgroup_id_z 0
		.amdhsa_system_sgpr_workgroup_info 0
		.amdhsa_system_vgpr_workitem_id 0
		.amdhsa_next_free_vgpr 15
		.amdhsa_next_free_sgpr 27
		.amdhsa_named_barrier_count 0
		.amdhsa_reserve_vcc 1
		.amdhsa_float_round_mode_32 0
		.amdhsa_float_round_mode_16_64 0
		.amdhsa_float_denorm_mode_32 3
		.amdhsa_float_denorm_mode_16_64 3
		.amdhsa_fp16_overflow 0
		.amdhsa_memory_ordered 1
		.amdhsa_forward_progress 1
		.amdhsa_inst_pref_size 7
		.amdhsa_round_robin_scheduling 0
		.amdhsa_exception_fp_ieee_invalid_op 0
		.amdhsa_exception_fp_denorm_src 0
		.amdhsa_exception_fp_ieee_div_zero 0
		.amdhsa_exception_fp_ieee_overflow 0
		.amdhsa_exception_fp_ieee_underflow 0
		.amdhsa_exception_fp_ieee_inexact 0
		.amdhsa_exception_int_div_zero 0
	.end_amdhsa_kernel
	.section	.text._ZL19k_bin_bcast_unravelIXadL_ZL6op_mulffEEfffJPKfS1_S1_S1_S1_EEvPKT0_PKT1_PT2_15HIP_vector_typeIjLj3EESB_SB_jSB_SB_SB_SB_SB_SB_iiiiiiiiiiiDpT3_,"axG",@progbits,_ZL19k_bin_bcast_unravelIXadL_ZL6op_mulffEEfffJPKfS1_S1_S1_S1_EEvPKT0_PKT1_PT2_15HIP_vector_typeIjLj3EESB_SB_jSB_SB_SB_SB_SB_SB_iiiiiiiiiiiDpT3_,comdat
.Lfunc_end120:
	.size	_ZL19k_bin_bcast_unravelIXadL_ZL6op_mulffEEfffJPKfS1_S1_S1_S1_EEvPKT0_PKT1_PT2_15HIP_vector_typeIjLj3EESB_SB_jSB_SB_SB_SB_SB_SB_iiiiiiiiiiiDpT3_, .Lfunc_end120-_ZL19k_bin_bcast_unravelIXadL_ZL6op_mulffEEfffJPKfS1_S1_S1_S1_EEvPKT0_PKT1_PT2_15HIP_vector_typeIjLj3EESB_SB_jSB_SB_SB_SB_SB_SB_iiiiiiiiiiiDpT3_
                                        ; -- End function
	.set _ZL19k_bin_bcast_unravelIXadL_ZL6op_mulffEEfffJPKfS1_S1_S1_S1_EEvPKT0_PKT1_PT2_15HIP_vector_typeIjLj3EESB_SB_jSB_SB_SB_SB_SB_SB_iiiiiiiiiiiDpT3_.num_vgpr, 15
	.set _ZL19k_bin_bcast_unravelIXadL_ZL6op_mulffEEfffJPKfS1_S1_S1_S1_EEvPKT0_PKT1_PT2_15HIP_vector_typeIjLj3EESB_SB_jSB_SB_SB_SB_SB_SB_iiiiiiiiiiiDpT3_.num_agpr, 0
	.set _ZL19k_bin_bcast_unravelIXadL_ZL6op_mulffEEfffJPKfS1_S1_S1_S1_EEvPKT0_PKT1_PT2_15HIP_vector_typeIjLj3EESB_SB_jSB_SB_SB_SB_SB_SB_iiiiiiiiiiiDpT3_.numbered_sgpr, 27
	.set _ZL19k_bin_bcast_unravelIXadL_ZL6op_mulffEEfffJPKfS1_S1_S1_S1_EEvPKT0_PKT1_PT2_15HIP_vector_typeIjLj3EESB_SB_jSB_SB_SB_SB_SB_SB_iiiiiiiiiiiDpT3_.num_named_barrier, 0
	.set _ZL19k_bin_bcast_unravelIXadL_ZL6op_mulffEEfffJPKfS1_S1_S1_S1_EEvPKT0_PKT1_PT2_15HIP_vector_typeIjLj3EESB_SB_jSB_SB_SB_SB_SB_SB_iiiiiiiiiiiDpT3_.private_seg_size, 0
	.set _ZL19k_bin_bcast_unravelIXadL_ZL6op_mulffEEfffJPKfS1_S1_S1_S1_EEvPKT0_PKT1_PT2_15HIP_vector_typeIjLj3EESB_SB_jSB_SB_SB_SB_SB_SB_iiiiiiiiiiiDpT3_.uses_vcc, 1
	.set _ZL19k_bin_bcast_unravelIXadL_ZL6op_mulffEEfffJPKfS1_S1_S1_S1_EEvPKT0_PKT1_PT2_15HIP_vector_typeIjLj3EESB_SB_jSB_SB_SB_SB_SB_SB_iiiiiiiiiiiDpT3_.uses_flat_scratch, 0
	.set _ZL19k_bin_bcast_unravelIXadL_ZL6op_mulffEEfffJPKfS1_S1_S1_S1_EEvPKT0_PKT1_PT2_15HIP_vector_typeIjLj3EESB_SB_jSB_SB_SB_SB_SB_SB_iiiiiiiiiiiDpT3_.has_dyn_sized_stack, 0
	.set _ZL19k_bin_bcast_unravelIXadL_ZL6op_mulffEEfffJPKfS1_S1_S1_S1_EEvPKT0_PKT1_PT2_15HIP_vector_typeIjLj3EESB_SB_jSB_SB_SB_SB_SB_SB_iiiiiiiiiiiDpT3_.has_recursion, 0
	.set _ZL19k_bin_bcast_unravelIXadL_ZL6op_mulffEEfffJPKfS1_S1_S1_S1_EEvPKT0_PKT1_PT2_15HIP_vector_typeIjLj3EESB_SB_jSB_SB_SB_SB_SB_SB_iiiiiiiiiiiDpT3_.has_indirect_call, 0
	.section	.AMDGPU.csdata,"",@progbits
; Kernel info:
; codeLenInByte = 852
; TotalNumSgprs: 29
; NumVgprs: 15
; ScratchSize: 0
; MemoryBound: 0
; FloatMode: 240
; IeeeMode: 1
; LDSByteSize: 0 bytes/workgroup (compile time only)
; SGPRBlocks: 0
; VGPRBlocks: 0
; NumSGPRsForWavesPerEU: 29
; NumVGPRsForWavesPerEU: 15
; NamedBarCnt: 0
; Occupancy: 16
; WaveLimiterHint : 1
; COMPUTE_PGM_RSRC2:SCRATCH_EN: 0
; COMPUTE_PGM_RSRC2:USER_SGPR: 2
; COMPUTE_PGM_RSRC2:TRAP_HANDLER: 0
; COMPUTE_PGM_RSRC2:TGID_X_EN: 1
; COMPUTE_PGM_RSRC2:TGID_Y_EN: 0
; COMPUTE_PGM_RSRC2:TGID_Z_EN: 0
; COMPUTE_PGM_RSRC2:TIDIG_COMP_CNT: 0
	.section	.text._ZL11k_bin_bcastIXadL_ZL6op_mulffEEfffJPKfS1_S1_S1_S1_EEvPKT0_PKT1_PT2_iii15HIP_vector_typeIjLj3EESB_SB_SB_SB_iiiiiiiiiiiDpT3_,"axG",@progbits,_ZL11k_bin_bcastIXadL_ZL6op_mulffEEfffJPKfS1_S1_S1_S1_EEvPKT0_PKT1_PT2_iii15HIP_vector_typeIjLj3EESB_SB_SB_SB_iiiiiiiiiiiDpT3_,comdat
	.globl	_ZL11k_bin_bcastIXadL_ZL6op_mulffEEfffJPKfS1_S1_S1_S1_EEvPKT0_PKT1_PT2_iii15HIP_vector_typeIjLj3EESB_SB_SB_SB_iiiiiiiiiiiDpT3_ ; -- Begin function _ZL11k_bin_bcastIXadL_ZL6op_mulffEEfffJPKfS1_S1_S1_S1_EEvPKT0_PKT1_PT2_iii15HIP_vector_typeIjLj3EESB_SB_SB_SB_iiiiiiiiiiiDpT3_
	.p2align	8
	.type	_ZL11k_bin_bcastIXadL_ZL6op_mulffEEfffJPKfS1_S1_S1_S1_EEvPKT0_PKT1_PT2_iii15HIP_vector_typeIjLj3EESB_SB_SB_SB_iiiiiiiiiiiDpT3_,@function
_ZL11k_bin_bcastIXadL_ZL6op_mulffEEfffJPKfS1_S1_S1_S1_EEvPKT0_PKT1_PT2_iii15HIP_vector_typeIjLj3EESB_SB_SB_SB_iiiiiiiiiiiDpT3_: ; @_ZL11k_bin_bcastIXadL_ZL6op_mulffEEfffJPKfS1_S1_S1_S1_EEvPKT0_PKT1_PT2_iii15HIP_vector_typeIjLj3EESB_SB_SB_SB_iiiiiiiiiiiDpT3_
; %bb.0:
	s_load_b64 s[2:3], s[0:1], 0xc4
	s_bfe_u32 s5, ttmp6, 0x40014
	s_bfe_u32 s7, ttmp6, 0x40010
	;; [unrolled: 1-line block ×3, first 2 shown]
	s_lshr_b32 s4, ttmp7, 16
	s_and_b32 s16, ttmp7, 0xffff
	s_add_co_i32 s5, s5, 1
	s_add_co_i32 s7, s7, 1
	s_load_b256 s[8:15], s[0:1], 0x18
	s_add_co_i32 s19, s19, 1
	s_bfe_u32 s6, ttmp6, 0x40008
	s_bfe_u32 s17, ttmp6, 0x40004
	s_mul_i32 s5, s4, s5
	s_mul_i32 s7, s16, s7
	s_and_b32 s18, ttmp6, 15
	s_mul_i32 s19, ttmp9, s19
	s_add_co_i32 s6, s6, s5
	s_add_co_i32 s17, s17, s7
	;; [unrolled: 1-line block ×3, first 2 shown]
	v_bfe_u32 v1, v0, 20, 10
	s_wait_kmcnt 0x0
	s_lshr_b32 s5, s2, 16
	s_and_b32 s7, s2, 0xffff
	s_getreg_b32 s2, hwreg(HW_REG_IB_STS2, 6, 4)
	s_and_b32 s3, s3, 0xffff
	s_cmp_eq_u32 s2, 0
	v_and_b32_e32 v2, 0x3ff, v0
	s_cselect_b32 s2, s4, s6
	v_bfe_u32 v4, v0, 10, 10
	v_mad_u32 v3, s2, s3, v1
	s_cselect_b32 s2, ttmp9, s18
	s_cselect_b32 s3, s16, s17
	v_mad_u32 v0, s2, s7, v2
	v_mad_u32 v2, s3, s5, v4
	s_delay_alu instid0(VALU_DEP_3) | instskip(NEXT) | instid1(VALU_DEP_3)
	v_mul_hi_u32 v1, v3, s11
	v_cmp_gt_u32_e32 vcc_lo, s8, v0
	s_delay_alu instid0(VALU_DEP_3) | instskip(SKIP_2) | instid1(VALU_DEP_1)
	v_cmp_gt_u32_e64 s2, s9, v2
	s_and_b32 s2, vcc_lo, s2
	v_add_nc_u32_e32 v1, v3, v1
	v_lshrrev_b32_e32 v1, s12, v1
	s_delay_alu instid0(VALU_DEP_1) | instskip(SKIP_3) | instid1(VALU_DEP_1)
	v_mul_lo_u32 v5, v1, s13
	v_cmp_gt_u32_e64 s3, s10, v1
	s_and_b32 s2, s2, s3
	v_sub_nc_u32_e32 v3, v3, v5
	v_cmp_gt_u32_e64 s4, s13, v3
	s_and_b32 s2, s2, s4
	s_delay_alu instid0(SALU_CYCLE_1)
	s_and_saveexec_b32 s3, s2
	s_cbranch_execz .LBB121_6
; %bb.1:
	v_cmp_gt_i32_e32 vcc_lo, s8, v0
	s_and_b32 exec_lo, exec_lo, vcc_lo
	s_cbranch_execz .LBB121_6
; %bb.2:
	s_clause 0x5
	s_load_b256 s[24:31], s[0:1], 0x3c
	s_load_b32 s2, s[0:1], 0x5c
	s_load_b256 s[16:23], s[0:1], 0x60
	s_load_b96 s[4:6], s[0:1], 0x80
	s_load_b64 s[10:11], s[0:1], 0x0
	s_load_b64 s[12:13], s[0:1], 0x10
	s_wait_kmcnt 0x0
	v_mul_hi_u32 v4, s30, v3
	v_mul_hi_u32 v5, s27, v1
	;; [unrolled: 1-line block ×3, first 2 shown]
	v_mul_lo_u32 v7, v2, s20
	v_mul_lo_u32 v8, v2, s16
	s_cmp_lg_u64 s[10:11], 0
	s_delay_alu instid0(VALU_DEP_4) | instskip(NEXT) | instid1(VALU_DEP_3)
	v_dual_add_nc_u32 v4, v3, v4 :: v_dual_add_nc_u32 v5, v1, v5
	v_mad_u32 v7, v1, s21, v7
	s_delay_alu instid0(VALU_DEP_3) | instskip(NEXT) | instid1(VALU_DEP_3)
	v_mad_u32 v8, v1, s17, v8
	v_dual_lshrrev_b32 v4, s31, v4 :: v_dual_lshrrev_b32 v5, s28, v5
	s_delay_alu instid0(VALU_DEP_1) | instskip(SKIP_1) | instid1(VALU_DEP_3)
	v_mul_lo_u32 v4, v4, s2
	v_add_nc_u32_e32 v6, v2, v6
	v_mul_lo_u32 v5, v5, s29
	s_add_nc_u64 s[2:3], s[0:1], 0xb8
	v_mad_u32 v8, v3, s18, v8
	s_delay_alu instid0(VALU_DEP_3) | instskip(NEXT) | instid1(VALU_DEP_3)
	v_dual_sub_nc_u32 v4, v3, v4 :: v_dual_lshrrev_b32 v6, s25, v6
	v_sub_nc_u32_e32 v5, v1, v5
	s_delay_alu instid0(VALU_DEP_2) | instskip(NEXT) | instid1(VALU_DEP_3)
	v_mul_lo_u32 v9, v4, s6
	v_mul_lo_u32 v6, v6, s26
	s_load_b32 s6, s[2:3], 0x0
	s_load_b32 s9, s[0:1], 0x38
	v_mad_u32 v4, v3, s22, v7
	s_wait_xcnt 0x0
	s_clause 0x1
	s_load_b64 s[2:3], s[0:1], 0xb0
	s_load_b256 s[24:31], s[0:1], 0x90
	v_mov_b32_e32 v1, 0
	s_wait_xcnt 0x0
	s_mov_b32 s1, 0
	s_mov_b32 s0, s14
	v_mad_u32 v7, v5, s5, v9
	v_sub_nc_u32_e32 v2, v2, v6
	v_mul_lo_u32 v6, s19, v0
	v_dual_mov_b32 v5, v1 :: v_dual_mov_b32 v9, v1
	v_mov_b32_e32 v3, v1
	s_cselect_b32 s5, -1, 0
	s_delay_alu instid0(VALU_DEP_2) | instskip(NEXT) | instid1(VALU_DEP_3)
	v_lshl_add_u64 v[4:5], v[4:5], 2, s[10:11]
	v_lshl_add_u64 v[8:9], v[8:9], 2, s[12:13]
	v_mad_u32 v2, v2, s4, v7
	s_wait_kmcnt 0x0
	s_mul_i32 s4, s6, s7
	s_sub_co_i32 s7, 0, s9
	s_mul_i32 s6, s4, s19
	s_mov_b32 s9, s1
	s_branch .LBB121_4
.LBB121_3:                              ;   in Loop: Header=BB121_4 Depth=1
	s_wait_xcnt 0x0
	v_mul_u64_e32 v[10:11], s[0:1], v[0:1]
	s_delay_alu instid0(VALU_DEP_1) | instskip(NEXT) | instid1(VALU_DEP_1)
	v_dual_add_nc_u32 v6, s6, v6 :: v_dual_add_nc_u32 v10, v0, v11
	v_dual_mov_b32 v11, v1 :: v_dual_lshrrev_b32 v10, s15, v10
	s_delay_alu instid0(VALU_DEP_1) | instskip(NEXT) | instid1(VALU_DEP_1)
	v_mad_u32 v10, s7, v10, v0
	v_mul_lo_u32 v10, v10, s23
	s_delay_alu instid0(VALU_DEP_1) | instskip(NEXT) | instid1(VALU_DEP_1)
	v_add_nc_u64_e32 v[10:11], v[10:11], v[2:3]
	v_lshlrev_b64_e32 v[10:11], 2, v[10:11]
	s_delay_alu instid0(VALU_DEP_1)
	v_add_nc_u64_e32 v[12:13], s[24:25], v[10:11]
	v_add_nc_u64_e32 v[14:15], s[26:27], v[10:11]
	global_load_b32 v16, v[12:13], off
	s_wait_xcnt 0x0
	v_add_nc_u64_e32 v[12:13], s[28:29], v[10:11]
	global_load_b32 v17, v[14:15], off
	s_wait_xcnt 0x0
	v_add_nc_u64_e32 v[14:15], s[30:31], v[10:11]
	v_add_nc_u64_e32 v[10:11], s[2:3], v[10:11]
	global_load_b32 v12, v[12:13], off
	global_load_b32 v13, v[14:15], off
	;; [unrolled: 1-line block ×3, first 2 shown]
	s_wait_xcnt 0x0
	v_dual_mov_b32 v10, v0 :: v_dual_ashrrev_i32 v11, 31, v0
	s_delay_alu instid0(VALU_DEP_1) | instskip(SKIP_3) | instid1(VALU_DEP_1)
	v_lshl_add_u64 v[10:11], v[10:11], 2, v[8:9]
	s_wait_loadcnt 0x4
	v_mul_f32_e32 v7, v7, v16
	s_wait_loadcnt 0x3
	v_mul_f32_e32 v7, v7, v17
	s_wait_loadcnt 0x2
	s_delay_alu instid0(VALU_DEP_1) | instskip(SKIP_1) | instid1(VALU_DEP_1)
	v_mul_f32_e32 v7, v7, v12
	s_wait_loadcnt 0x1
	v_dual_mul_f32 v7, v7, v13 :: v_dual_add_nc_u32 v0, s4, v0
	s_delay_alu instid0(VALU_DEP_1) | instskip(SKIP_1) | instid1(VALU_DEP_2)
	v_cmp_le_i32_e32 vcc_lo, s8, v0
	s_wait_loadcnt 0x0
	v_mul_f32_e32 v7, v7, v18
	s_or_b32 s9, vcc_lo, s9
	global_store_b32 v[10:11], v7, off
	s_wait_xcnt 0x0
	s_and_not1_b32 exec_lo, exec_lo, s9
	s_cbranch_execz .LBB121_6
.LBB121_4:                              ; =>This Inner Loop Header: Depth=1
	v_mov_b32_e32 v7, 0
	s_and_not1_b32 vcc_lo, exec_lo, s5
	s_cbranch_vccnz .LBB121_3
; %bb.5:                                ;   in Loop: Header=BB121_4 Depth=1
	v_ashrrev_i32_e32 v7, 31, v6
	s_delay_alu instid0(VALU_DEP_1)
	v_lshl_add_u64 v[10:11], v[6:7], 2, v[4:5]
	global_load_b32 v7, v[10:11], off
	s_branch .LBB121_3
.LBB121_6:
	s_endpgm
	.section	.rodata,"a",@progbits
	.p2align	6, 0x0
	.amdhsa_kernel _ZL11k_bin_bcastIXadL_ZL6op_mulffEEfffJPKfS1_S1_S1_S1_EEvPKT0_PKT1_PT2_iii15HIP_vector_typeIjLj3EESB_SB_SB_SB_iiiiiiiiiiiDpT3_
		.amdhsa_group_segment_fixed_size 0
		.amdhsa_private_segment_fixed_size 0
		.amdhsa_kernarg_size 440
		.amdhsa_user_sgpr_count 2
		.amdhsa_user_sgpr_dispatch_ptr 0
		.amdhsa_user_sgpr_queue_ptr 0
		.amdhsa_user_sgpr_kernarg_segment_ptr 1
		.amdhsa_user_sgpr_dispatch_id 0
		.amdhsa_user_sgpr_kernarg_preload_length 0
		.amdhsa_user_sgpr_kernarg_preload_offset 0
		.amdhsa_user_sgpr_private_segment_size 0
		.amdhsa_wavefront_size32 1
		.amdhsa_uses_dynamic_stack 0
		.amdhsa_enable_private_segment 0
		.amdhsa_system_sgpr_workgroup_id_x 1
		.amdhsa_system_sgpr_workgroup_id_y 1
		.amdhsa_system_sgpr_workgroup_id_z 1
		.amdhsa_system_sgpr_workgroup_info 0
		.amdhsa_system_vgpr_workitem_id 2
		.amdhsa_next_free_vgpr 19
		.amdhsa_next_free_sgpr 32
		.amdhsa_named_barrier_count 0
		.amdhsa_reserve_vcc 1
		.amdhsa_float_round_mode_32 0
		.amdhsa_float_round_mode_16_64 0
		.amdhsa_float_denorm_mode_32 3
		.amdhsa_float_denorm_mode_16_64 3
		.amdhsa_fp16_overflow 0
		.amdhsa_memory_ordered 1
		.amdhsa_forward_progress 1
		.amdhsa_inst_pref_size 8
		.amdhsa_round_robin_scheduling 0
		.amdhsa_exception_fp_ieee_invalid_op 0
		.amdhsa_exception_fp_denorm_src 0
		.amdhsa_exception_fp_ieee_div_zero 0
		.amdhsa_exception_fp_ieee_overflow 0
		.amdhsa_exception_fp_ieee_underflow 0
		.amdhsa_exception_fp_ieee_inexact 0
		.amdhsa_exception_int_div_zero 0
	.end_amdhsa_kernel
	.section	.text._ZL11k_bin_bcastIXadL_ZL6op_mulffEEfffJPKfS1_S1_S1_S1_EEvPKT0_PKT1_PT2_iii15HIP_vector_typeIjLj3EESB_SB_SB_SB_iiiiiiiiiiiDpT3_,"axG",@progbits,_ZL11k_bin_bcastIXadL_ZL6op_mulffEEfffJPKfS1_S1_S1_S1_EEvPKT0_PKT1_PT2_iii15HIP_vector_typeIjLj3EESB_SB_SB_SB_iiiiiiiiiiiDpT3_,comdat
.Lfunc_end121:
	.size	_ZL11k_bin_bcastIXadL_ZL6op_mulffEEfffJPKfS1_S1_S1_S1_EEvPKT0_PKT1_PT2_iii15HIP_vector_typeIjLj3EESB_SB_SB_SB_iiiiiiiiiiiDpT3_, .Lfunc_end121-_ZL11k_bin_bcastIXadL_ZL6op_mulffEEfffJPKfS1_S1_S1_S1_EEvPKT0_PKT1_PT2_iii15HIP_vector_typeIjLj3EESB_SB_SB_SB_iiiiiiiiiiiDpT3_
                                        ; -- End function
	.set _ZL11k_bin_bcastIXadL_ZL6op_mulffEEfffJPKfS1_S1_S1_S1_EEvPKT0_PKT1_PT2_iii15HIP_vector_typeIjLj3EESB_SB_SB_SB_iiiiiiiiiiiDpT3_.num_vgpr, 19
	.set _ZL11k_bin_bcastIXadL_ZL6op_mulffEEfffJPKfS1_S1_S1_S1_EEvPKT0_PKT1_PT2_iii15HIP_vector_typeIjLj3EESB_SB_SB_SB_iiiiiiiiiiiDpT3_.num_agpr, 0
	.set _ZL11k_bin_bcastIXadL_ZL6op_mulffEEfffJPKfS1_S1_S1_S1_EEvPKT0_PKT1_PT2_iii15HIP_vector_typeIjLj3EESB_SB_SB_SB_iiiiiiiiiiiDpT3_.numbered_sgpr, 32
	.set _ZL11k_bin_bcastIXadL_ZL6op_mulffEEfffJPKfS1_S1_S1_S1_EEvPKT0_PKT1_PT2_iii15HIP_vector_typeIjLj3EESB_SB_SB_SB_iiiiiiiiiiiDpT3_.num_named_barrier, 0
	.set _ZL11k_bin_bcastIXadL_ZL6op_mulffEEfffJPKfS1_S1_S1_S1_EEvPKT0_PKT1_PT2_iii15HIP_vector_typeIjLj3EESB_SB_SB_SB_iiiiiiiiiiiDpT3_.private_seg_size, 0
	.set _ZL11k_bin_bcastIXadL_ZL6op_mulffEEfffJPKfS1_S1_S1_S1_EEvPKT0_PKT1_PT2_iii15HIP_vector_typeIjLj3EESB_SB_SB_SB_iiiiiiiiiiiDpT3_.uses_vcc, 1
	.set _ZL11k_bin_bcastIXadL_ZL6op_mulffEEfffJPKfS1_S1_S1_S1_EEvPKT0_PKT1_PT2_iii15HIP_vector_typeIjLj3EESB_SB_SB_SB_iiiiiiiiiiiDpT3_.uses_flat_scratch, 0
	.set _ZL11k_bin_bcastIXadL_ZL6op_mulffEEfffJPKfS1_S1_S1_S1_EEvPKT0_PKT1_PT2_iii15HIP_vector_typeIjLj3EESB_SB_SB_SB_iiiiiiiiiiiDpT3_.has_dyn_sized_stack, 0
	.set _ZL11k_bin_bcastIXadL_ZL6op_mulffEEfffJPKfS1_S1_S1_S1_EEvPKT0_PKT1_PT2_iii15HIP_vector_typeIjLj3EESB_SB_SB_SB_iiiiiiiiiiiDpT3_.has_recursion, 0
	.set _ZL11k_bin_bcastIXadL_ZL6op_mulffEEfffJPKfS1_S1_S1_S1_EEvPKT0_PKT1_PT2_iii15HIP_vector_typeIjLj3EESB_SB_SB_SB_iiiiiiiiiiiDpT3_.has_indirect_call, 0
	.section	.AMDGPU.csdata,"",@progbits
; Kernel info:
; codeLenInByte = 1000
; TotalNumSgprs: 34
; NumVgprs: 19
; ScratchSize: 0
; MemoryBound: 0
; FloatMode: 240
; IeeeMode: 1
; LDSByteSize: 0 bytes/workgroup (compile time only)
; SGPRBlocks: 0
; VGPRBlocks: 1
; NumSGPRsForWavesPerEU: 34
; NumVGPRsForWavesPerEU: 19
; NamedBarCnt: 0
; Occupancy: 16
; WaveLimiterHint : 1
; COMPUTE_PGM_RSRC2:SCRATCH_EN: 0
; COMPUTE_PGM_RSRC2:USER_SGPR: 2
; COMPUTE_PGM_RSRC2:TRAP_HANDLER: 0
; COMPUTE_PGM_RSRC2:TGID_X_EN: 1
; COMPUTE_PGM_RSRC2:TGID_Y_EN: 1
; COMPUTE_PGM_RSRC2:TGID_Z_EN: 1
; COMPUTE_PGM_RSRC2:TIDIG_COMP_CNT: 2
	.section	.text._ZL19k_bin_bcast_unravelIXadL_ZL6op_mulffEE6__halfS0_S0_JPKS0_S2_S2_S2_S2_EEvPKT0_PKT1_PT2_15HIP_vector_typeIjLj3EESC_SC_jSC_SC_SC_SC_SC_SC_iiiiiiiiiiiDpT3_,"axG",@progbits,_ZL19k_bin_bcast_unravelIXadL_ZL6op_mulffEE6__halfS0_S0_JPKS0_S2_S2_S2_S2_EEvPKT0_PKT1_PT2_15HIP_vector_typeIjLj3EESC_SC_jSC_SC_SC_SC_SC_SC_iiiiiiiiiiiDpT3_,comdat
	.globl	_ZL19k_bin_bcast_unravelIXadL_ZL6op_mulffEE6__halfS0_S0_JPKS0_S2_S2_S2_S2_EEvPKT0_PKT1_PT2_15HIP_vector_typeIjLj3EESC_SC_jSC_SC_SC_SC_SC_SC_iiiiiiiiiiiDpT3_ ; -- Begin function _ZL19k_bin_bcast_unravelIXadL_ZL6op_mulffEE6__halfS0_S0_JPKS0_S2_S2_S2_S2_EEvPKT0_PKT1_PT2_15HIP_vector_typeIjLj3EESC_SC_jSC_SC_SC_SC_SC_SC_iiiiiiiiiiiDpT3_
	.p2align	8
	.type	_ZL19k_bin_bcast_unravelIXadL_ZL6op_mulffEE6__halfS0_S0_JPKS0_S2_S2_S2_S2_EEvPKT0_PKT1_PT2_15HIP_vector_typeIjLj3EESC_SC_jSC_SC_SC_SC_SC_SC_iiiiiiiiiiiDpT3_,@function
_ZL19k_bin_bcast_unravelIXadL_ZL6op_mulffEE6__halfS0_S0_JPKS0_S2_S2_S2_S2_EEvPKT0_PKT1_PT2_15HIP_vector_typeIjLj3EESC_SC_jSC_SC_SC_SC_SC_SC_iiiiiiiiiiiDpT3_: ; @_ZL19k_bin_bcast_unravelIXadL_ZL6op_mulffEE6__halfS0_S0_JPKS0_S2_S2_S2_S2_EEvPKT0_PKT1_PT2_15HIP_vector_typeIjLj3EESC_SC_jSC_SC_SC_SC_SC_SC_iiiiiiiiiiiDpT3_
; %bb.0:
	s_load_b32 s2, s[0:1], 0xec
	s_bfe_u32 s3, ttmp6, 0x4000c
	s_load_b256 s[4:11], s[0:1], 0x38
	s_add_co_i32 s3, s3, 1
	s_and_b32 s12, ttmp6, 15
	s_mul_i32 s3, ttmp9, s3
	s_getreg_b32 s13, hwreg(HW_REG_IB_STS2, 6, 4)
	s_add_co_i32 s12, s12, s3
	s_wait_kmcnt 0x0
	s_and_b32 s2, s2, 0xffff
	s_cmp_eq_u32 s13, 0
	s_cselect_b32 s3, ttmp9, s12
	s_delay_alu instid0(SALU_CYCLE_1) | instskip(SKIP_1) | instid1(VALU_DEP_1)
	v_mad_u32 v0, s3, s2, v0
	s_load_b32 s2, s[0:1], 0x2c
	v_mul_hi_u32 v1, v0, s6
	s_delay_alu instid0(VALU_DEP_1) | instskip(NEXT) | instid1(VALU_DEP_1)
	v_add_nc_u32_e32 v1, v0, v1
	v_lshrrev_b32_e32 v1, s7, v1
	s_delay_alu instid0(VALU_DEP_1) | instskip(NEXT) | instid1(VALU_DEP_1)
	v_mul_lo_u32 v2, v1, s8
	v_sub_nc_u32_e32 v0, v0, v2
	s_delay_alu instid0(VALU_DEP_1) | instskip(NEXT) | instid1(VALU_DEP_1)
	v_mul_hi_u32 v2, v0, s9
	v_add_nc_u32_e32 v2, v0, v2
	s_delay_alu instid0(VALU_DEP_1) | instskip(SKIP_1) | instid1(VALU_DEP_1)
	v_lshrrev_b32_e32 v2, s10, v2
	s_load_b96 s[8:10], s[0:1], 0x18
	v_mul_lo_u32 v3, v2, s11
	s_delay_alu instid0(VALU_DEP_1) | instskip(SKIP_3) | instid1(VALU_DEP_3)
	v_sub_nc_u32_e32 v0, v0, v3
	v_cmp_gt_u32_e64 s3, s4, v2
	v_cmp_gt_u32_e64 s4, s5, v1
	s_wait_kmcnt 0x0
	v_mul_hi_u32 v3, v0, s8
	s_delay_alu instid0(VALU_DEP_1) | instskip(NEXT) | instid1(VALU_DEP_1)
	v_add_nc_u32_e32 v3, v0, v3
	v_lshrrev_b32_e32 v4, s9, v3
	s_delay_alu instid0(VALU_DEP_1) | instskip(NEXT) | instid1(VALU_DEP_1)
	v_mul_lo_u32 v3, v4, s10
	v_sub_nc_u32_e32 v0, v0, v3
	v_cmp_gt_u32_e64 s2, s2, v4
	s_delay_alu instid0(VALU_DEP_2) | instskip(SKIP_1) | instid1(SALU_CYCLE_1)
	v_cmp_gt_u32_e32 vcc_lo, s10, v0
	s_and_b32 s2, vcc_lo, s2
	s_and_b32 s2, s2, s3
	s_delay_alu instid0(SALU_CYCLE_1) | instskip(NEXT) | instid1(SALU_CYCLE_1)
	s_and_b32 s2, s4, s2
	s_and_saveexec_b32 s3, s2
	s_cbranch_execz .LBB122_4
; %bb.1:
	s_clause 0x4
	s_load_b64 s[2:3], s[0:1], 0x0
	s_load_b96 s[24:26], s[0:1], 0xa8
	s_load_b256 s[4:11], s[0:1], 0x88
	s_load_b128 s[20:23], s[0:1], 0x78
	s_load_b256 s[12:19], s[0:1], 0x58
	v_dual_mov_b32 v3, 0 :: v_dual_mov_b32 v5, 0
	s_wait_kmcnt 0x0
	s_cmp_eq_u64 s[2:3], 0
	s_cbranch_scc1 .LBB122_3
; %bb.2:
	v_mul_lo_u32 v5, v1, s10
	v_mov_b32_e32 v7, 0
	s_delay_alu instid0(VALU_DEP_2) | instskip(NEXT) | instid1(VALU_DEP_1)
	v_mad_u32 v5, v2, s9, v5
	v_mad_u32 v6, v4, s8, v5
	s_delay_alu instid0(VALU_DEP_1) | instskip(SKIP_1) | instid1(VALU_DEP_1)
	v_lshl_add_u64 v[8:9], v[6:7], 1, s[2:3]
	v_mul_lo_u32 v6, v0, s7
	v_lshl_add_u64 v[6:7], v[6:7], 1, v[8:9]
	global_load_u16 v5, v[6:7], off
	s_wait_loadcnt 0x0
	v_cvt_f32_f16_e32 v5, v5
.LBB122_3:
	v_mul_hi_u32 v6, s21, v1
	v_mul_hi_u32 v7, s18, v2
	;; [unrolled: 1-line block ×4, first 2 shown]
	s_load_b64 s[2:3], s[0:1], 0xd8
	s_delay_alu instid0(VALU_DEP_3) | instskip(NEXT) | instid1(VALU_DEP_1)
	v_dual_add_nc_u32 v6, v1, v6 :: v_dual_add_nc_u32 v7, v2, v7
	v_dual_lshrrev_b32 v6, s22, v6 :: v_dual_lshrrev_b32 v7, s19, v7
	s_delay_alu instid0(VALU_DEP_1) | instskip(SKIP_1) | instid1(VALU_DEP_3)
	v_mul_lo_u32 v6, v6, s23
	v_add_nc_u32_e32 v8, v4, v8
	v_mul_lo_u32 v7, v7, s20
	s_delay_alu instid0(VALU_DEP_3) | instskip(NEXT) | instid1(VALU_DEP_3)
	v_dual_sub_nc_u32 v6, v1, v6 :: v_dual_add_nc_u32 v9, v0, v9
	v_lshrrev_b32_e32 v8, s16, v8
	v_mul_lo_u32 v1, v1, s6
	s_delay_alu instid0(VALU_DEP_4) | instskip(NEXT) | instid1(VALU_DEP_4)
	v_sub_nc_u32_e32 v7, v2, v7
	v_mul_lo_u32 v6, v6, s26
	v_lshrrev_b32_e32 v9, s13, v9
	v_mul_lo_u32 v8, v8, s17
	s_delay_alu instid0(VALU_DEP_2) | instskip(SKIP_2) | instid1(VALU_DEP_4)
	v_mul_lo_u32 v9, v9, s14
	v_mad_u32 v1, v2, s5, v1
	v_mad_u32 v7, v7, s25, v6
	v_sub_nc_u32_e32 v8, v4, v8
	s_delay_alu instid0(VALU_DEP_1) | instskip(NEXT) | instid1(VALU_DEP_1)
	v_mad_u32 v8, v8, s24, v7
	v_dual_sub_nc_u32 v6, v0, v9 :: v_dual_ashrrev_i32 v9, 31, v8
	s_delay_alu instid0(VALU_DEP_1) | instskip(SKIP_1) | instid1(VALU_DEP_1)
	v_mul_lo_u32 v6, v6, s11
	s_load_b256 s[8:15], s[0:1], 0xb8
	v_ashrrev_i32_e32 v7, 31, v6
	s_wait_xcnt 0x0
	s_load_b64 s[0:1], s[0:1], 0x10
	s_delay_alu instid0(VALU_DEP_1) | instskip(NEXT) | instid1(VALU_DEP_1)
	v_add_nc_u64_e32 v[6:7], v[6:7], v[8:9]
	v_lshlrev_b64_e32 v[6:7], 1, v[6:7]
	s_wait_kmcnt 0x0
	s_delay_alu instid0(VALU_DEP_1)
	v_add_nc_u64_e32 v[8:9], s[8:9], v[6:7]
	v_add_nc_u64_e32 v[10:11], s[10:11], v[6:7]
	global_load_u16 v12, v[8:9], off
	s_wait_xcnt 0x0
	v_add_nc_u64_e32 v[8:9], s[12:13], v[6:7]
	global_load_u16 v13, v[10:11], off
	s_wait_xcnt 0x0
	v_add_nc_u64_e32 v[10:11], s[14:15], v[6:7]
	v_add_nc_u64_e32 v[6:7], s[2:3], v[6:7]
	global_load_u16 v14, v[8:9], off
	global_load_u16 v15, v[10:11], off
	;; [unrolled: 1-line block ×3, first 2 shown]
	s_wait_loadcnt 0x4
	v_cvt_f32_f16_e32 v2, v12
	s_wait_loadcnt 0x3
	s_wait_xcnt 0x0
	v_cvt_f32_f16_e32 v7, v13
	s_delay_alu instid0(VALU_DEP_2) | instskip(SKIP_3) | instid1(VALU_DEP_3)
	v_mul_f32_e32 v5, v5, v2
	v_mad_u32 v2, v4, s4, v1
	s_wait_loadcnt 0x2
	v_cvt_f32_f16_e32 v1, v14
	v_mul_f32_e32 v4, v5, v7
	s_wait_loadcnt 0x1
	v_cvt_f32_f16_e32 v5, v15
	s_delay_alu instid0(VALU_DEP_2) | instskip(SKIP_1) | instid1(VALU_DEP_2)
	v_dual_mul_f32 v4, v4, v1 :: v_dual_mov_b32 v1, v3
	v_lshl_add_u64 v[2:3], v[2:3], 1, s[0:1]
	v_mul_f32_e32 v4, v4, v5
	s_delay_alu instid0(VALU_DEP_2) | instskip(SKIP_1) | instid1(VALU_DEP_2)
	v_lshl_add_u64 v[0:1], v[0:1], 1, v[2:3]
	s_wait_loadcnt 0x0
	v_fma_mixlo_f16 v4, v4, v6, 0 op_sel_hi:[0,1,0]
	global_store_b16 v[0:1], v4, off
.LBB122_4:
	s_endpgm
	.section	.rodata,"a",@progbits
	.p2align	6, 0x0
	.amdhsa_kernel _ZL19k_bin_bcast_unravelIXadL_ZL6op_mulffEE6__halfS0_S0_JPKS0_S2_S2_S2_S2_EEvPKT0_PKT1_PT2_15HIP_vector_typeIjLj3EESC_SC_jSC_SC_SC_SC_SC_SC_iiiiiiiiiiiDpT3_
		.amdhsa_group_segment_fixed_size 0
		.amdhsa_private_segment_fixed_size 0
		.amdhsa_kernarg_size 480
		.amdhsa_user_sgpr_count 2
		.amdhsa_user_sgpr_dispatch_ptr 0
		.amdhsa_user_sgpr_queue_ptr 0
		.amdhsa_user_sgpr_kernarg_segment_ptr 1
		.amdhsa_user_sgpr_dispatch_id 0
		.amdhsa_user_sgpr_kernarg_preload_length 0
		.amdhsa_user_sgpr_kernarg_preload_offset 0
		.amdhsa_user_sgpr_private_segment_size 0
		.amdhsa_wavefront_size32 1
		.amdhsa_uses_dynamic_stack 0
		.amdhsa_enable_private_segment 0
		.amdhsa_system_sgpr_workgroup_id_x 1
		.amdhsa_system_sgpr_workgroup_id_y 0
		.amdhsa_system_sgpr_workgroup_id_z 0
		.amdhsa_system_sgpr_workgroup_info 0
		.amdhsa_system_vgpr_workitem_id 0
		.amdhsa_next_free_vgpr 16
		.amdhsa_next_free_sgpr 27
		.amdhsa_named_barrier_count 0
		.amdhsa_reserve_vcc 1
		.amdhsa_float_round_mode_32 0
		.amdhsa_float_round_mode_16_64 0
		.amdhsa_float_denorm_mode_32 3
		.amdhsa_float_denorm_mode_16_64 3
		.amdhsa_fp16_overflow 0
		.amdhsa_memory_ordered 1
		.amdhsa_forward_progress 1
		.amdhsa_inst_pref_size 7
		.amdhsa_round_robin_scheduling 0
		.amdhsa_exception_fp_ieee_invalid_op 0
		.amdhsa_exception_fp_denorm_src 0
		.amdhsa_exception_fp_ieee_div_zero 0
		.amdhsa_exception_fp_ieee_overflow 0
		.amdhsa_exception_fp_ieee_underflow 0
		.amdhsa_exception_fp_ieee_inexact 0
		.amdhsa_exception_int_div_zero 0
	.end_amdhsa_kernel
	.section	.text._ZL19k_bin_bcast_unravelIXadL_ZL6op_mulffEE6__halfS0_S0_JPKS0_S2_S2_S2_S2_EEvPKT0_PKT1_PT2_15HIP_vector_typeIjLj3EESC_SC_jSC_SC_SC_SC_SC_SC_iiiiiiiiiiiDpT3_,"axG",@progbits,_ZL19k_bin_bcast_unravelIXadL_ZL6op_mulffEE6__halfS0_S0_JPKS0_S2_S2_S2_S2_EEvPKT0_PKT1_PT2_15HIP_vector_typeIjLj3EESC_SC_jSC_SC_SC_SC_SC_SC_iiiiiiiiiiiDpT3_,comdat
.Lfunc_end122:
	.size	_ZL19k_bin_bcast_unravelIXadL_ZL6op_mulffEE6__halfS0_S0_JPKS0_S2_S2_S2_S2_EEvPKT0_PKT1_PT2_15HIP_vector_typeIjLj3EESC_SC_jSC_SC_SC_SC_SC_SC_iiiiiiiiiiiDpT3_, .Lfunc_end122-_ZL19k_bin_bcast_unravelIXadL_ZL6op_mulffEE6__halfS0_S0_JPKS0_S2_S2_S2_S2_EEvPKT0_PKT1_PT2_15HIP_vector_typeIjLj3EESC_SC_jSC_SC_SC_SC_SC_SC_iiiiiiiiiiiDpT3_
                                        ; -- End function
	.set _ZL19k_bin_bcast_unravelIXadL_ZL6op_mulffEE6__halfS0_S0_JPKS0_S2_S2_S2_S2_EEvPKT0_PKT1_PT2_15HIP_vector_typeIjLj3EESC_SC_jSC_SC_SC_SC_SC_SC_iiiiiiiiiiiDpT3_.num_vgpr, 16
	.set _ZL19k_bin_bcast_unravelIXadL_ZL6op_mulffEE6__halfS0_S0_JPKS0_S2_S2_S2_S2_EEvPKT0_PKT1_PT2_15HIP_vector_typeIjLj3EESC_SC_jSC_SC_SC_SC_SC_SC_iiiiiiiiiiiDpT3_.num_agpr, 0
	.set _ZL19k_bin_bcast_unravelIXadL_ZL6op_mulffEE6__halfS0_S0_JPKS0_S2_S2_S2_S2_EEvPKT0_PKT1_PT2_15HIP_vector_typeIjLj3EESC_SC_jSC_SC_SC_SC_SC_SC_iiiiiiiiiiiDpT3_.numbered_sgpr, 27
	.set _ZL19k_bin_bcast_unravelIXadL_ZL6op_mulffEE6__halfS0_S0_JPKS0_S2_S2_S2_S2_EEvPKT0_PKT1_PT2_15HIP_vector_typeIjLj3EESC_SC_jSC_SC_SC_SC_SC_SC_iiiiiiiiiiiDpT3_.num_named_barrier, 0
	.set _ZL19k_bin_bcast_unravelIXadL_ZL6op_mulffEE6__halfS0_S0_JPKS0_S2_S2_S2_S2_EEvPKT0_PKT1_PT2_15HIP_vector_typeIjLj3EESC_SC_jSC_SC_SC_SC_SC_SC_iiiiiiiiiiiDpT3_.private_seg_size, 0
	.set _ZL19k_bin_bcast_unravelIXadL_ZL6op_mulffEE6__halfS0_S0_JPKS0_S2_S2_S2_S2_EEvPKT0_PKT1_PT2_15HIP_vector_typeIjLj3EESC_SC_jSC_SC_SC_SC_SC_SC_iiiiiiiiiiiDpT3_.uses_vcc, 1
	.set _ZL19k_bin_bcast_unravelIXadL_ZL6op_mulffEE6__halfS0_S0_JPKS0_S2_S2_S2_S2_EEvPKT0_PKT1_PT2_15HIP_vector_typeIjLj3EESC_SC_jSC_SC_SC_SC_SC_SC_iiiiiiiiiiiDpT3_.uses_flat_scratch, 0
	.set _ZL19k_bin_bcast_unravelIXadL_ZL6op_mulffEE6__halfS0_S0_JPKS0_S2_S2_S2_S2_EEvPKT0_PKT1_PT2_15HIP_vector_typeIjLj3EESC_SC_jSC_SC_SC_SC_SC_SC_iiiiiiiiiiiDpT3_.has_dyn_sized_stack, 0
	.set _ZL19k_bin_bcast_unravelIXadL_ZL6op_mulffEE6__halfS0_S0_JPKS0_S2_S2_S2_S2_EEvPKT0_PKT1_PT2_15HIP_vector_typeIjLj3EESC_SC_jSC_SC_SC_SC_SC_SC_iiiiiiiiiiiDpT3_.has_recursion, 0
	.set _ZL19k_bin_bcast_unravelIXadL_ZL6op_mulffEE6__halfS0_S0_JPKS0_S2_S2_S2_S2_EEvPKT0_PKT1_PT2_15HIP_vector_typeIjLj3EESC_SC_jSC_SC_SC_SC_SC_SC_iiiiiiiiiiiDpT3_.has_indirect_call, 0
	.section	.AMDGPU.csdata,"",@progbits
; Kernel info:
; codeLenInByte = 880
; TotalNumSgprs: 29
; NumVgprs: 16
; ScratchSize: 0
; MemoryBound: 0
; FloatMode: 240
; IeeeMode: 1
; LDSByteSize: 0 bytes/workgroup (compile time only)
; SGPRBlocks: 0
; VGPRBlocks: 0
; NumSGPRsForWavesPerEU: 29
; NumVGPRsForWavesPerEU: 16
; NamedBarCnt: 0
; Occupancy: 16
; WaveLimiterHint : 1
; COMPUTE_PGM_RSRC2:SCRATCH_EN: 0
; COMPUTE_PGM_RSRC2:USER_SGPR: 2
; COMPUTE_PGM_RSRC2:TRAP_HANDLER: 0
; COMPUTE_PGM_RSRC2:TGID_X_EN: 1
; COMPUTE_PGM_RSRC2:TGID_Y_EN: 0
; COMPUTE_PGM_RSRC2:TGID_Z_EN: 0
; COMPUTE_PGM_RSRC2:TIDIG_COMP_CNT: 0
	.section	.text._ZL11k_bin_bcastIXadL_ZL6op_mulffEE6__halfS0_S0_JPKS0_S2_S2_S2_S2_EEvPKT0_PKT1_PT2_iii15HIP_vector_typeIjLj3EESC_SC_SC_SC_iiiiiiiiiiiDpT3_,"axG",@progbits,_ZL11k_bin_bcastIXadL_ZL6op_mulffEE6__halfS0_S0_JPKS0_S2_S2_S2_S2_EEvPKT0_PKT1_PT2_iii15HIP_vector_typeIjLj3EESC_SC_SC_SC_iiiiiiiiiiiDpT3_,comdat
	.globl	_ZL11k_bin_bcastIXadL_ZL6op_mulffEE6__halfS0_S0_JPKS0_S2_S2_S2_S2_EEvPKT0_PKT1_PT2_iii15HIP_vector_typeIjLj3EESC_SC_SC_SC_iiiiiiiiiiiDpT3_ ; -- Begin function _ZL11k_bin_bcastIXadL_ZL6op_mulffEE6__halfS0_S0_JPKS0_S2_S2_S2_S2_EEvPKT0_PKT1_PT2_iii15HIP_vector_typeIjLj3EESC_SC_SC_SC_iiiiiiiiiiiDpT3_
	.p2align	8
	.type	_ZL11k_bin_bcastIXadL_ZL6op_mulffEE6__halfS0_S0_JPKS0_S2_S2_S2_S2_EEvPKT0_PKT1_PT2_iii15HIP_vector_typeIjLj3EESC_SC_SC_SC_iiiiiiiiiiiDpT3_,@function
_ZL11k_bin_bcastIXadL_ZL6op_mulffEE6__halfS0_S0_JPKS0_S2_S2_S2_S2_EEvPKT0_PKT1_PT2_iii15HIP_vector_typeIjLj3EESC_SC_SC_SC_iiiiiiiiiiiDpT3_: ; @_ZL11k_bin_bcastIXadL_ZL6op_mulffEE6__halfS0_S0_JPKS0_S2_S2_S2_S2_EEvPKT0_PKT1_PT2_iii15HIP_vector_typeIjLj3EESC_SC_SC_SC_iiiiiiiiiiiDpT3_
; %bb.0:
	s_load_b64 s[2:3], s[0:1], 0xc4
	s_bfe_u32 s5, ttmp6, 0x40014
	s_bfe_u32 s7, ttmp6, 0x40010
	;; [unrolled: 1-line block ×3, first 2 shown]
	s_lshr_b32 s4, ttmp7, 16
	s_and_b32 s16, ttmp7, 0xffff
	s_add_co_i32 s5, s5, 1
	s_add_co_i32 s7, s7, 1
	s_load_b256 s[8:15], s[0:1], 0x18
	s_add_co_i32 s19, s19, 1
	s_bfe_u32 s6, ttmp6, 0x40008
	s_bfe_u32 s17, ttmp6, 0x40004
	s_mul_i32 s5, s4, s5
	s_mul_i32 s7, s16, s7
	s_and_b32 s18, ttmp6, 15
	s_mul_i32 s19, ttmp9, s19
	s_add_co_i32 s6, s6, s5
	s_add_co_i32 s17, s17, s7
	;; [unrolled: 1-line block ×3, first 2 shown]
	v_bfe_u32 v1, v0, 20, 10
	s_wait_kmcnt 0x0
	s_lshr_b32 s5, s2, 16
	s_and_b32 s7, s2, 0xffff
	s_getreg_b32 s2, hwreg(HW_REG_IB_STS2, 6, 4)
	s_and_b32 s3, s3, 0xffff
	s_cmp_eq_u32 s2, 0
	v_and_b32_e32 v2, 0x3ff, v0
	s_cselect_b32 s2, s4, s6
	v_bfe_u32 v4, v0, 10, 10
	v_mad_u32 v3, s2, s3, v1
	s_cselect_b32 s2, ttmp9, s18
	s_cselect_b32 s3, s16, s17
	v_mad_u32 v0, s2, s7, v2
	v_mad_u32 v2, s3, s5, v4
	s_delay_alu instid0(VALU_DEP_3) | instskip(NEXT) | instid1(VALU_DEP_3)
	v_mul_hi_u32 v1, v3, s11
	v_cmp_gt_u32_e32 vcc_lo, s8, v0
	s_delay_alu instid0(VALU_DEP_3) | instskip(SKIP_2) | instid1(VALU_DEP_1)
	v_cmp_gt_u32_e64 s2, s9, v2
	s_and_b32 s2, vcc_lo, s2
	v_add_nc_u32_e32 v1, v3, v1
	v_lshrrev_b32_e32 v1, s12, v1
	s_delay_alu instid0(VALU_DEP_1) | instskip(SKIP_3) | instid1(VALU_DEP_1)
	v_mul_lo_u32 v5, v1, s13
	v_cmp_gt_u32_e64 s3, s10, v1
	s_and_b32 s2, s2, s3
	v_sub_nc_u32_e32 v3, v3, v5
	v_cmp_gt_u32_e64 s4, s13, v3
	s_and_b32 s2, s2, s4
	s_delay_alu instid0(SALU_CYCLE_1)
	s_and_saveexec_b32 s3, s2
	s_cbranch_execz .LBB123_6
; %bb.1:
	v_cmp_gt_i32_e32 vcc_lo, s8, v0
	s_and_b32 exec_lo, exec_lo, vcc_lo
	s_cbranch_execz .LBB123_6
; %bb.2:
	s_clause 0x5
	s_load_b256 s[24:31], s[0:1], 0x3c
	s_load_b32 s2, s[0:1], 0x5c
	s_load_b256 s[16:23], s[0:1], 0x60
	s_load_b96 s[4:6], s[0:1], 0x80
	s_load_b64 s[10:11], s[0:1], 0x0
	s_load_b64 s[12:13], s[0:1], 0x10
	s_wait_kmcnt 0x0
	v_mul_hi_u32 v4, s30, v3
	v_mul_hi_u32 v5, s27, v1
	;; [unrolled: 1-line block ×3, first 2 shown]
	v_mul_lo_u32 v7, v2, s20
	v_mul_lo_u32 v8, v2, s16
	s_cmp_lg_u64 s[10:11], 0
	s_delay_alu instid0(VALU_DEP_4) | instskip(NEXT) | instid1(VALU_DEP_3)
	v_dual_add_nc_u32 v4, v3, v4 :: v_dual_add_nc_u32 v5, v1, v5
	v_mad_u32 v7, v1, s21, v7
	s_delay_alu instid0(VALU_DEP_3) | instskip(NEXT) | instid1(VALU_DEP_3)
	v_mad_u32 v8, v1, s17, v8
	v_dual_lshrrev_b32 v4, s31, v4 :: v_dual_lshrrev_b32 v5, s28, v5
	s_delay_alu instid0(VALU_DEP_1) | instskip(SKIP_1) | instid1(VALU_DEP_3)
	v_mul_lo_u32 v4, v4, s2
	v_add_nc_u32_e32 v6, v2, v6
	v_mul_lo_u32 v5, v5, s29
	s_add_nc_u64 s[2:3], s[0:1], 0xb8
	v_mad_u32 v8, v3, s18, v8
	s_delay_alu instid0(VALU_DEP_3) | instskip(NEXT) | instid1(VALU_DEP_3)
	v_dual_sub_nc_u32 v4, v3, v4 :: v_dual_lshrrev_b32 v6, s25, v6
	v_sub_nc_u32_e32 v5, v1, v5
	s_delay_alu instid0(VALU_DEP_2) | instskip(NEXT) | instid1(VALU_DEP_3)
	v_mul_lo_u32 v9, v4, s6
	v_mul_lo_u32 v6, v6, s26
	s_load_b32 s6, s[2:3], 0x0
	s_load_b32 s9, s[0:1], 0x38
	v_mad_u32 v4, v3, s22, v7
	s_wait_xcnt 0x0
	s_clause 0x1
	s_load_b64 s[2:3], s[0:1], 0xb0
	s_load_b256 s[24:31], s[0:1], 0x90
	v_mov_b32_e32 v1, 0
	s_wait_xcnt 0x0
	s_mov_b32 s1, 0
	s_mov_b32 s0, s14
	v_mad_u32 v7, v5, s5, v9
	v_sub_nc_u32_e32 v2, v2, v6
	v_mul_lo_u32 v6, s19, v0
	v_dual_mov_b32 v5, v1 :: v_dual_mov_b32 v9, v1
	v_mov_b32_e32 v3, v1
	s_cselect_b32 s5, -1, 0
	s_delay_alu instid0(VALU_DEP_2) | instskip(NEXT) | instid1(VALU_DEP_3)
	v_lshl_add_u64 v[4:5], v[4:5], 1, s[10:11]
	v_lshl_add_u64 v[8:9], v[8:9], 1, s[12:13]
	v_mad_u32 v2, v2, s4, v7
	s_wait_kmcnt 0x0
	s_mul_i32 s4, s6, s7
	s_sub_co_i32 s7, 0, s9
	s_mul_i32 s6, s4, s19
	s_mov_b32 s9, s1
	s_branch .LBB123_4
.LBB123_3:                              ;   in Loop: Header=BB123_4 Depth=1
	s_wait_xcnt 0x0
	v_mul_u64_e32 v[10:11], s[0:1], v[0:1]
	s_delay_alu instid0(VALU_DEP_1) | instskip(NEXT) | instid1(VALU_DEP_1)
	v_dual_add_nc_u32 v6, s6, v6 :: v_dual_add_nc_u32 v10, v0, v11
	v_dual_mov_b32 v11, v1 :: v_dual_lshrrev_b32 v10, s15, v10
	s_delay_alu instid0(VALU_DEP_1) | instskip(NEXT) | instid1(VALU_DEP_1)
	v_mad_u32 v10, s7, v10, v0
	v_mul_lo_u32 v10, v10, s23
	s_delay_alu instid0(VALU_DEP_1) | instskip(NEXT) | instid1(VALU_DEP_1)
	v_add_nc_u64_e32 v[10:11], v[10:11], v[2:3]
	v_lshlrev_b64_e32 v[10:11], 1, v[10:11]
	s_delay_alu instid0(VALU_DEP_1)
	v_add_nc_u64_e32 v[12:13], s[24:25], v[10:11]
	v_add_nc_u64_e32 v[14:15], s[26:27], v[10:11]
	global_load_u16 v16, v[12:13], off
	s_wait_xcnt 0x0
	v_add_nc_u64_e32 v[12:13], s[28:29], v[10:11]
	global_load_u16 v17, v[14:15], off
	s_wait_xcnt 0x0
	v_add_nc_u64_e32 v[14:15], s[30:31], v[10:11]
	v_add_nc_u64_e32 v[10:11], s[2:3], v[10:11]
	global_load_u16 v18, v[12:13], off
	global_load_u16 v19, v[14:15], off
	;; [unrolled: 1-line block ×3, first 2 shown]
	s_wait_loadcnt 0x4
	s_wait_xcnt 0x0
	v_cvt_f32_f16_e32 v10, v16
	s_wait_loadcnt 0x3
	v_cvt_f32_f16_e32 v11, v17
	s_delay_alu instid0(VALU_DEP_2)
	v_mul_f32_e32 v7, v7, v10
	s_wait_loadcnt 0x2
	v_cvt_f32_f16_e32 v10, v18
	s_wait_loadcnt 0x1
	v_cvt_f32_f16_e32 v13, v19
	v_dual_mul_f32 v7, v7, v11 :: v_dual_ashrrev_i32 v11, 31, v0
	s_delay_alu instid0(VALU_DEP_1) | instskip(NEXT) | instid1(VALU_DEP_1)
	v_dual_mul_f32 v7, v7, v10 :: v_dual_mov_b32 v10, v0
	v_dual_mul_f32 v7, v7, v13 :: v_dual_add_nc_u32 v0, s4, v0
	s_delay_alu instid0(VALU_DEP_2) | instskip(NEXT) | instid1(VALU_DEP_2)
	v_lshl_add_u64 v[10:11], v[10:11], 1, v[8:9]
	v_cmp_le_i32_e32 vcc_lo, s8, v0
	s_wait_loadcnt 0x0
	s_delay_alu instid0(VALU_DEP_3)
	v_fma_mixlo_f16 v7, v7, v12, 0 op_sel_hi:[0,1,0]
	s_or_b32 s9, vcc_lo, s9
	global_store_b16 v[10:11], v7, off
	s_wait_xcnt 0x0
	s_and_not1_b32 exec_lo, exec_lo, s9
	s_cbranch_execz .LBB123_6
.LBB123_4:                              ; =>This Inner Loop Header: Depth=1
	v_mov_b32_e32 v7, 0
	s_and_not1_b32 vcc_lo, exec_lo, s5
	s_cbranch_vccnz .LBB123_3
; %bb.5:                                ;   in Loop: Header=BB123_4 Depth=1
	v_ashrrev_i32_e32 v7, 31, v6
	s_delay_alu instid0(VALU_DEP_1)
	v_lshl_add_u64 v[10:11], v[6:7], 1, v[4:5]
	global_load_u16 v7, v[10:11], off
	s_wait_loadcnt 0x0
	v_cvt_f32_f16_e32 v7, v7
	s_branch .LBB123_3
.LBB123_6:
	s_endpgm
	.section	.rodata,"a",@progbits
	.p2align	6, 0x0
	.amdhsa_kernel _ZL11k_bin_bcastIXadL_ZL6op_mulffEE6__halfS0_S0_JPKS0_S2_S2_S2_S2_EEvPKT0_PKT1_PT2_iii15HIP_vector_typeIjLj3EESC_SC_SC_SC_iiiiiiiiiiiDpT3_
		.amdhsa_group_segment_fixed_size 0
		.amdhsa_private_segment_fixed_size 0
		.amdhsa_kernarg_size 440
		.amdhsa_user_sgpr_count 2
		.amdhsa_user_sgpr_dispatch_ptr 0
		.amdhsa_user_sgpr_queue_ptr 0
		.amdhsa_user_sgpr_kernarg_segment_ptr 1
		.amdhsa_user_sgpr_dispatch_id 0
		.amdhsa_user_sgpr_kernarg_preload_length 0
		.amdhsa_user_sgpr_kernarg_preload_offset 0
		.amdhsa_user_sgpr_private_segment_size 0
		.amdhsa_wavefront_size32 1
		.amdhsa_uses_dynamic_stack 0
		.amdhsa_enable_private_segment 0
		.amdhsa_system_sgpr_workgroup_id_x 1
		.amdhsa_system_sgpr_workgroup_id_y 1
		.amdhsa_system_sgpr_workgroup_id_z 1
		.amdhsa_system_sgpr_workgroup_info 0
		.amdhsa_system_vgpr_workitem_id 2
		.amdhsa_next_free_vgpr 20
		.amdhsa_next_free_sgpr 32
		.amdhsa_named_barrier_count 0
		.amdhsa_reserve_vcc 1
		.amdhsa_float_round_mode_32 0
		.amdhsa_float_round_mode_16_64 0
		.amdhsa_float_denorm_mode_32 3
		.amdhsa_float_denorm_mode_16_64 3
		.amdhsa_fp16_overflow 0
		.amdhsa_memory_ordered 1
		.amdhsa_forward_progress 1
		.amdhsa_inst_pref_size 9
		.amdhsa_round_robin_scheduling 0
		.amdhsa_exception_fp_ieee_invalid_op 0
		.amdhsa_exception_fp_denorm_src 0
		.amdhsa_exception_fp_ieee_div_zero 0
		.amdhsa_exception_fp_ieee_overflow 0
		.amdhsa_exception_fp_ieee_underflow 0
		.amdhsa_exception_fp_ieee_inexact 0
		.amdhsa_exception_int_div_zero 0
	.end_amdhsa_kernel
	.section	.text._ZL11k_bin_bcastIXadL_ZL6op_mulffEE6__halfS0_S0_JPKS0_S2_S2_S2_S2_EEvPKT0_PKT1_PT2_iii15HIP_vector_typeIjLj3EESC_SC_SC_SC_iiiiiiiiiiiDpT3_,"axG",@progbits,_ZL11k_bin_bcastIXadL_ZL6op_mulffEE6__halfS0_S0_JPKS0_S2_S2_S2_S2_EEvPKT0_PKT1_PT2_iii15HIP_vector_typeIjLj3EESC_SC_SC_SC_iiiiiiiiiiiDpT3_,comdat
.Lfunc_end123:
	.size	_ZL11k_bin_bcastIXadL_ZL6op_mulffEE6__halfS0_S0_JPKS0_S2_S2_S2_S2_EEvPKT0_PKT1_PT2_iii15HIP_vector_typeIjLj3EESC_SC_SC_SC_iiiiiiiiiiiDpT3_, .Lfunc_end123-_ZL11k_bin_bcastIXadL_ZL6op_mulffEE6__halfS0_S0_JPKS0_S2_S2_S2_S2_EEvPKT0_PKT1_PT2_iii15HIP_vector_typeIjLj3EESC_SC_SC_SC_iiiiiiiiiiiDpT3_
                                        ; -- End function
	.set _ZL11k_bin_bcastIXadL_ZL6op_mulffEE6__halfS0_S0_JPKS0_S2_S2_S2_S2_EEvPKT0_PKT1_PT2_iii15HIP_vector_typeIjLj3EESC_SC_SC_SC_iiiiiiiiiiiDpT3_.num_vgpr, 20
	.set _ZL11k_bin_bcastIXadL_ZL6op_mulffEE6__halfS0_S0_JPKS0_S2_S2_S2_S2_EEvPKT0_PKT1_PT2_iii15HIP_vector_typeIjLj3EESC_SC_SC_SC_iiiiiiiiiiiDpT3_.num_agpr, 0
	.set _ZL11k_bin_bcastIXadL_ZL6op_mulffEE6__halfS0_S0_JPKS0_S2_S2_S2_S2_EEvPKT0_PKT1_PT2_iii15HIP_vector_typeIjLj3EESC_SC_SC_SC_iiiiiiiiiiiDpT3_.numbered_sgpr, 32
	.set _ZL11k_bin_bcastIXadL_ZL6op_mulffEE6__halfS0_S0_JPKS0_S2_S2_S2_S2_EEvPKT0_PKT1_PT2_iii15HIP_vector_typeIjLj3EESC_SC_SC_SC_iiiiiiiiiiiDpT3_.num_named_barrier, 0
	.set _ZL11k_bin_bcastIXadL_ZL6op_mulffEE6__halfS0_S0_JPKS0_S2_S2_S2_S2_EEvPKT0_PKT1_PT2_iii15HIP_vector_typeIjLj3EESC_SC_SC_SC_iiiiiiiiiiiDpT3_.private_seg_size, 0
	.set _ZL11k_bin_bcastIXadL_ZL6op_mulffEE6__halfS0_S0_JPKS0_S2_S2_S2_S2_EEvPKT0_PKT1_PT2_iii15HIP_vector_typeIjLj3EESC_SC_SC_SC_iiiiiiiiiiiDpT3_.uses_vcc, 1
	.set _ZL11k_bin_bcastIXadL_ZL6op_mulffEE6__halfS0_S0_JPKS0_S2_S2_S2_S2_EEvPKT0_PKT1_PT2_iii15HIP_vector_typeIjLj3EESC_SC_SC_SC_iiiiiiiiiiiDpT3_.uses_flat_scratch, 0
	.set _ZL11k_bin_bcastIXadL_ZL6op_mulffEE6__halfS0_S0_JPKS0_S2_S2_S2_S2_EEvPKT0_PKT1_PT2_iii15HIP_vector_typeIjLj3EESC_SC_SC_SC_iiiiiiiiiiiDpT3_.has_dyn_sized_stack, 0
	.set _ZL11k_bin_bcastIXadL_ZL6op_mulffEE6__halfS0_S0_JPKS0_S2_S2_S2_S2_EEvPKT0_PKT1_PT2_iii15HIP_vector_typeIjLj3EESC_SC_SC_SC_iiiiiiiiiiiDpT3_.has_recursion, 0
	.set _ZL11k_bin_bcastIXadL_ZL6op_mulffEE6__halfS0_S0_JPKS0_S2_S2_S2_S2_EEvPKT0_PKT1_PT2_iii15HIP_vector_typeIjLj3EESC_SC_SC_SC_iiiiiiiiiiiDpT3_.has_indirect_call, 0
	.section	.AMDGPU.csdata,"",@progbits
; Kernel info:
; codeLenInByte = 1036
; TotalNumSgprs: 34
; NumVgprs: 20
; ScratchSize: 0
; MemoryBound: 0
; FloatMode: 240
; IeeeMode: 1
; LDSByteSize: 0 bytes/workgroup (compile time only)
; SGPRBlocks: 0
; VGPRBlocks: 1
; NumSGPRsForWavesPerEU: 34
; NumVGPRsForWavesPerEU: 20
; NamedBarCnt: 0
; Occupancy: 16
; WaveLimiterHint : 1
; COMPUTE_PGM_RSRC2:SCRATCH_EN: 0
; COMPUTE_PGM_RSRC2:USER_SGPR: 2
; COMPUTE_PGM_RSRC2:TRAP_HANDLER: 0
; COMPUTE_PGM_RSRC2:TGID_X_EN: 1
; COMPUTE_PGM_RSRC2:TGID_Y_EN: 1
; COMPUTE_PGM_RSRC2:TGID_Z_EN: 1
; COMPUTE_PGM_RSRC2:TIDIG_COMP_CNT: 2
	.section	.text._ZL19k_bin_bcast_unravelIXadL_ZL6op_mulffEE6__halffS0_JPKfS2_S2_S2_S2_EEvPKT0_PKT1_PT2_15HIP_vector_typeIjLj3EESC_SC_jSC_SC_SC_SC_SC_SC_iiiiiiiiiiiDpT3_,"axG",@progbits,_ZL19k_bin_bcast_unravelIXadL_ZL6op_mulffEE6__halffS0_JPKfS2_S2_S2_S2_EEvPKT0_PKT1_PT2_15HIP_vector_typeIjLj3EESC_SC_jSC_SC_SC_SC_SC_SC_iiiiiiiiiiiDpT3_,comdat
	.globl	_ZL19k_bin_bcast_unravelIXadL_ZL6op_mulffEE6__halffS0_JPKfS2_S2_S2_S2_EEvPKT0_PKT1_PT2_15HIP_vector_typeIjLj3EESC_SC_jSC_SC_SC_SC_SC_SC_iiiiiiiiiiiDpT3_ ; -- Begin function _ZL19k_bin_bcast_unravelIXadL_ZL6op_mulffEE6__halffS0_JPKfS2_S2_S2_S2_EEvPKT0_PKT1_PT2_15HIP_vector_typeIjLj3EESC_SC_jSC_SC_SC_SC_SC_SC_iiiiiiiiiiiDpT3_
	.p2align	8
	.type	_ZL19k_bin_bcast_unravelIXadL_ZL6op_mulffEE6__halffS0_JPKfS2_S2_S2_S2_EEvPKT0_PKT1_PT2_15HIP_vector_typeIjLj3EESC_SC_jSC_SC_SC_SC_SC_SC_iiiiiiiiiiiDpT3_,@function
_ZL19k_bin_bcast_unravelIXadL_ZL6op_mulffEE6__halffS0_JPKfS2_S2_S2_S2_EEvPKT0_PKT1_PT2_15HIP_vector_typeIjLj3EESC_SC_jSC_SC_SC_SC_SC_SC_iiiiiiiiiiiDpT3_: ; @_ZL19k_bin_bcast_unravelIXadL_ZL6op_mulffEE6__halffS0_JPKfS2_S2_S2_S2_EEvPKT0_PKT1_PT2_15HIP_vector_typeIjLj3EESC_SC_jSC_SC_SC_SC_SC_SC_iiiiiiiiiiiDpT3_
; %bb.0:
	s_load_b32 s2, s[0:1], 0xec
	s_bfe_u32 s3, ttmp6, 0x4000c
	s_load_b256 s[4:11], s[0:1], 0x38
	s_add_co_i32 s3, s3, 1
	s_and_b32 s12, ttmp6, 15
	s_mul_i32 s3, ttmp9, s3
	s_getreg_b32 s13, hwreg(HW_REG_IB_STS2, 6, 4)
	s_add_co_i32 s12, s12, s3
	s_wait_kmcnt 0x0
	s_and_b32 s2, s2, 0xffff
	s_cmp_eq_u32 s13, 0
	s_cselect_b32 s3, ttmp9, s12
	s_delay_alu instid0(SALU_CYCLE_1) | instskip(SKIP_1) | instid1(VALU_DEP_1)
	v_mad_u32 v0, s3, s2, v0
	s_load_b32 s2, s[0:1], 0x2c
	v_mul_hi_u32 v1, v0, s6
	s_delay_alu instid0(VALU_DEP_1) | instskip(NEXT) | instid1(VALU_DEP_1)
	v_add_nc_u32_e32 v1, v0, v1
	v_lshrrev_b32_e32 v1, s7, v1
	s_delay_alu instid0(VALU_DEP_1) | instskip(NEXT) | instid1(VALU_DEP_1)
	v_mul_lo_u32 v2, v1, s8
	v_sub_nc_u32_e32 v0, v0, v2
	s_delay_alu instid0(VALU_DEP_1) | instskip(NEXT) | instid1(VALU_DEP_1)
	v_mul_hi_u32 v2, v0, s9
	v_add_nc_u32_e32 v2, v0, v2
	s_delay_alu instid0(VALU_DEP_1) | instskip(SKIP_1) | instid1(VALU_DEP_1)
	v_lshrrev_b32_e32 v2, s10, v2
	s_load_b96 s[8:10], s[0:1], 0x18
	v_mul_lo_u32 v3, v2, s11
	s_delay_alu instid0(VALU_DEP_1) | instskip(SKIP_3) | instid1(VALU_DEP_3)
	v_sub_nc_u32_e32 v0, v0, v3
	v_cmp_gt_u32_e64 s3, s4, v2
	v_cmp_gt_u32_e64 s4, s5, v1
	s_wait_kmcnt 0x0
	v_mul_hi_u32 v3, v0, s8
	s_delay_alu instid0(VALU_DEP_1) | instskip(NEXT) | instid1(VALU_DEP_1)
	v_add_nc_u32_e32 v3, v0, v3
	v_lshrrev_b32_e32 v4, s9, v3
	s_delay_alu instid0(VALU_DEP_1) | instskip(NEXT) | instid1(VALU_DEP_1)
	v_mul_lo_u32 v3, v4, s10
	v_sub_nc_u32_e32 v0, v0, v3
	v_cmp_gt_u32_e64 s2, s2, v4
	s_delay_alu instid0(VALU_DEP_2) | instskip(SKIP_1) | instid1(SALU_CYCLE_1)
	v_cmp_gt_u32_e32 vcc_lo, s10, v0
	s_and_b32 s2, vcc_lo, s2
	s_and_b32 s2, s2, s3
	s_delay_alu instid0(SALU_CYCLE_1) | instskip(NEXT) | instid1(SALU_CYCLE_1)
	s_and_b32 s2, s4, s2
	s_and_saveexec_b32 s3, s2
	s_cbranch_execz .LBB124_4
; %bb.1:
	s_clause 0x4
	s_load_b64 s[2:3], s[0:1], 0x0
	s_load_b96 s[24:26], s[0:1], 0xa8
	s_load_b256 s[4:11], s[0:1], 0x88
	s_load_b128 s[20:23], s[0:1], 0x78
	s_load_b256 s[12:19], s[0:1], 0x58
	v_dual_mov_b32 v3, 0 :: v_dual_mov_b32 v5, 0
	s_wait_kmcnt 0x0
	s_cmp_eq_u64 s[2:3], 0
	s_cbranch_scc1 .LBB124_3
; %bb.2:
	v_mul_lo_u32 v5, v1, s10
	v_mov_b32_e32 v7, 0
	s_delay_alu instid0(VALU_DEP_2) | instskip(NEXT) | instid1(VALU_DEP_1)
	v_mad_u32 v5, v2, s9, v5
	v_mad_u32 v6, v4, s8, v5
	s_delay_alu instid0(VALU_DEP_1) | instskip(SKIP_1) | instid1(VALU_DEP_1)
	v_lshl_add_u64 v[8:9], v[6:7], 1, s[2:3]
	v_mul_lo_u32 v6, v0, s7
	v_lshl_add_u64 v[6:7], v[6:7], 1, v[8:9]
	global_load_u16 v5, v[6:7], off
	s_wait_loadcnt 0x0
	v_cvt_f32_f16_e32 v5, v5
.LBB124_3:
	v_mul_hi_u32 v6, s21, v1
	v_mul_hi_u32 v7, s18, v2
	;; [unrolled: 1-line block ×4, first 2 shown]
	s_load_b64 s[2:3], s[0:1], 0xd8
	s_delay_alu instid0(VALU_DEP_3) | instskip(NEXT) | instid1(VALU_DEP_1)
	v_dual_add_nc_u32 v6, v1, v6 :: v_dual_add_nc_u32 v7, v2, v7
	v_dual_lshrrev_b32 v6, s22, v6 :: v_dual_lshrrev_b32 v7, s19, v7
	s_delay_alu instid0(VALU_DEP_1) | instskip(SKIP_1) | instid1(VALU_DEP_3)
	v_mul_lo_u32 v6, v6, s23
	v_add_nc_u32_e32 v8, v4, v8
	v_mul_lo_u32 v7, v7, s20
	s_delay_alu instid0(VALU_DEP_3) | instskip(NEXT) | instid1(VALU_DEP_3)
	v_dual_sub_nc_u32 v6, v1, v6 :: v_dual_add_nc_u32 v9, v0, v9
	v_lshrrev_b32_e32 v8, s16, v8
	v_mul_lo_u32 v1, v1, s6
	s_delay_alu instid0(VALU_DEP_4) | instskip(NEXT) | instid1(VALU_DEP_4)
	v_sub_nc_u32_e32 v7, v2, v7
	v_mul_lo_u32 v6, v6, s26
	v_lshrrev_b32_e32 v9, s13, v9
	v_mul_lo_u32 v8, v8, s17
	s_delay_alu instid0(VALU_DEP_2) | instskip(SKIP_2) | instid1(VALU_DEP_4)
	v_mul_lo_u32 v9, v9, s14
	v_mad_u32 v1, v2, s5, v1
	v_mad_u32 v7, v7, s25, v6
	v_sub_nc_u32_e32 v8, v4, v8
	s_delay_alu instid0(VALU_DEP_3) | instskip(NEXT) | instid1(VALU_DEP_2)
	v_mad_u32 v2, v4, s4, v1
	v_mad_u32 v8, v8, s24, v7
	s_delay_alu instid0(VALU_DEP_1) | instskip(NEXT) | instid1(VALU_DEP_1)
	v_dual_sub_nc_u32 v6, v0, v9 :: v_dual_ashrrev_i32 v9, 31, v8
	v_mul_lo_u32 v6, v6, s11
	s_load_b256 s[8:15], s[0:1], 0xb8
	s_delay_alu instid0(VALU_DEP_1) | instskip(SKIP_2) | instid1(VALU_DEP_1)
	v_ashrrev_i32_e32 v7, 31, v6
	s_wait_xcnt 0x0
	s_load_b64 s[0:1], s[0:1], 0x10
	v_add_nc_u64_e32 v[6:7], v[6:7], v[8:9]
	s_delay_alu instid0(VALU_DEP_1) | instskip(SKIP_1) | instid1(VALU_DEP_1)
	v_lshlrev_b64_e32 v[6:7], 2, v[6:7]
	s_wait_kmcnt 0x0
	v_add_nc_u64_e32 v[8:9], s[8:9], v[6:7]
	v_add_nc_u64_e32 v[10:11], s[10:11], v[6:7]
	global_load_b32 v12, v[8:9], off
	s_wait_xcnt 0x0
	v_add_nc_u64_e32 v[8:9], s[12:13], v[6:7]
	global_load_b32 v13, v[10:11], off
	s_wait_xcnt 0x0
	v_add_nc_u64_e32 v[10:11], s[14:15], v[6:7]
	v_add_nc_u64_e32 v[6:7], s[2:3], v[6:7]
	global_load_b32 v8, v[8:9], off
	global_load_b32 v9, v[10:11], off
	;; [unrolled: 1-line block ×3, first 2 shown]
	s_wait_loadcnt 0x4
	v_mul_f32_e32 v5, v5, v12
	s_wait_loadcnt 0x3
	s_delay_alu instid0(VALU_DEP_1) | instskip(SKIP_1) | instid1(VALU_DEP_1)
	v_mul_f32_e32 v1, v5, v13
	s_wait_loadcnt 0x2
	v_dual_mul_f32 v4, v1, v8 :: v_dual_mov_b32 v1, v3
	v_lshl_add_u64 v[2:3], v[2:3], 1, s[0:1]
	s_wait_loadcnt 0x1
	s_delay_alu instid0(VALU_DEP_2) | instskip(NEXT) | instid1(VALU_DEP_2)
	v_mul_f32_e32 v4, v4, v9
	v_lshl_add_u64 v[0:1], v[0:1], 1, v[2:3]
	s_wait_loadcnt 0x0
	s_delay_alu instid0(VALU_DEP_2)
	v_fma_mixlo_f16 v4, v4, v14, 0
	global_store_b16 v[0:1], v4, off
.LBB124_4:
	s_endpgm
	.section	.rodata,"a",@progbits
	.p2align	6, 0x0
	.amdhsa_kernel _ZL19k_bin_bcast_unravelIXadL_ZL6op_mulffEE6__halffS0_JPKfS2_S2_S2_S2_EEvPKT0_PKT1_PT2_15HIP_vector_typeIjLj3EESC_SC_jSC_SC_SC_SC_SC_SC_iiiiiiiiiiiDpT3_
		.amdhsa_group_segment_fixed_size 0
		.amdhsa_private_segment_fixed_size 0
		.amdhsa_kernarg_size 480
		.amdhsa_user_sgpr_count 2
		.amdhsa_user_sgpr_dispatch_ptr 0
		.amdhsa_user_sgpr_queue_ptr 0
		.amdhsa_user_sgpr_kernarg_segment_ptr 1
		.amdhsa_user_sgpr_dispatch_id 0
		.amdhsa_user_sgpr_kernarg_preload_length 0
		.amdhsa_user_sgpr_kernarg_preload_offset 0
		.amdhsa_user_sgpr_private_segment_size 0
		.amdhsa_wavefront_size32 1
		.amdhsa_uses_dynamic_stack 0
		.amdhsa_enable_private_segment 0
		.amdhsa_system_sgpr_workgroup_id_x 1
		.amdhsa_system_sgpr_workgroup_id_y 0
		.amdhsa_system_sgpr_workgroup_id_z 0
		.amdhsa_system_sgpr_workgroup_info 0
		.amdhsa_system_vgpr_workitem_id 0
		.amdhsa_next_free_vgpr 15
		.amdhsa_next_free_sgpr 27
		.amdhsa_named_barrier_count 0
		.amdhsa_reserve_vcc 1
		.amdhsa_float_round_mode_32 0
		.amdhsa_float_round_mode_16_64 0
		.amdhsa_float_denorm_mode_32 3
		.amdhsa_float_denorm_mode_16_64 3
		.amdhsa_fp16_overflow 0
		.amdhsa_memory_ordered 1
		.amdhsa_forward_progress 1
		.amdhsa_inst_pref_size 7
		.amdhsa_round_robin_scheduling 0
		.amdhsa_exception_fp_ieee_invalid_op 0
		.amdhsa_exception_fp_denorm_src 0
		.amdhsa_exception_fp_ieee_div_zero 0
		.amdhsa_exception_fp_ieee_overflow 0
		.amdhsa_exception_fp_ieee_underflow 0
		.amdhsa_exception_fp_ieee_inexact 0
		.amdhsa_exception_int_div_zero 0
	.end_amdhsa_kernel
	.section	.text._ZL19k_bin_bcast_unravelIXadL_ZL6op_mulffEE6__halffS0_JPKfS2_S2_S2_S2_EEvPKT0_PKT1_PT2_15HIP_vector_typeIjLj3EESC_SC_jSC_SC_SC_SC_SC_SC_iiiiiiiiiiiDpT3_,"axG",@progbits,_ZL19k_bin_bcast_unravelIXadL_ZL6op_mulffEE6__halffS0_JPKfS2_S2_S2_S2_EEvPKT0_PKT1_PT2_15HIP_vector_typeIjLj3EESC_SC_jSC_SC_SC_SC_SC_SC_iiiiiiiiiiiDpT3_,comdat
.Lfunc_end124:
	.size	_ZL19k_bin_bcast_unravelIXadL_ZL6op_mulffEE6__halffS0_JPKfS2_S2_S2_S2_EEvPKT0_PKT1_PT2_15HIP_vector_typeIjLj3EESC_SC_jSC_SC_SC_SC_SC_SC_iiiiiiiiiiiDpT3_, .Lfunc_end124-_ZL19k_bin_bcast_unravelIXadL_ZL6op_mulffEE6__halffS0_JPKfS2_S2_S2_S2_EEvPKT0_PKT1_PT2_15HIP_vector_typeIjLj3EESC_SC_jSC_SC_SC_SC_SC_SC_iiiiiiiiiiiDpT3_
                                        ; -- End function
	.set _ZL19k_bin_bcast_unravelIXadL_ZL6op_mulffEE6__halffS0_JPKfS2_S2_S2_S2_EEvPKT0_PKT1_PT2_15HIP_vector_typeIjLj3EESC_SC_jSC_SC_SC_SC_SC_SC_iiiiiiiiiiiDpT3_.num_vgpr, 15
	.set _ZL19k_bin_bcast_unravelIXadL_ZL6op_mulffEE6__halffS0_JPKfS2_S2_S2_S2_EEvPKT0_PKT1_PT2_15HIP_vector_typeIjLj3EESC_SC_jSC_SC_SC_SC_SC_SC_iiiiiiiiiiiDpT3_.num_agpr, 0
	.set _ZL19k_bin_bcast_unravelIXadL_ZL6op_mulffEE6__halffS0_JPKfS2_S2_S2_S2_EEvPKT0_PKT1_PT2_15HIP_vector_typeIjLj3EESC_SC_jSC_SC_SC_SC_SC_SC_iiiiiiiiiiiDpT3_.numbered_sgpr, 27
	.set _ZL19k_bin_bcast_unravelIXadL_ZL6op_mulffEE6__halffS0_JPKfS2_S2_S2_S2_EEvPKT0_PKT1_PT2_15HIP_vector_typeIjLj3EESC_SC_jSC_SC_SC_SC_SC_SC_iiiiiiiiiiiDpT3_.num_named_barrier, 0
	.set _ZL19k_bin_bcast_unravelIXadL_ZL6op_mulffEE6__halffS0_JPKfS2_S2_S2_S2_EEvPKT0_PKT1_PT2_15HIP_vector_typeIjLj3EESC_SC_jSC_SC_SC_SC_SC_SC_iiiiiiiiiiiDpT3_.private_seg_size, 0
	.set _ZL19k_bin_bcast_unravelIXadL_ZL6op_mulffEE6__halffS0_JPKfS2_S2_S2_S2_EEvPKT0_PKT1_PT2_15HIP_vector_typeIjLj3EESC_SC_jSC_SC_SC_SC_SC_SC_iiiiiiiiiiiDpT3_.uses_vcc, 1
	.set _ZL19k_bin_bcast_unravelIXadL_ZL6op_mulffEE6__halffS0_JPKfS2_S2_S2_S2_EEvPKT0_PKT1_PT2_15HIP_vector_typeIjLj3EESC_SC_jSC_SC_SC_SC_SC_SC_iiiiiiiiiiiDpT3_.uses_flat_scratch, 0
	.set _ZL19k_bin_bcast_unravelIXadL_ZL6op_mulffEE6__halffS0_JPKfS2_S2_S2_S2_EEvPKT0_PKT1_PT2_15HIP_vector_typeIjLj3EESC_SC_jSC_SC_SC_SC_SC_SC_iiiiiiiiiiiDpT3_.has_dyn_sized_stack, 0
	.set _ZL19k_bin_bcast_unravelIXadL_ZL6op_mulffEE6__halffS0_JPKfS2_S2_S2_S2_EEvPKT0_PKT1_PT2_15HIP_vector_typeIjLj3EESC_SC_jSC_SC_SC_SC_SC_SC_iiiiiiiiiiiDpT3_.has_recursion, 0
	.set _ZL19k_bin_bcast_unravelIXadL_ZL6op_mulffEE6__halffS0_JPKfS2_S2_S2_S2_EEvPKT0_PKT1_PT2_15HIP_vector_typeIjLj3EESC_SC_jSC_SC_SC_SC_SC_SC_iiiiiiiiiiiDpT3_.has_indirect_call, 0
	.section	.AMDGPU.csdata,"",@progbits
; Kernel info:
; codeLenInByte = 860
; TotalNumSgprs: 29
; NumVgprs: 15
; ScratchSize: 0
; MemoryBound: 0
; FloatMode: 240
; IeeeMode: 1
; LDSByteSize: 0 bytes/workgroup (compile time only)
; SGPRBlocks: 0
; VGPRBlocks: 0
; NumSGPRsForWavesPerEU: 29
; NumVGPRsForWavesPerEU: 15
; NamedBarCnt: 0
; Occupancy: 16
; WaveLimiterHint : 1
; COMPUTE_PGM_RSRC2:SCRATCH_EN: 0
; COMPUTE_PGM_RSRC2:USER_SGPR: 2
; COMPUTE_PGM_RSRC2:TRAP_HANDLER: 0
; COMPUTE_PGM_RSRC2:TGID_X_EN: 1
; COMPUTE_PGM_RSRC2:TGID_Y_EN: 0
; COMPUTE_PGM_RSRC2:TGID_Z_EN: 0
; COMPUTE_PGM_RSRC2:TIDIG_COMP_CNT: 0
	.section	.text._ZL11k_bin_bcastIXadL_ZL6op_mulffEE6__halffS0_JPKfS2_S2_S2_S2_EEvPKT0_PKT1_PT2_iii15HIP_vector_typeIjLj3EESC_SC_SC_SC_iiiiiiiiiiiDpT3_,"axG",@progbits,_ZL11k_bin_bcastIXadL_ZL6op_mulffEE6__halffS0_JPKfS2_S2_S2_S2_EEvPKT0_PKT1_PT2_iii15HIP_vector_typeIjLj3EESC_SC_SC_SC_iiiiiiiiiiiDpT3_,comdat
	.globl	_ZL11k_bin_bcastIXadL_ZL6op_mulffEE6__halffS0_JPKfS2_S2_S2_S2_EEvPKT0_PKT1_PT2_iii15HIP_vector_typeIjLj3EESC_SC_SC_SC_iiiiiiiiiiiDpT3_ ; -- Begin function _ZL11k_bin_bcastIXadL_ZL6op_mulffEE6__halffS0_JPKfS2_S2_S2_S2_EEvPKT0_PKT1_PT2_iii15HIP_vector_typeIjLj3EESC_SC_SC_SC_iiiiiiiiiiiDpT3_
	.p2align	8
	.type	_ZL11k_bin_bcastIXadL_ZL6op_mulffEE6__halffS0_JPKfS2_S2_S2_S2_EEvPKT0_PKT1_PT2_iii15HIP_vector_typeIjLj3EESC_SC_SC_SC_iiiiiiiiiiiDpT3_,@function
_ZL11k_bin_bcastIXadL_ZL6op_mulffEE6__halffS0_JPKfS2_S2_S2_S2_EEvPKT0_PKT1_PT2_iii15HIP_vector_typeIjLj3EESC_SC_SC_SC_iiiiiiiiiiiDpT3_: ; @_ZL11k_bin_bcastIXadL_ZL6op_mulffEE6__halffS0_JPKfS2_S2_S2_S2_EEvPKT0_PKT1_PT2_iii15HIP_vector_typeIjLj3EESC_SC_SC_SC_iiiiiiiiiiiDpT3_
; %bb.0:
	s_load_b64 s[2:3], s[0:1], 0xc4
	s_bfe_u32 s5, ttmp6, 0x40014
	s_bfe_u32 s7, ttmp6, 0x40010
	s_bfe_u32 s19, ttmp6, 0x4000c
	s_lshr_b32 s4, ttmp7, 16
	s_and_b32 s16, ttmp7, 0xffff
	s_add_co_i32 s5, s5, 1
	s_add_co_i32 s7, s7, 1
	s_load_b256 s[8:15], s[0:1], 0x18
	s_add_co_i32 s19, s19, 1
	s_bfe_u32 s6, ttmp6, 0x40008
	s_bfe_u32 s17, ttmp6, 0x40004
	s_mul_i32 s5, s4, s5
	s_mul_i32 s7, s16, s7
	s_and_b32 s18, ttmp6, 15
	s_mul_i32 s19, ttmp9, s19
	s_add_co_i32 s6, s6, s5
	s_add_co_i32 s17, s17, s7
	;; [unrolled: 1-line block ×3, first 2 shown]
	v_bfe_u32 v1, v0, 20, 10
	s_wait_kmcnt 0x0
	s_lshr_b32 s5, s2, 16
	s_and_b32 s7, s2, 0xffff
	s_getreg_b32 s2, hwreg(HW_REG_IB_STS2, 6, 4)
	s_and_b32 s3, s3, 0xffff
	s_cmp_eq_u32 s2, 0
	v_and_b32_e32 v2, 0x3ff, v0
	s_cselect_b32 s2, s4, s6
	v_bfe_u32 v4, v0, 10, 10
	v_mad_u32 v3, s2, s3, v1
	s_cselect_b32 s2, ttmp9, s18
	s_cselect_b32 s3, s16, s17
	v_mad_u32 v0, s2, s7, v2
	v_mad_u32 v2, s3, s5, v4
	s_delay_alu instid0(VALU_DEP_3) | instskip(NEXT) | instid1(VALU_DEP_3)
	v_mul_hi_u32 v1, v3, s11
	v_cmp_gt_u32_e32 vcc_lo, s8, v0
	s_delay_alu instid0(VALU_DEP_3) | instskip(SKIP_2) | instid1(VALU_DEP_1)
	v_cmp_gt_u32_e64 s2, s9, v2
	s_and_b32 s2, vcc_lo, s2
	v_add_nc_u32_e32 v1, v3, v1
	v_lshrrev_b32_e32 v1, s12, v1
	s_delay_alu instid0(VALU_DEP_1) | instskip(SKIP_3) | instid1(VALU_DEP_1)
	v_mul_lo_u32 v5, v1, s13
	v_cmp_gt_u32_e64 s3, s10, v1
	s_and_b32 s2, s2, s3
	v_sub_nc_u32_e32 v3, v3, v5
	v_cmp_gt_u32_e64 s4, s13, v3
	s_and_b32 s2, s2, s4
	s_delay_alu instid0(SALU_CYCLE_1)
	s_and_saveexec_b32 s3, s2
	s_cbranch_execz .LBB125_6
; %bb.1:
	v_cmp_gt_i32_e32 vcc_lo, s8, v0
	s_and_b32 exec_lo, exec_lo, vcc_lo
	s_cbranch_execz .LBB125_6
; %bb.2:
	s_clause 0x5
	s_load_b256 s[24:31], s[0:1], 0x3c
	s_load_b32 s2, s[0:1], 0x5c
	s_load_b256 s[16:23], s[0:1], 0x60
	s_load_b96 s[4:6], s[0:1], 0x80
	s_load_b64 s[10:11], s[0:1], 0x0
	s_load_b64 s[12:13], s[0:1], 0x10
	s_wait_kmcnt 0x0
	v_mul_hi_u32 v4, s30, v3
	v_mul_hi_u32 v5, s27, v1
	;; [unrolled: 1-line block ×3, first 2 shown]
	v_mul_lo_u32 v7, v2, s20
	v_mul_lo_u32 v8, v2, s16
	s_cmp_lg_u64 s[10:11], 0
	s_delay_alu instid0(VALU_DEP_4) | instskip(NEXT) | instid1(VALU_DEP_3)
	v_dual_add_nc_u32 v4, v3, v4 :: v_dual_add_nc_u32 v5, v1, v5
	v_mad_u32 v7, v1, s21, v7
	s_delay_alu instid0(VALU_DEP_3) | instskip(NEXT) | instid1(VALU_DEP_3)
	v_mad_u32 v8, v1, s17, v8
	v_dual_lshrrev_b32 v4, s31, v4 :: v_dual_lshrrev_b32 v5, s28, v5
	s_delay_alu instid0(VALU_DEP_1) | instskip(SKIP_1) | instid1(VALU_DEP_3)
	v_mul_lo_u32 v4, v4, s2
	v_add_nc_u32_e32 v6, v2, v6
	v_mul_lo_u32 v5, v5, s29
	s_add_nc_u64 s[2:3], s[0:1], 0xb8
	v_mad_u32 v8, v3, s18, v8
	s_delay_alu instid0(VALU_DEP_3) | instskip(NEXT) | instid1(VALU_DEP_3)
	v_dual_sub_nc_u32 v4, v3, v4 :: v_dual_lshrrev_b32 v6, s25, v6
	v_sub_nc_u32_e32 v5, v1, v5
	s_delay_alu instid0(VALU_DEP_2) | instskip(NEXT) | instid1(VALU_DEP_3)
	v_mul_lo_u32 v9, v4, s6
	v_mul_lo_u32 v6, v6, s26
	s_load_b32 s6, s[2:3], 0x0
	s_load_b32 s9, s[0:1], 0x38
	v_mad_u32 v4, v3, s22, v7
	s_wait_xcnt 0x0
	s_clause 0x1
	s_load_b64 s[2:3], s[0:1], 0xb0
	s_load_b256 s[24:31], s[0:1], 0x90
	v_mov_b32_e32 v1, 0
	s_wait_xcnt 0x0
	s_mov_b32 s1, 0
	s_mov_b32 s0, s14
	v_mad_u32 v7, v5, s5, v9
	v_sub_nc_u32_e32 v2, v2, v6
	v_mul_lo_u32 v6, s19, v0
	v_dual_mov_b32 v5, v1 :: v_dual_mov_b32 v9, v1
	v_mov_b32_e32 v3, v1
	s_cselect_b32 s5, -1, 0
	s_delay_alu instid0(VALU_DEP_2) | instskip(NEXT) | instid1(VALU_DEP_3)
	v_lshl_add_u64 v[4:5], v[4:5], 1, s[10:11]
	v_lshl_add_u64 v[8:9], v[8:9], 1, s[12:13]
	v_mad_u32 v2, v2, s4, v7
	s_wait_kmcnt 0x0
	s_mul_i32 s4, s6, s7
	s_sub_co_i32 s7, 0, s9
	s_mul_i32 s6, s4, s19
	s_mov_b32 s9, s1
	s_branch .LBB125_4
.LBB125_3:                              ;   in Loop: Header=BB125_4 Depth=1
	s_wait_xcnt 0x0
	v_mul_u64_e32 v[10:11], s[0:1], v[0:1]
	s_delay_alu instid0(VALU_DEP_1) | instskip(NEXT) | instid1(VALU_DEP_1)
	v_dual_add_nc_u32 v6, s6, v6 :: v_dual_add_nc_u32 v10, v0, v11
	v_dual_mov_b32 v11, v1 :: v_dual_lshrrev_b32 v10, s15, v10
	s_delay_alu instid0(VALU_DEP_1) | instskip(NEXT) | instid1(VALU_DEP_1)
	v_mad_u32 v10, s7, v10, v0
	v_mul_lo_u32 v10, v10, s23
	s_delay_alu instid0(VALU_DEP_1) | instskip(NEXT) | instid1(VALU_DEP_1)
	v_add_nc_u64_e32 v[10:11], v[10:11], v[2:3]
	v_lshlrev_b64_e32 v[10:11], 2, v[10:11]
	s_delay_alu instid0(VALU_DEP_1)
	v_add_nc_u64_e32 v[12:13], s[24:25], v[10:11]
	v_add_nc_u64_e32 v[14:15], s[26:27], v[10:11]
	global_load_b32 v16, v[12:13], off
	s_wait_xcnt 0x0
	v_add_nc_u64_e32 v[12:13], s[28:29], v[10:11]
	global_load_b32 v17, v[14:15], off
	s_wait_xcnt 0x0
	v_add_nc_u64_e32 v[14:15], s[30:31], v[10:11]
	v_add_nc_u64_e32 v[10:11], s[2:3], v[10:11]
	global_load_b32 v12, v[12:13], off
	global_load_b32 v13, v[14:15], off
	global_load_b32 v18, v[10:11], off
	s_wait_xcnt 0x0
	v_dual_mov_b32 v10, v0 :: v_dual_ashrrev_i32 v11, 31, v0
	s_delay_alu instid0(VALU_DEP_1) | instskip(SKIP_3) | instid1(VALU_DEP_1)
	v_lshl_add_u64 v[10:11], v[10:11], 1, v[8:9]
	s_wait_loadcnt 0x4
	v_mul_f32_e32 v7, v7, v16
	s_wait_loadcnt 0x3
	v_mul_f32_e32 v7, v7, v17
	s_wait_loadcnt 0x2
	s_delay_alu instid0(VALU_DEP_1) | instskip(SKIP_1) | instid1(VALU_DEP_1)
	v_mul_f32_e32 v7, v7, v12
	s_wait_loadcnt 0x1
	v_dual_mul_f32 v7, v7, v13 :: v_dual_add_nc_u32 v0, s4, v0
	s_delay_alu instid0(VALU_DEP_1) | instskip(SKIP_1) | instid1(VALU_DEP_2)
	v_cmp_le_i32_e32 vcc_lo, s8, v0
	s_wait_loadcnt 0x0
	v_fma_mixlo_f16 v7, v7, v18, 0
	s_or_b32 s9, vcc_lo, s9
	global_store_b16 v[10:11], v7, off
	s_wait_xcnt 0x0
	s_and_not1_b32 exec_lo, exec_lo, s9
	s_cbranch_execz .LBB125_6
.LBB125_4:                              ; =>This Inner Loop Header: Depth=1
	v_mov_b32_e32 v7, 0
	s_and_not1_b32 vcc_lo, exec_lo, s5
	s_cbranch_vccnz .LBB125_3
; %bb.5:                                ;   in Loop: Header=BB125_4 Depth=1
	v_ashrrev_i32_e32 v7, 31, v6
	s_delay_alu instid0(VALU_DEP_1)
	v_lshl_add_u64 v[10:11], v[6:7], 1, v[4:5]
	global_load_u16 v7, v[10:11], off
	s_wait_loadcnt 0x0
	v_cvt_f32_f16_e32 v7, v7
	s_branch .LBB125_3
.LBB125_6:
	s_endpgm
	.section	.rodata,"a",@progbits
	.p2align	6, 0x0
	.amdhsa_kernel _ZL11k_bin_bcastIXadL_ZL6op_mulffEE6__halffS0_JPKfS2_S2_S2_S2_EEvPKT0_PKT1_PT2_iii15HIP_vector_typeIjLj3EESC_SC_SC_SC_iiiiiiiiiiiDpT3_
		.amdhsa_group_segment_fixed_size 0
		.amdhsa_private_segment_fixed_size 0
		.amdhsa_kernarg_size 440
		.amdhsa_user_sgpr_count 2
		.amdhsa_user_sgpr_dispatch_ptr 0
		.amdhsa_user_sgpr_queue_ptr 0
		.amdhsa_user_sgpr_kernarg_segment_ptr 1
		.amdhsa_user_sgpr_dispatch_id 0
		.amdhsa_user_sgpr_kernarg_preload_length 0
		.amdhsa_user_sgpr_kernarg_preload_offset 0
		.amdhsa_user_sgpr_private_segment_size 0
		.amdhsa_wavefront_size32 1
		.amdhsa_uses_dynamic_stack 0
		.amdhsa_enable_private_segment 0
		.amdhsa_system_sgpr_workgroup_id_x 1
		.amdhsa_system_sgpr_workgroup_id_y 1
		.amdhsa_system_sgpr_workgroup_id_z 1
		.amdhsa_system_sgpr_workgroup_info 0
		.amdhsa_system_vgpr_workitem_id 2
		.amdhsa_next_free_vgpr 19
		.amdhsa_next_free_sgpr 32
		.amdhsa_named_barrier_count 0
		.amdhsa_reserve_vcc 1
		.amdhsa_float_round_mode_32 0
		.amdhsa_float_round_mode_16_64 0
		.amdhsa_float_denorm_mode_32 3
		.amdhsa_float_denorm_mode_16_64 3
		.amdhsa_fp16_overflow 0
		.amdhsa_memory_ordered 1
		.amdhsa_forward_progress 1
		.amdhsa_inst_pref_size 8
		.amdhsa_round_robin_scheduling 0
		.amdhsa_exception_fp_ieee_invalid_op 0
		.amdhsa_exception_fp_denorm_src 0
		.amdhsa_exception_fp_ieee_div_zero 0
		.amdhsa_exception_fp_ieee_overflow 0
		.amdhsa_exception_fp_ieee_underflow 0
		.amdhsa_exception_fp_ieee_inexact 0
		.amdhsa_exception_int_div_zero 0
	.end_amdhsa_kernel
	.section	.text._ZL11k_bin_bcastIXadL_ZL6op_mulffEE6__halffS0_JPKfS2_S2_S2_S2_EEvPKT0_PKT1_PT2_iii15HIP_vector_typeIjLj3EESC_SC_SC_SC_iiiiiiiiiiiDpT3_,"axG",@progbits,_ZL11k_bin_bcastIXadL_ZL6op_mulffEE6__halffS0_JPKfS2_S2_S2_S2_EEvPKT0_PKT1_PT2_iii15HIP_vector_typeIjLj3EESC_SC_SC_SC_iiiiiiiiiiiDpT3_,comdat
.Lfunc_end125:
	.size	_ZL11k_bin_bcastIXadL_ZL6op_mulffEE6__halffS0_JPKfS2_S2_S2_S2_EEvPKT0_PKT1_PT2_iii15HIP_vector_typeIjLj3EESC_SC_SC_SC_iiiiiiiiiiiDpT3_, .Lfunc_end125-_ZL11k_bin_bcastIXadL_ZL6op_mulffEE6__halffS0_JPKfS2_S2_S2_S2_EEvPKT0_PKT1_PT2_iii15HIP_vector_typeIjLj3EESC_SC_SC_SC_iiiiiiiiiiiDpT3_
                                        ; -- End function
	.set _ZL11k_bin_bcastIXadL_ZL6op_mulffEE6__halffS0_JPKfS2_S2_S2_S2_EEvPKT0_PKT1_PT2_iii15HIP_vector_typeIjLj3EESC_SC_SC_SC_iiiiiiiiiiiDpT3_.num_vgpr, 19
	.set _ZL11k_bin_bcastIXadL_ZL6op_mulffEE6__halffS0_JPKfS2_S2_S2_S2_EEvPKT0_PKT1_PT2_iii15HIP_vector_typeIjLj3EESC_SC_SC_SC_iiiiiiiiiiiDpT3_.num_agpr, 0
	.set _ZL11k_bin_bcastIXadL_ZL6op_mulffEE6__halffS0_JPKfS2_S2_S2_S2_EEvPKT0_PKT1_PT2_iii15HIP_vector_typeIjLj3EESC_SC_SC_SC_iiiiiiiiiiiDpT3_.numbered_sgpr, 32
	.set _ZL11k_bin_bcastIXadL_ZL6op_mulffEE6__halffS0_JPKfS2_S2_S2_S2_EEvPKT0_PKT1_PT2_iii15HIP_vector_typeIjLj3EESC_SC_SC_SC_iiiiiiiiiiiDpT3_.num_named_barrier, 0
	.set _ZL11k_bin_bcastIXadL_ZL6op_mulffEE6__halffS0_JPKfS2_S2_S2_S2_EEvPKT0_PKT1_PT2_iii15HIP_vector_typeIjLj3EESC_SC_SC_SC_iiiiiiiiiiiDpT3_.private_seg_size, 0
	.set _ZL11k_bin_bcastIXadL_ZL6op_mulffEE6__halffS0_JPKfS2_S2_S2_S2_EEvPKT0_PKT1_PT2_iii15HIP_vector_typeIjLj3EESC_SC_SC_SC_iiiiiiiiiiiDpT3_.uses_vcc, 1
	.set _ZL11k_bin_bcastIXadL_ZL6op_mulffEE6__halffS0_JPKfS2_S2_S2_S2_EEvPKT0_PKT1_PT2_iii15HIP_vector_typeIjLj3EESC_SC_SC_SC_iiiiiiiiiiiDpT3_.uses_flat_scratch, 0
	.set _ZL11k_bin_bcastIXadL_ZL6op_mulffEE6__halffS0_JPKfS2_S2_S2_S2_EEvPKT0_PKT1_PT2_iii15HIP_vector_typeIjLj3EESC_SC_SC_SC_iiiiiiiiiiiDpT3_.has_dyn_sized_stack, 0
	.set _ZL11k_bin_bcastIXadL_ZL6op_mulffEE6__halffS0_JPKfS2_S2_S2_S2_EEvPKT0_PKT1_PT2_iii15HIP_vector_typeIjLj3EESC_SC_SC_SC_iiiiiiiiiiiDpT3_.has_recursion, 0
	.set _ZL11k_bin_bcastIXadL_ZL6op_mulffEE6__halffS0_JPKfS2_S2_S2_S2_EEvPKT0_PKT1_PT2_iii15HIP_vector_typeIjLj3EESC_SC_SC_SC_iiiiiiiiiiiDpT3_.has_indirect_call, 0
	.section	.AMDGPU.csdata,"",@progbits
; Kernel info:
; codeLenInByte = 1012
; TotalNumSgprs: 34
; NumVgprs: 19
; ScratchSize: 0
; MemoryBound: 0
; FloatMode: 240
; IeeeMode: 1
; LDSByteSize: 0 bytes/workgroup (compile time only)
; SGPRBlocks: 0
; VGPRBlocks: 1
; NumSGPRsForWavesPerEU: 34
; NumVGPRsForWavesPerEU: 19
; NamedBarCnt: 0
; Occupancy: 16
; WaveLimiterHint : 1
; COMPUTE_PGM_RSRC2:SCRATCH_EN: 0
; COMPUTE_PGM_RSRC2:USER_SGPR: 2
; COMPUTE_PGM_RSRC2:TRAP_HANDLER: 0
; COMPUTE_PGM_RSRC2:TGID_X_EN: 1
; COMPUTE_PGM_RSRC2:TGID_Y_EN: 1
; COMPUTE_PGM_RSRC2:TGID_Z_EN: 1
; COMPUTE_PGM_RSRC2:TIDIG_COMP_CNT: 2
	.section	.text._ZL19k_bin_bcast_unravelIXadL_ZL6op_mulffEE6__halfffJPKfS2_S2_S2_S2_EEvPKT0_PKT1_PT2_15HIP_vector_typeIjLj3EESC_SC_jSC_SC_SC_SC_SC_SC_iiiiiiiiiiiDpT3_,"axG",@progbits,_ZL19k_bin_bcast_unravelIXadL_ZL6op_mulffEE6__halfffJPKfS2_S2_S2_S2_EEvPKT0_PKT1_PT2_15HIP_vector_typeIjLj3EESC_SC_jSC_SC_SC_SC_SC_SC_iiiiiiiiiiiDpT3_,comdat
	.globl	_ZL19k_bin_bcast_unravelIXadL_ZL6op_mulffEE6__halfffJPKfS2_S2_S2_S2_EEvPKT0_PKT1_PT2_15HIP_vector_typeIjLj3EESC_SC_jSC_SC_SC_SC_SC_SC_iiiiiiiiiiiDpT3_ ; -- Begin function _ZL19k_bin_bcast_unravelIXadL_ZL6op_mulffEE6__halfffJPKfS2_S2_S2_S2_EEvPKT0_PKT1_PT2_15HIP_vector_typeIjLj3EESC_SC_jSC_SC_SC_SC_SC_SC_iiiiiiiiiiiDpT3_
	.p2align	8
	.type	_ZL19k_bin_bcast_unravelIXadL_ZL6op_mulffEE6__halfffJPKfS2_S2_S2_S2_EEvPKT0_PKT1_PT2_15HIP_vector_typeIjLj3EESC_SC_jSC_SC_SC_SC_SC_SC_iiiiiiiiiiiDpT3_,@function
_ZL19k_bin_bcast_unravelIXadL_ZL6op_mulffEE6__halfffJPKfS2_S2_S2_S2_EEvPKT0_PKT1_PT2_15HIP_vector_typeIjLj3EESC_SC_jSC_SC_SC_SC_SC_SC_iiiiiiiiiiiDpT3_: ; @_ZL19k_bin_bcast_unravelIXadL_ZL6op_mulffEE6__halfffJPKfS2_S2_S2_S2_EEvPKT0_PKT1_PT2_15HIP_vector_typeIjLj3EESC_SC_jSC_SC_SC_SC_SC_SC_iiiiiiiiiiiDpT3_
; %bb.0:
	s_load_b32 s2, s[0:1], 0xec
	s_bfe_u32 s3, ttmp6, 0x4000c
	s_load_b256 s[4:11], s[0:1], 0x38
	s_add_co_i32 s3, s3, 1
	s_and_b32 s12, ttmp6, 15
	s_mul_i32 s3, ttmp9, s3
	s_getreg_b32 s13, hwreg(HW_REG_IB_STS2, 6, 4)
	s_add_co_i32 s12, s12, s3
	s_wait_kmcnt 0x0
	s_and_b32 s2, s2, 0xffff
	s_cmp_eq_u32 s13, 0
	s_cselect_b32 s3, ttmp9, s12
	s_delay_alu instid0(SALU_CYCLE_1) | instskip(SKIP_1) | instid1(VALU_DEP_1)
	v_mad_u32 v0, s3, s2, v0
	s_load_b32 s2, s[0:1], 0x2c
	v_mul_hi_u32 v1, v0, s6
	s_delay_alu instid0(VALU_DEP_1) | instskip(NEXT) | instid1(VALU_DEP_1)
	v_add_nc_u32_e32 v1, v0, v1
	v_lshrrev_b32_e32 v1, s7, v1
	s_delay_alu instid0(VALU_DEP_1) | instskip(NEXT) | instid1(VALU_DEP_1)
	v_mul_lo_u32 v2, v1, s8
	v_sub_nc_u32_e32 v0, v0, v2
	s_delay_alu instid0(VALU_DEP_1) | instskip(NEXT) | instid1(VALU_DEP_1)
	v_mul_hi_u32 v2, v0, s9
	v_add_nc_u32_e32 v2, v0, v2
	s_delay_alu instid0(VALU_DEP_1) | instskip(SKIP_1) | instid1(VALU_DEP_1)
	v_lshrrev_b32_e32 v2, s10, v2
	s_load_b96 s[8:10], s[0:1], 0x18
	v_mul_lo_u32 v3, v2, s11
	s_delay_alu instid0(VALU_DEP_1) | instskip(SKIP_3) | instid1(VALU_DEP_3)
	v_sub_nc_u32_e32 v0, v0, v3
	v_cmp_gt_u32_e64 s3, s4, v2
	v_cmp_gt_u32_e64 s4, s5, v1
	s_wait_kmcnt 0x0
	v_mul_hi_u32 v3, v0, s8
	s_delay_alu instid0(VALU_DEP_1) | instskip(NEXT) | instid1(VALU_DEP_1)
	v_add_nc_u32_e32 v3, v0, v3
	v_lshrrev_b32_e32 v4, s9, v3
	s_delay_alu instid0(VALU_DEP_1) | instskip(NEXT) | instid1(VALU_DEP_1)
	v_mul_lo_u32 v3, v4, s10
	v_sub_nc_u32_e32 v0, v0, v3
	v_cmp_gt_u32_e64 s2, s2, v4
	s_delay_alu instid0(VALU_DEP_2) | instskip(SKIP_1) | instid1(SALU_CYCLE_1)
	v_cmp_gt_u32_e32 vcc_lo, s10, v0
	s_and_b32 s2, vcc_lo, s2
	s_and_b32 s2, s2, s3
	s_delay_alu instid0(SALU_CYCLE_1) | instskip(NEXT) | instid1(SALU_CYCLE_1)
	s_and_b32 s2, s4, s2
	s_and_saveexec_b32 s3, s2
	s_cbranch_execz .LBB126_4
; %bb.1:
	s_clause 0x4
	s_load_b64 s[2:3], s[0:1], 0x0
	s_load_b96 s[24:26], s[0:1], 0xa8
	s_load_b256 s[4:11], s[0:1], 0x88
	s_load_b128 s[20:23], s[0:1], 0x78
	s_load_b256 s[12:19], s[0:1], 0x58
	v_dual_mov_b32 v3, 0 :: v_dual_mov_b32 v5, 0
	s_wait_kmcnt 0x0
	s_cmp_eq_u64 s[2:3], 0
	s_cbranch_scc1 .LBB126_3
; %bb.2:
	v_mul_lo_u32 v5, v1, s10
	v_mov_b32_e32 v7, 0
	s_delay_alu instid0(VALU_DEP_2) | instskip(NEXT) | instid1(VALU_DEP_1)
	v_mad_u32 v5, v2, s9, v5
	v_mad_u32 v6, v4, s8, v5
	s_delay_alu instid0(VALU_DEP_1) | instskip(SKIP_1) | instid1(VALU_DEP_1)
	v_lshl_add_u64 v[8:9], v[6:7], 1, s[2:3]
	v_mul_lo_u32 v6, v0, s7
	v_lshl_add_u64 v[6:7], v[6:7], 1, v[8:9]
	global_load_u16 v5, v[6:7], off
	s_wait_loadcnt 0x0
	v_cvt_f32_f16_e32 v5, v5
.LBB126_3:
	v_mul_hi_u32 v6, s21, v1
	v_mul_hi_u32 v7, s18, v2
	;; [unrolled: 1-line block ×4, first 2 shown]
	s_load_b64 s[2:3], s[0:1], 0xd8
	s_delay_alu instid0(VALU_DEP_3) | instskip(NEXT) | instid1(VALU_DEP_1)
	v_dual_add_nc_u32 v6, v1, v6 :: v_dual_add_nc_u32 v7, v2, v7
	v_dual_lshrrev_b32 v6, s22, v6 :: v_dual_lshrrev_b32 v7, s19, v7
	s_delay_alu instid0(VALU_DEP_1) | instskip(SKIP_1) | instid1(VALU_DEP_3)
	v_mul_lo_u32 v6, v6, s23
	v_add_nc_u32_e32 v8, v4, v8
	v_mul_lo_u32 v7, v7, s20
	s_delay_alu instid0(VALU_DEP_3) | instskip(NEXT) | instid1(VALU_DEP_3)
	v_dual_sub_nc_u32 v6, v1, v6 :: v_dual_add_nc_u32 v9, v0, v9
	v_lshrrev_b32_e32 v8, s16, v8
	v_mul_lo_u32 v1, v1, s6
	s_delay_alu instid0(VALU_DEP_4) | instskip(NEXT) | instid1(VALU_DEP_4)
	v_sub_nc_u32_e32 v7, v2, v7
	v_mul_lo_u32 v6, v6, s26
	v_lshrrev_b32_e32 v9, s13, v9
	v_mul_lo_u32 v8, v8, s17
	s_delay_alu instid0(VALU_DEP_2) | instskip(SKIP_2) | instid1(VALU_DEP_4)
	v_mul_lo_u32 v9, v9, s14
	v_mad_u32 v1, v2, s5, v1
	v_mad_u32 v7, v7, s25, v6
	v_sub_nc_u32_e32 v8, v4, v8
	s_delay_alu instid0(VALU_DEP_3) | instskip(NEXT) | instid1(VALU_DEP_2)
	v_mad_u32 v2, v4, s4, v1
	v_mad_u32 v8, v8, s24, v7
	s_delay_alu instid0(VALU_DEP_1) | instskip(NEXT) | instid1(VALU_DEP_1)
	v_dual_sub_nc_u32 v6, v0, v9 :: v_dual_ashrrev_i32 v9, 31, v8
	v_mul_lo_u32 v6, v6, s11
	s_load_b256 s[8:15], s[0:1], 0xb8
	s_delay_alu instid0(VALU_DEP_1) | instskip(SKIP_2) | instid1(VALU_DEP_1)
	v_ashrrev_i32_e32 v7, 31, v6
	s_wait_xcnt 0x0
	s_load_b64 s[0:1], s[0:1], 0x10
	v_add_nc_u64_e32 v[6:7], v[6:7], v[8:9]
	s_delay_alu instid0(VALU_DEP_1) | instskip(SKIP_1) | instid1(VALU_DEP_1)
	v_lshlrev_b64_e32 v[6:7], 2, v[6:7]
	s_wait_kmcnt 0x0
	v_add_nc_u64_e32 v[8:9], s[8:9], v[6:7]
	v_add_nc_u64_e32 v[10:11], s[10:11], v[6:7]
	global_load_b32 v12, v[8:9], off
	s_wait_xcnt 0x0
	v_add_nc_u64_e32 v[8:9], s[12:13], v[6:7]
	global_load_b32 v13, v[10:11], off
	s_wait_xcnt 0x0
	v_add_nc_u64_e32 v[10:11], s[14:15], v[6:7]
	v_add_nc_u64_e32 v[6:7], s[2:3], v[6:7]
	global_load_b32 v8, v[8:9], off
	global_load_b32 v9, v[10:11], off
	;; [unrolled: 1-line block ×3, first 2 shown]
	s_wait_loadcnt 0x4
	v_mul_f32_e32 v5, v5, v12
	s_wait_loadcnt 0x3
	s_delay_alu instid0(VALU_DEP_1) | instskip(SKIP_1) | instid1(VALU_DEP_1)
	v_mul_f32_e32 v1, v5, v13
	s_wait_loadcnt 0x2
	v_dual_mul_f32 v4, v1, v8 :: v_dual_mov_b32 v1, v3
	v_lshl_add_u64 v[2:3], v[2:3], 2, s[0:1]
	s_wait_loadcnt 0x1
	s_delay_alu instid0(VALU_DEP_2) | instskip(NEXT) | instid1(VALU_DEP_2)
	v_mul_f32_e32 v4, v4, v9
	v_lshl_add_u64 v[0:1], v[0:1], 2, v[2:3]
	s_wait_loadcnt 0x0
	s_delay_alu instid0(VALU_DEP_2)
	v_mul_f32_e32 v4, v4, v14
	global_store_b32 v[0:1], v4, off
.LBB126_4:
	s_endpgm
	.section	.rodata,"a",@progbits
	.p2align	6, 0x0
	.amdhsa_kernel _ZL19k_bin_bcast_unravelIXadL_ZL6op_mulffEE6__halfffJPKfS2_S2_S2_S2_EEvPKT0_PKT1_PT2_15HIP_vector_typeIjLj3EESC_SC_jSC_SC_SC_SC_SC_SC_iiiiiiiiiiiDpT3_
		.amdhsa_group_segment_fixed_size 0
		.amdhsa_private_segment_fixed_size 0
		.amdhsa_kernarg_size 480
		.amdhsa_user_sgpr_count 2
		.amdhsa_user_sgpr_dispatch_ptr 0
		.amdhsa_user_sgpr_queue_ptr 0
		.amdhsa_user_sgpr_kernarg_segment_ptr 1
		.amdhsa_user_sgpr_dispatch_id 0
		.amdhsa_user_sgpr_kernarg_preload_length 0
		.amdhsa_user_sgpr_kernarg_preload_offset 0
		.amdhsa_user_sgpr_private_segment_size 0
		.amdhsa_wavefront_size32 1
		.amdhsa_uses_dynamic_stack 0
		.amdhsa_enable_private_segment 0
		.amdhsa_system_sgpr_workgroup_id_x 1
		.amdhsa_system_sgpr_workgroup_id_y 0
		.amdhsa_system_sgpr_workgroup_id_z 0
		.amdhsa_system_sgpr_workgroup_info 0
		.amdhsa_system_vgpr_workitem_id 0
		.amdhsa_next_free_vgpr 15
		.amdhsa_next_free_sgpr 27
		.amdhsa_named_barrier_count 0
		.amdhsa_reserve_vcc 1
		.amdhsa_float_round_mode_32 0
		.amdhsa_float_round_mode_16_64 0
		.amdhsa_float_denorm_mode_32 3
		.amdhsa_float_denorm_mode_16_64 3
		.amdhsa_fp16_overflow 0
		.amdhsa_memory_ordered 1
		.amdhsa_forward_progress 1
		.amdhsa_inst_pref_size 7
		.amdhsa_round_robin_scheduling 0
		.amdhsa_exception_fp_ieee_invalid_op 0
		.amdhsa_exception_fp_denorm_src 0
		.amdhsa_exception_fp_ieee_div_zero 0
		.amdhsa_exception_fp_ieee_overflow 0
		.amdhsa_exception_fp_ieee_underflow 0
		.amdhsa_exception_fp_ieee_inexact 0
		.amdhsa_exception_int_div_zero 0
	.end_amdhsa_kernel
	.section	.text._ZL19k_bin_bcast_unravelIXadL_ZL6op_mulffEE6__halfffJPKfS2_S2_S2_S2_EEvPKT0_PKT1_PT2_15HIP_vector_typeIjLj3EESC_SC_jSC_SC_SC_SC_SC_SC_iiiiiiiiiiiDpT3_,"axG",@progbits,_ZL19k_bin_bcast_unravelIXadL_ZL6op_mulffEE6__halfffJPKfS2_S2_S2_S2_EEvPKT0_PKT1_PT2_15HIP_vector_typeIjLj3EESC_SC_jSC_SC_SC_SC_SC_SC_iiiiiiiiiiiDpT3_,comdat
.Lfunc_end126:
	.size	_ZL19k_bin_bcast_unravelIXadL_ZL6op_mulffEE6__halfffJPKfS2_S2_S2_S2_EEvPKT0_PKT1_PT2_15HIP_vector_typeIjLj3EESC_SC_jSC_SC_SC_SC_SC_SC_iiiiiiiiiiiDpT3_, .Lfunc_end126-_ZL19k_bin_bcast_unravelIXadL_ZL6op_mulffEE6__halfffJPKfS2_S2_S2_S2_EEvPKT0_PKT1_PT2_15HIP_vector_typeIjLj3EESC_SC_jSC_SC_SC_SC_SC_SC_iiiiiiiiiiiDpT3_
                                        ; -- End function
	.set _ZL19k_bin_bcast_unravelIXadL_ZL6op_mulffEE6__halfffJPKfS2_S2_S2_S2_EEvPKT0_PKT1_PT2_15HIP_vector_typeIjLj3EESC_SC_jSC_SC_SC_SC_SC_SC_iiiiiiiiiiiDpT3_.num_vgpr, 15
	.set _ZL19k_bin_bcast_unravelIXadL_ZL6op_mulffEE6__halfffJPKfS2_S2_S2_S2_EEvPKT0_PKT1_PT2_15HIP_vector_typeIjLj3EESC_SC_jSC_SC_SC_SC_SC_SC_iiiiiiiiiiiDpT3_.num_agpr, 0
	.set _ZL19k_bin_bcast_unravelIXadL_ZL6op_mulffEE6__halfffJPKfS2_S2_S2_S2_EEvPKT0_PKT1_PT2_15HIP_vector_typeIjLj3EESC_SC_jSC_SC_SC_SC_SC_SC_iiiiiiiiiiiDpT3_.numbered_sgpr, 27
	.set _ZL19k_bin_bcast_unravelIXadL_ZL6op_mulffEE6__halfffJPKfS2_S2_S2_S2_EEvPKT0_PKT1_PT2_15HIP_vector_typeIjLj3EESC_SC_jSC_SC_SC_SC_SC_SC_iiiiiiiiiiiDpT3_.num_named_barrier, 0
	.set _ZL19k_bin_bcast_unravelIXadL_ZL6op_mulffEE6__halfffJPKfS2_S2_S2_S2_EEvPKT0_PKT1_PT2_15HIP_vector_typeIjLj3EESC_SC_jSC_SC_SC_SC_SC_SC_iiiiiiiiiiiDpT3_.private_seg_size, 0
	.set _ZL19k_bin_bcast_unravelIXadL_ZL6op_mulffEE6__halfffJPKfS2_S2_S2_S2_EEvPKT0_PKT1_PT2_15HIP_vector_typeIjLj3EESC_SC_jSC_SC_SC_SC_SC_SC_iiiiiiiiiiiDpT3_.uses_vcc, 1
	.set _ZL19k_bin_bcast_unravelIXadL_ZL6op_mulffEE6__halfffJPKfS2_S2_S2_S2_EEvPKT0_PKT1_PT2_15HIP_vector_typeIjLj3EESC_SC_jSC_SC_SC_SC_SC_SC_iiiiiiiiiiiDpT3_.uses_flat_scratch, 0
	.set _ZL19k_bin_bcast_unravelIXadL_ZL6op_mulffEE6__halfffJPKfS2_S2_S2_S2_EEvPKT0_PKT1_PT2_15HIP_vector_typeIjLj3EESC_SC_jSC_SC_SC_SC_SC_SC_iiiiiiiiiiiDpT3_.has_dyn_sized_stack, 0
	.set _ZL19k_bin_bcast_unravelIXadL_ZL6op_mulffEE6__halfffJPKfS2_S2_S2_S2_EEvPKT0_PKT1_PT2_15HIP_vector_typeIjLj3EESC_SC_jSC_SC_SC_SC_SC_SC_iiiiiiiiiiiDpT3_.has_recursion, 0
	.set _ZL19k_bin_bcast_unravelIXadL_ZL6op_mulffEE6__halfffJPKfS2_S2_S2_S2_EEvPKT0_PKT1_PT2_15HIP_vector_typeIjLj3EESC_SC_jSC_SC_SC_SC_SC_SC_iiiiiiiiiiiDpT3_.has_indirect_call, 0
	.section	.AMDGPU.csdata,"",@progbits
; Kernel info:
; codeLenInByte = 856
; TotalNumSgprs: 29
; NumVgprs: 15
; ScratchSize: 0
; MemoryBound: 0
; FloatMode: 240
; IeeeMode: 1
; LDSByteSize: 0 bytes/workgroup (compile time only)
; SGPRBlocks: 0
; VGPRBlocks: 0
; NumSGPRsForWavesPerEU: 29
; NumVGPRsForWavesPerEU: 15
; NamedBarCnt: 0
; Occupancy: 16
; WaveLimiterHint : 1
; COMPUTE_PGM_RSRC2:SCRATCH_EN: 0
; COMPUTE_PGM_RSRC2:USER_SGPR: 2
; COMPUTE_PGM_RSRC2:TRAP_HANDLER: 0
; COMPUTE_PGM_RSRC2:TGID_X_EN: 1
; COMPUTE_PGM_RSRC2:TGID_Y_EN: 0
; COMPUTE_PGM_RSRC2:TGID_Z_EN: 0
; COMPUTE_PGM_RSRC2:TIDIG_COMP_CNT: 0
	.section	.text._ZL11k_bin_bcastIXadL_ZL6op_mulffEE6__halfffJPKfS2_S2_S2_S2_EEvPKT0_PKT1_PT2_iii15HIP_vector_typeIjLj3EESC_SC_SC_SC_iiiiiiiiiiiDpT3_,"axG",@progbits,_ZL11k_bin_bcastIXadL_ZL6op_mulffEE6__halfffJPKfS2_S2_S2_S2_EEvPKT0_PKT1_PT2_iii15HIP_vector_typeIjLj3EESC_SC_SC_SC_iiiiiiiiiiiDpT3_,comdat
	.globl	_ZL11k_bin_bcastIXadL_ZL6op_mulffEE6__halfffJPKfS2_S2_S2_S2_EEvPKT0_PKT1_PT2_iii15HIP_vector_typeIjLj3EESC_SC_SC_SC_iiiiiiiiiiiDpT3_ ; -- Begin function _ZL11k_bin_bcastIXadL_ZL6op_mulffEE6__halfffJPKfS2_S2_S2_S2_EEvPKT0_PKT1_PT2_iii15HIP_vector_typeIjLj3EESC_SC_SC_SC_iiiiiiiiiiiDpT3_
	.p2align	8
	.type	_ZL11k_bin_bcastIXadL_ZL6op_mulffEE6__halfffJPKfS2_S2_S2_S2_EEvPKT0_PKT1_PT2_iii15HIP_vector_typeIjLj3EESC_SC_SC_SC_iiiiiiiiiiiDpT3_,@function
_ZL11k_bin_bcastIXadL_ZL6op_mulffEE6__halfffJPKfS2_S2_S2_S2_EEvPKT0_PKT1_PT2_iii15HIP_vector_typeIjLj3EESC_SC_SC_SC_iiiiiiiiiiiDpT3_: ; @_ZL11k_bin_bcastIXadL_ZL6op_mulffEE6__halfffJPKfS2_S2_S2_S2_EEvPKT0_PKT1_PT2_iii15HIP_vector_typeIjLj3EESC_SC_SC_SC_iiiiiiiiiiiDpT3_
; %bb.0:
	s_load_b64 s[2:3], s[0:1], 0xc4
	s_bfe_u32 s5, ttmp6, 0x40014
	s_bfe_u32 s7, ttmp6, 0x40010
	;; [unrolled: 1-line block ×3, first 2 shown]
	s_lshr_b32 s4, ttmp7, 16
	s_and_b32 s16, ttmp7, 0xffff
	s_add_co_i32 s5, s5, 1
	s_add_co_i32 s7, s7, 1
	s_load_b256 s[8:15], s[0:1], 0x18
	s_add_co_i32 s19, s19, 1
	s_bfe_u32 s6, ttmp6, 0x40008
	s_bfe_u32 s17, ttmp6, 0x40004
	s_mul_i32 s5, s4, s5
	s_mul_i32 s7, s16, s7
	s_and_b32 s18, ttmp6, 15
	s_mul_i32 s19, ttmp9, s19
	s_add_co_i32 s6, s6, s5
	s_add_co_i32 s17, s17, s7
	;; [unrolled: 1-line block ×3, first 2 shown]
	v_bfe_u32 v1, v0, 20, 10
	s_wait_kmcnt 0x0
	s_lshr_b32 s5, s2, 16
	s_and_b32 s7, s2, 0xffff
	s_getreg_b32 s2, hwreg(HW_REG_IB_STS2, 6, 4)
	s_and_b32 s3, s3, 0xffff
	s_cmp_eq_u32 s2, 0
	v_and_b32_e32 v2, 0x3ff, v0
	s_cselect_b32 s2, s4, s6
	v_bfe_u32 v4, v0, 10, 10
	v_mad_u32 v3, s2, s3, v1
	s_cselect_b32 s2, ttmp9, s18
	s_cselect_b32 s3, s16, s17
	v_mad_u32 v0, s2, s7, v2
	v_mad_u32 v2, s3, s5, v4
	s_delay_alu instid0(VALU_DEP_3) | instskip(NEXT) | instid1(VALU_DEP_3)
	v_mul_hi_u32 v1, v3, s11
	v_cmp_gt_u32_e32 vcc_lo, s8, v0
	s_delay_alu instid0(VALU_DEP_3) | instskip(SKIP_2) | instid1(VALU_DEP_1)
	v_cmp_gt_u32_e64 s2, s9, v2
	s_and_b32 s2, vcc_lo, s2
	v_add_nc_u32_e32 v1, v3, v1
	v_lshrrev_b32_e32 v1, s12, v1
	s_delay_alu instid0(VALU_DEP_1) | instskip(SKIP_3) | instid1(VALU_DEP_1)
	v_mul_lo_u32 v5, v1, s13
	v_cmp_gt_u32_e64 s3, s10, v1
	s_and_b32 s2, s2, s3
	v_sub_nc_u32_e32 v3, v3, v5
	v_cmp_gt_u32_e64 s4, s13, v3
	s_and_b32 s2, s2, s4
	s_delay_alu instid0(SALU_CYCLE_1)
	s_and_saveexec_b32 s3, s2
	s_cbranch_execz .LBB127_6
; %bb.1:
	v_cmp_gt_i32_e32 vcc_lo, s8, v0
	s_and_b32 exec_lo, exec_lo, vcc_lo
	s_cbranch_execz .LBB127_6
; %bb.2:
	s_clause 0x5
	s_load_b256 s[24:31], s[0:1], 0x3c
	s_load_b32 s2, s[0:1], 0x5c
	s_load_b256 s[16:23], s[0:1], 0x60
	s_load_b96 s[4:6], s[0:1], 0x80
	s_load_b64 s[10:11], s[0:1], 0x0
	s_load_b64 s[12:13], s[0:1], 0x10
	s_wait_kmcnt 0x0
	v_mul_hi_u32 v4, s30, v3
	v_mul_hi_u32 v5, s27, v1
	;; [unrolled: 1-line block ×3, first 2 shown]
	v_mul_lo_u32 v7, v2, s20
	v_mul_lo_u32 v8, v2, s16
	s_cmp_lg_u64 s[10:11], 0
	s_delay_alu instid0(VALU_DEP_4) | instskip(NEXT) | instid1(VALU_DEP_3)
	v_dual_add_nc_u32 v4, v3, v4 :: v_dual_add_nc_u32 v5, v1, v5
	v_mad_u32 v7, v1, s21, v7
	s_delay_alu instid0(VALU_DEP_3) | instskip(NEXT) | instid1(VALU_DEP_3)
	v_mad_u32 v8, v1, s17, v8
	v_dual_lshrrev_b32 v4, s31, v4 :: v_dual_lshrrev_b32 v5, s28, v5
	s_delay_alu instid0(VALU_DEP_1) | instskip(SKIP_1) | instid1(VALU_DEP_3)
	v_mul_lo_u32 v4, v4, s2
	v_add_nc_u32_e32 v6, v2, v6
	v_mul_lo_u32 v5, v5, s29
	s_add_nc_u64 s[2:3], s[0:1], 0xb8
	v_mad_u32 v8, v3, s18, v8
	s_delay_alu instid0(VALU_DEP_3) | instskip(NEXT) | instid1(VALU_DEP_3)
	v_dual_sub_nc_u32 v4, v3, v4 :: v_dual_lshrrev_b32 v6, s25, v6
	v_sub_nc_u32_e32 v5, v1, v5
	s_delay_alu instid0(VALU_DEP_2) | instskip(NEXT) | instid1(VALU_DEP_3)
	v_mul_lo_u32 v9, v4, s6
	v_mul_lo_u32 v6, v6, s26
	s_load_b32 s6, s[2:3], 0x0
	s_load_b32 s9, s[0:1], 0x38
	v_mad_u32 v4, v3, s22, v7
	s_wait_xcnt 0x0
	s_clause 0x1
	s_load_b64 s[2:3], s[0:1], 0xb0
	s_load_b256 s[24:31], s[0:1], 0x90
	v_mov_b32_e32 v1, 0
	s_wait_xcnt 0x0
	s_mov_b32 s1, 0
	s_mov_b32 s0, s14
	v_mad_u32 v7, v5, s5, v9
	v_sub_nc_u32_e32 v2, v2, v6
	v_mul_lo_u32 v6, s19, v0
	v_dual_mov_b32 v5, v1 :: v_dual_mov_b32 v9, v1
	v_mov_b32_e32 v3, v1
	s_cselect_b32 s5, -1, 0
	s_delay_alu instid0(VALU_DEP_2) | instskip(NEXT) | instid1(VALU_DEP_3)
	v_lshl_add_u64 v[4:5], v[4:5], 1, s[10:11]
	v_lshl_add_u64 v[8:9], v[8:9], 2, s[12:13]
	v_mad_u32 v2, v2, s4, v7
	s_wait_kmcnt 0x0
	s_mul_i32 s4, s6, s7
	s_sub_co_i32 s7, 0, s9
	s_mul_i32 s6, s4, s19
	s_mov_b32 s9, s1
	s_branch .LBB127_4
.LBB127_3:                              ;   in Loop: Header=BB127_4 Depth=1
	s_wait_xcnt 0x0
	v_mul_u64_e32 v[10:11], s[0:1], v[0:1]
	s_delay_alu instid0(VALU_DEP_1) | instskip(NEXT) | instid1(VALU_DEP_1)
	v_dual_add_nc_u32 v6, s6, v6 :: v_dual_add_nc_u32 v10, v0, v11
	v_dual_mov_b32 v11, v1 :: v_dual_lshrrev_b32 v10, s15, v10
	s_delay_alu instid0(VALU_DEP_1) | instskip(NEXT) | instid1(VALU_DEP_1)
	v_mad_u32 v10, s7, v10, v0
	v_mul_lo_u32 v10, v10, s23
	s_delay_alu instid0(VALU_DEP_1) | instskip(NEXT) | instid1(VALU_DEP_1)
	v_add_nc_u64_e32 v[10:11], v[10:11], v[2:3]
	v_lshlrev_b64_e32 v[10:11], 2, v[10:11]
	s_delay_alu instid0(VALU_DEP_1)
	v_add_nc_u64_e32 v[12:13], s[24:25], v[10:11]
	v_add_nc_u64_e32 v[14:15], s[26:27], v[10:11]
	global_load_b32 v16, v[12:13], off
	s_wait_xcnt 0x0
	v_add_nc_u64_e32 v[12:13], s[28:29], v[10:11]
	global_load_b32 v17, v[14:15], off
	s_wait_xcnt 0x0
	v_add_nc_u64_e32 v[14:15], s[30:31], v[10:11]
	v_add_nc_u64_e32 v[10:11], s[2:3], v[10:11]
	global_load_b32 v12, v[12:13], off
	global_load_b32 v13, v[14:15], off
	;; [unrolled: 1-line block ×3, first 2 shown]
	s_wait_xcnt 0x0
	v_dual_mov_b32 v10, v0 :: v_dual_ashrrev_i32 v11, 31, v0
	s_delay_alu instid0(VALU_DEP_1) | instskip(SKIP_3) | instid1(VALU_DEP_1)
	v_lshl_add_u64 v[10:11], v[10:11], 2, v[8:9]
	s_wait_loadcnt 0x4
	v_mul_f32_e32 v7, v7, v16
	s_wait_loadcnt 0x3
	v_mul_f32_e32 v7, v7, v17
	s_wait_loadcnt 0x2
	s_delay_alu instid0(VALU_DEP_1) | instskip(SKIP_1) | instid1(VALU_DEP_1)
	v_mul_f32_e32 v7, v7, v12
	s_wait_loadcnt 0x1
	v_dual_mul_f32 v7, v7, v13 :: v_dual_add_nc_u32 v0, s4, v0
	s_delay_alu instid0(VALU_DEP_1) | instskip(SKIP_1) | instid1(VALU_DEP_2)
	v_cmp_le_i32_e32 vcc_lo, s8, v0
	s_wait_loadcnt 0x0
	v_mul_f32_e32 v7, v7, v18
	s_or_b32 s9, vcc_lo, s9
	global_store_b32 v[10:11], v7, off
	s_wait_xcnt 0x0
	s_and_not1_b32 exec_lo, exec_lo, s9
	s_cbranch_execz .LBB127_6
.LBB127_4:                              ; =>This Inner Loop Header: Depth=1
	v_mov_b32_e32 v7, 0
	s_and_not1_b32 vcc_lo, exec_lo, s5
	s_cbranch_vccnz .LBB127_3
; %bb.5:                                ;   in Loop: Header=BB127_4 Depth=1
	v_ashrrev_i32_e32 v7, 31, v6
	s_delay_alu instid0(VALU_DEP_1)
	v_lshl_add_u64 v[10:11], v[6:7], 1, v[4:5]
	global_load_u16 v7, v[10:11], off
	s_wait_loadcnt 0x0
	v_cvt_f32_f16_e32 v7, v7
	s_branch .LBB127_3
.LBB127_6:
	s_endpgm
	.section	.rodata,"a",@progbits
	.p2align	6, 0x0
	.amdhsa_kernel _ZL11k_bin_bcastIXadL_ZL6op_mulffEE6__halfffJPKfS2_S2_S2_S2_EEvPKT0_PKT1_PT2_iii15HIP_vector_typeIjLj3EESC_SC_SC_SC_iiiiiiiiiiiDpT3_
		.amdhsa_group_segment_fixed_size 0
		.amdhsa_private_segment_fixed_size 0
		.amdhsa_kernarg_size 440
		.amdhsa_user_sgpr_count 2
		.amdhsa_user_sgpr_dispatch_ptr 0
		.amdhsa_user_sgpr_queue_ptr 0
		.amdhsa_user_sgpr_kernarg_segment_ptr 1
		.amdhsa_user_sgpr_dispatch_id 0
		.amdhsa_user_sgpr_kernarg_preload_length 0
		.amdhsa_user_sgpr_kernarg_preload_offset 0
		.amdhsa_user_sgpr_private_segment_size 0
		.amdhsa_wavefront_size32 1
		.amdhsa_uses_dynamic_stack 0
		.amdhsa_enable_private_segment 0
		.amdhsa_system_sgpr_workgroup_id_x 1
		.amdhsa_system_sgpr_workgroup_id_y 1
		.amdhsa_system_sgpr_workgroup_id_z 1
		.amdhsa_system_sgpr_workgroup_info 0
		.amdhsa_system_vgpr_workitem_id 2
		.amdhsa_next_free_vgpr 19
		.amdhsa_next_free_sgpr 32
		.amdhsa_named_barrier_count 0
		.amdhsa_reserve_vcc 1
		.amdhsa_float_round_mode_32 0
		.amdhsa_float_round_mode_16_64 0
		.amdhsa_float_denorm_mode_32 3
		.amdhsa_float_denorm_mode_16_64 3
		.amdhsa_fp16_overflow 0
		.amdhsa_memory_ordered 1
		.amdhsa_forward_progress 1
		.amdhsa_inst_pref_size 8
		.amdhsa_round_robin_scheduling 0
		.amdhsa_exception_fp_ieee_invalid_op 0
		.amdhsa_exception_fp_denorm_src 0
		.amdhsa_exception_fp_ieee_div_zero 0
		.amdhsa_exception_fp_ieee_overflow 0
		.amdhsa_exception_fp_ieee_underflow 0
		.amdhsa_exception_fp_ieee_inexact 0
		.amdhsa_exception_int_div_zero 0
	.end_amdhsa_kernel
	.section	.text._ZL11k_bin_bcastIXadL_ZL6op_mulffEE6__halfffJPKfS2_S2_S2_S2_EEvPKT0_PKT1_PT2_iii15HIP_vector_typeIjLj3EESC_SC_SC_SC_iiiiiiiiiiiDpT3_,"axG",@progbits,_ZL11k_bin_bcastIXadL_ZL6op_mulffEE6__halfffJPKfS2_S2_S2_S2_EEvPKT0_PKT1_PT2_iii15HIP_vector_typeIjLj3EESC_SC_SC_SC_iiiiiiiiiiiDpT3_,comdat
.Lfunc_end127:
	.size	_ZL11k_bin_bcastIXadL_ZL6op_mulffEE6__halfffJPKfS2_S2_S2_S2_EEvPKT0_PKT1_PT2_iii15HIP_vector_typeIjLj3EESC_SC_SC_SC_iiiiiiiiiiiDpT3_, .Lfunc_end127-_ZL11k_bin_bcastIXadL_ZL6op_mulffEE6__halfffJPKfS2_S2_S2_S2_EEvPKT0_PKT1_PT2_iii15HIP_vector_typeIjLj3EESC_SC_SC_SC_iiiiiiiiiiiDpT3_
                                        ; -- End function
	.set _ZL11k_bin_bcastIXadL_ZL6op_mulffEE6__halfffJPKfS2_S2_S2_S2_EEvPKT0_PKT1_PT2_iii15HIP_vector_typeIjLj3EESC_SC_SC_SC_iiiiiiiiiiiDpT3_.num_vgpr, 19
	.set _ZL11k_bin_bcastIXadL_ZL6op_mulffEE6__halfffJPKfS2_S2_S2_S2_EEvPKT0_PKT1_PT2_iii15HIP_vector_typeIjLj3EESC_SC_SC_SC_iiiiiiiiiiiDpT3_.num_agpr, 0
	.set _ZL11k_bin_bcastIXadL_ZL6op_mulffEE6__halfffJPKfS2_S2_S2_S2_EEvPKT0_PKT1_PT2_iii15HIP_vector_typeIjLj3EESC_SC_SC_SC_iiiiiiiiiiiDpT3_.numbered_sgpr, 32
	.set _ZL11k_bin_bcastIXadL_ZL6op_mulffEE6__halfffJPKfS2_S2_S2_S2_EEvPKT0_PKT1_PT2_iii15HIP_vector_typeIjLj3EESC_SC_SC_SC_iiiiiiiiiiiDpT3_.num_named_barrier, 0
	.set _ZL11k_bin_bcastIXadL_ZL6op_mulffEE6__halfffJPKfS2_S2_S2_S2_EEvPKT0_PKT1_PT2_iii15HIP_vector_typeIjLj3EESC_SC_SC_SC_iiiiiiiiiiiDpT3_.private_seg_size, 0
	.set _ZL11k_bin_bcastIXadL_ZL6op_mulffEE6__halfffJPKfS2_S2_S2_S2_EEvPKT0_PKT1_PT2_iii15HIP_vector_typeIjLj3EESC_SC_SC_SC_iiiiiiiiiiiDpT3_.uses_vcc, 1
	.set _ZL11k_bin_bcastIXadL_ZL6op_mulffEE6__halfffJPKfS2_S2_S2_S2_EEvPKT0_PKT1_PT2_iii15HIP_vector_typeIjLj3EESC_SC_SC_SC_iiiiiiiiiiiDpT3_.uses_flat_scratch, 0
	.set _ZL11k_bin_bcastIXadL_ZL6op_mulffEE6__halfffJPKfS2_S2_S2_S2_EEvPKT0_PKT1_PT2_iii15HIP_vector_typeIjLj3EESC_SC_SC_SC_iiiiiiiiiiiDpT3_.has_dyn_sized_stack, 0
	.set _ZL11k_bin_bcastIXadL_ZL6op_mulffEE6__halfffJPKfS2_S2_S2_S2_EEvPKT0_PKT1_PT2_iii15HIP_vector_typeIjLj3EESC_SC_SC_SC_iiiiiiiiiiiDpT3_.has_recursion, 0
	.set _ZL11k_bin_bcastIXadL_ZL6op_mulffEE6__halfffJPKfS2_S2_S2_S2_EEvPKT0_PKT1_PT2_iii15HIP_vector_typeIjLj3EESC_SC_SC_SC_iiiiiiiiiiiDpT3_.has_indirect_call, 0
	.section	.AMDGPU.csdata,"",@progbits
; Kernel info:
; codeLenInByte = 1008
; TotalNumSgprs: 34
; NumVgprs: 19
; ScratchSize: 0
; MemoryBound: 0
; FloatMode: 240
; IeeeMode: 1
; LDSByteSize: 0 bytes/workgroup (compile time only)
; SGPRBlocks: 0
; VGPRBlocks: 1
; NumSGPRsForWavesPerEU: 34
; NumVGPRsForWavesPerEU: 19
; NamedBarCnt: 0
; Occupancy: 16
; WaveLimiterHint : 1
; COMPUTE_PGM_RSRC2:SCRATCH_EN: 0
; COMPUTE_PGM_RSRC2:USER_SGPR: 2
; COMPUTE_PGM_RSRC2:TRAP_HANDLER: 0
; COMPUTE_PGM_RSRC2:TGID_X_EN: 1
; COMPUTE_PGM_RSRC2:TGID_Y_EN: 1
; COMPUTE_PGM_RSRC2:TGID_Z_EN: 1
; COMPUTE_PGM_RSRC2:TIDIG_COMP_CNT: 2
	.section	.text._ZL19k_bin_bcast_unravelIXadL_ZL6op_mulffEEfffJPKfS1_S1_S1_S1_S1_EEvPKT0_PKT1_PT2_15HIP_vector_typeIjLj3EESB_SB_jSB_SB_SB_SB_SB_SB_iiiiiiiiiiiDpT3_,"axG",@progbits,_ZL19k_bin_bcast_unravelIXadL_ZL6op_mulffEEfffJPKfS1_S1_S1_S1_S1_EEvPKT0_PKT1_PT2_15HIP_vector_typeIjLj3EESB_SB_jSB_SB_SB_SB_SB_SB_iiiiiiiiiiiDpT3_,comdat
	.globl	_ZL19k_bin_bcast_unravelIXadL_ZL6op_mulffEEfffJPKfS1_S1_S1_S1_S1_EEvPKT0_PKT1_PT2_15HIP_vector_typeIjLj3EESB_SB_jSB_SB_SB_SB_SB_SB_iiiiiiiiiiiDpT3_ ; -- Begin function _ZL19k_bin_bcast_unravelIXadL_ZL6op_mulffEEfffJPKfS1_S1_S1_S1_S1_EEvPKT0_PKT1_PT2_15HIP_vector_typeIjLj3EESB_SB_jSB_SB_SB_SB_SB_SB_iiiiiiiiiiiDpT3_
	.p2align	8
	.type	_ZL19k_bin_bcast_unravelIXadL_ZL6op_mulffEEfffJPKfS1_S1_S1_S1_S1_EEvPKT0_PKT1_PT2_15HIP_vector_typeIjLj3EESB_SB_jSB_SB_SB_SB_SB_SB_iiiiiiiiiiiDpT3_,@function
_ZL19k_bin_bcast_unravelIXadL_ZL6op_mulffEEfffJPKfS1_S1_S1_S1_S1_EEvPKT0_PKT1_PT2_15HIP_vector_typeIjLj3EESB_SB_jSB_SB_SB_SB_SB_SB_iiiiiiiiiiiDpT3_: ; @_ZL19k_bin_bcast_unravelIXadL_ZL6op_mulffEEfffJPKfS1_S1_S1_S1_S1_EEvPKT0_PKT1_PT2_15HIP_vector_typeIjLj3EESB_SB_jSB_SB_SB_SB_SB_SB_iiiiiiiiiiiDpT3_
; %bb.0:
	s_load_b32 s2, s[0:1], 0xf4
	s_bfe_u32 s3, ttmp6, 0x4000c
	s_load_b256 s[4:11], s[0:1], 0x38
	s_add_co_i32 s3, s3, 1
	s_and_b32 s12, ttmp6, 15
	s_mul_i32 s3, ttmp9, s3
	s_getreg_b32 s13, hwreg(HW_REG_IB_STS2, 6, 4)
	s_add_co_i32 s12, s12, s3
	s_wait_kmcnt 0x0
	s_and_b32 s2, s2, 0xffff
	s_cmp_eq_u32 s13, 0
	s_cselect_b32 s3, ttmp9, s12
	s_delay_alu instid0(SALU_CYCLE_1) | instskip(SKIP_1) | instid1(VALU_DEP_1)
	v_mad_u32 v0, s3, s2, v0
	s_load_b32 s2, s[0:1], 0x2c
	v_mul_hi_u32 v1, v0, s6
	s_delay_alu instid0(VALU_DEP_1) | instskip(NEXT) | instid1(VALU_DEP_1)
	v_add_nc_u32_e32 v1, v0, v1
	v_lshrrev_b32_e32 v1, s7, v1
	s_delay_alu instid0(VALU_DEP_1) | instskip(NEXT) | instid1(VALU_DEP_1)
	v_mul_lo_u32 v2, v1, s8
	v_sub_nc_u32_e32 v0, v0, v2
	s_delay_alu instid0(VALU_DEP_1) | instskip(NEXT) | instid1(VALU_DEP_1)
	v_mul_hi_u32 v2, v0, s9
	v_add_nc_u32_e32 v2, v0, v2
	s_delay_alu instid0(VALU_DEP_1) | instskip(SKIP_1) | instid1(VALU_DEP_1)
	v_lshrrev_b32_e32 v2, s10, v2
	s_load_b96 s[8:10], s[0:1], 0x18
	v_mul_lo_u32 v3, v2, s11
	s_delay_alu instid0(VALU_DEP_1) | instskip(SKIP_3) | instid1(VALU_DEP_3)
	v_sub_nc_u32_e32 v0, v0, v3
	v_cmp_gt_u32_e64 s3, s4, v2
	v_cmp_gt_u32_e64 s4, s5, v1
	s_wait_kmcnt 0x0
	v_mul_hi_u32 v3, v0, s8
	s_delay_alu instid0(VALU_DEP_1) | instskip(NEXT) | instid1(VALU_DEP_1)
	v_add_nc_u32_e32 v3, v0, v3
	v_lshrrev_b32_e32 v4, s9, v3
	s_delay_alu instid0(VALU_DEP_1) | instskip(NEXT) | instid1(VALU_DEP_1)
	v_mul_lo_u32 v3, v4, s10
	v_sub_nc_u32_e32 v0, v0, v3
	v_cmp_gt_u32_e64 s2, s2, v4
	s_delay_alu instid0(VALU_DEP_2) | instskip(SKIP_1) | instid1(SALU_CYCLE_1)
	v_cmp_gt_u32_e32 vcc_lo, s10, v0
	s_and_b32 s2, vcc_lo, s2
	s_and_b32 s2, s2, s3
	s_delay_alu instid0(SALU_CYCLE_1) | instskip(NEXT) | instid1(SALU_CYCLE_1)
	s_and_b32 s2, s4, s2
	s_and_saveexec_b32 s3, s2
	s_cbranch_execz .LBB128_4
; %bb.1:
	s_clause 0x4
	s_load_b64 s[2:3], s[0:1], 0x0
	s_load_b96 s[24:26], s[0:1], 0xa8
	s_load_b256 s[4:11], s[0:1], 0x88
	s_load_b128 s[20:23], s[0:1], 0x78
	s_load_b256 s[12:19], s[0:1], 0x58
	v_dual_mov_b32 v3, 0 :: v_dual_mov_b32 v5, 0
	s_wait_kmcnt 0x0
	s_cmp_eq_u64 s[2:3], 0
	s_cbranch_scc1 .LBB128_3
; %bb.2:
	v_mul_lo_u32 v5, v1, s10
	v_mov_b32_e32 v7, 0
	s_delay_alu instid0(VALU_DEP_2) | instskip(NEXT) | instid1(VALU_DEP_1)
	v_mad_u32 v5, v2, s9, v5
	v_mad_u32 v6, v4, s8, v5
	s_delay_alu instid0(VALU_DEP_1) | instskip(SKIP_1) | instid1(VALU_DEP_1)
	v_lshl_add_u64 v[8:9], v[6:7], 2, s[2:3]
	v_mul_lo_u32 v6, v0, s7
	v_lshl_add_u64 v[6:7], v[6:7], 2, v[8:9]
	global_load_b32 v5, v[6:7], off
.LBB128_3:
	s_wait_xcnt 0x0
	v_mul_hi_u32 v6, s21, v1
	v_mul_hi_u32 v7, s18, v2
	;; [unrolled: 1-line block ×4, first 2 shown]
	s_delay_alu instid0(VALU_DEP_3) | instskip(NEXT) | instid1(VALU_DEP_1)
	v_dual_add_nc_u32 v6, v1, v6 :: v_dual_add_nc_u32 v7, v2, v7
	v_dual_lshrrev_b32 v6, s22, v6 :: v_dual_lshrrev_b32 v7, s19, v7
	s_delay_alu instid0(VALU_DEP_1) | instskip(SKIP_1) | instid1(VALU_DEP_3)
	v_mul_lo_u32 v6, v6, s23
	v_add_nc_u32_e32 v8, v4, v8
	v_mul_lo_u32 v7, v7, s20
	s_delay_alu instid0(VALU_DEP_3) | instskip(NEXT) | instid1(VALU_DEP_3)
	v_dual_sub_nc_u32 v6, v1, v6 :: v_dual_add_nc_u32 v9, v0, v9
	v_lshrrev_b32_e32 v8, s16, v8
	v_mul_lo_u32 v1, v1, s6
	s_delay_alu instid0(VALU_DEP_4) | instskip(NEXT) | instid1(VALU_DEP_4)
	v_sub_nc_u32_e32 v7, v2, v7
	v_mul_lo_u32 v6, v6, s26
	v_lshrrev_b32_e32 v9, s13, v9
	v_mul_lo_u32 v8, v8, s17
	s_load_b128 s[16:19], s[0:1], 0xd8
	s_delay_alu instid0(VALU_DEP_2) | instskip(SKIP_2) | instid1(VALU_DEP_4)
	v_mul_lo_u32 v9, v9, s14
	v_mad_u32 v1, v2, s5, v1
	v_mad_u32 v7, v7, s25, v6
	v_sub_nc_u32_e32 v8, v4, v8
	s_delay_alu instid0(VALU_DEP_1) | instskip(NEXT) | instid1(VALU_DEP_1)
	v_mad_u32 v8, v8, s24, v7
	v_dual_sub_nc_u32 v6, v0, v9 :: v_dual_ashrrev_i32 v9, 31, v8
	s_delay_alu instid0(VALU_DEP_1) | instskip(SKIP_1) | instid1(VALU_DEP_1)
	v_mul_lo_u32 v6, v6, s11
	s_load_b256 s[8:15], s[0:1], 0xb8
	v_ashrrev_i32_e32 v7, 31, v6
	s_wait_xcnt 0x0
	s_load_b64 s[0:1], s[0:1], 0x10
	s_delay_alu instid0(VALU_DEP_1) | instskip(NEXT) | instid1(VALU_DEP_1)
	v_add_nc_u64_e32 v[6:7], v[6:7], v[8:9]
	v_lshlrev_b64_e32 v[6:7], 2, v[6:7]
	s_wait_kmcnt 0x0
	s_delay_alu instid0(VALU_DEP_1)
	v_add_nc_u64_e32 v[8:9], s[8:9], v[6:7]
	v_add_nc_u64_e32 v[10:11], s[10:11], v[6:7]
	global_load_b32 v12, v[8:9], off
	s_wait_xcnt 0x0
	v_add_nc_u64_e32 v[8:9], s[12:13], v[6:7]
	global_load_b32 v13, v[10:11], off
	s_wait_xcnt 0x0
	;; [unrolled: 3-line block ×3, first 2 shown]
	v_add_nc_u64_e32 v[8:9], s[16:17], v[6:7]
	global_load_b32 v10, v[10:11], off
	v_add_nc_u64_e32 v[6:7], s[18:19], v[6:7]
	global_load_b32 v11, v[8:9], off
	global_load_b32 v15, v[6:7], off
	s_wait_loadcnt 0x5
	v_mul_f32_e32 v2, v5, v12
	s_wait_loadcnt 0x4
	s_delay_alu instid0(VALU_DEP_1) | instskip(SKIP_2) | instid1(VALU_DEP_2)
	v_mul_f32_e32 v5, v2, v13
	v_mad_u32 v2, v4, s4, v1
	s_wait_loadcnt 0x3
	v_mul_f32_e32 v1, v5, v14
	s_wait_loadcnt 0x2
	s_delay_alu instid0(VALU_DEP_1) | instskip(NEXT) | instid1(VALU_DEP_3)
	v_dual_mul_f32 v4, v1, v10 :: v_dual_mov_b32 v1, v3
	v_lshl_add_u64 v[2:3], v[2:3], 2, s[0:1]
	s_wait_loadcnt 0x1
	s_delay_alu instid0(VALU_DEP_2) | instskip(NEXT) | instid1(VALU_DEP_2)
	v_mul_f32_e32 v4, v4, v11
	v_lshl_add_u64 v[0:1], v[0:1], 2, v[2:3]
	s_wait_loadcnt 0x0
	s_delay_alu instid0(VALU_DEP_2)
	v_mul_f32_e32 v4, v4, v15
	global_store_b32 v[0:1], v4, off
.LBB128_4:
	s_endpgm
	.section	.rodata,"a",@progbits
	.p2align	6, 0x0
	.amdhsa_kernel _ZL19k_bin_bcast_unravelIXadL_ZL6op_mulffEEfffJPKfS1_S1_S1_S1_S1_EEvPKT0_PKT1_PT2_15HIP_vector_typeIjLj3EESB_SB_jSB_SB_SB_SB_SB_SB_iiiiiiiiiiiDpT3_
		.amdhsa_group_segment_fixed_size 0
		.amdhsa_private_segment_fixed_size 0
		.amdhsa_kernarg_size 488
		.amdhsa_user_sgpr_count 2
		.amdhsa_user_sgpr_dispatch_ptr 0
		.amdhsa_user_sgpr_queue_ptr 0
		.amdhsa_user_sgpr_kernarg_segment_ptr 1
		.amdhsa_user_sgpr_dispatch_id 0
		.amdhsa_user_sgpr_kernarg_preload_length 0
		.amdhsa_user_sgpr_kernarg_preload_offset 0
		.amdhsa_user_sgpr_private_segment_size 0
		.amdhsa_wavefront_size32 1
		.amdhsa_uses_dynamic_stack 0
		.amdhsa_enable_private_segment 0
		.amdhsa_system_sgpr_workgroup_id_x 1
		.amdhsa_system_sgpr_workgroup_id_y 0
		.amdhsa_system_sgpr_workgroup_id_z 0
		.amdhsa_system_sgpr_workgroup_info 0
		.amdhsa_system_vgpr_workitem_id 0
		.amdhsa_next_free_vgpr 16
		.amdhsa_next_free_sgpr 27
		.amdhsa_named_barrier_count 0
		.amdhsa_reserve_vcc 1
		.amdhsa_float_round_mode_32 0
		.amdhsa_float_round_mode_16_64 0
		.amdhsa_float_denorm_mode_32 3
		.amdhsa_float_denorm_mode_16_64 3
		.amdhsa_fp16_overflow 0
		.amdhsa_memory_ordered 1
		.amdhsa_forward_progress 1
		.amdhsa_inst_pref_size 7
		.amdhsa_round_robin_scheduling 0
		.amdhsa_exception_fp_ieee_invalid_op 0
		.amdhsa_exception_fp_denorm_src 0
		.amdhsa_exception_fp_ieee_div_zero 0
		.amdhsa_exception_fp_ieee_overflow 0
		.amdhsa_exception_fp_ieee_underflow 0
		.amdhsa_exception_fp_ieee_inexact 0
		.amdhsa_exception_int_div_zero 0
	.end_amdhsa_kernel
	.section	.text._ZL19k_bin_bcast_unravelIXadL_ZL6op_mulffEEfffJPKfS1_S1_S1_S1_S1_EEvPKT0_PKT1_PT2_15HIP_vector_typeIjLj3EESB_SB_jSB_SB_SB_SB_SB_SB_iiiiiiiiiiiDpT3_,"axG",@progbits,_ZL19k_bin_bcast_unravelIXadL_ZL6op_mulffEEfffJPKfS1_S1_S1_S1_S1_EEvPKT0_PKT1_PT2_15HIP_vector_typeIjLj3EESB_SB_jSB_SB_SB_SB_SB_SB_iiiiiiiiiiiDpT3_,comdat
.Lfunc_end128:
	.size	_ZL19k_bin_bcast_unravelIXadL_ZL6op_mulffEEfffJPKfS1_S1_S1_S1_S1_EEvPKT0_PKT1_PT2_15HIP_vector_typeIjLj3EESB_SB_jSB_SB_SB_SB_SB_SB_iiiiiiiiiiiDpT3_, .Lfunc_end128-_ZL19k_bin_bcast_unravelIXadL_ZL6op_mulffEEfffJPKfS1_S1_S1_S1_S1_EEvPKT0_PKT1_PT2_15HIP_vector_typeIjLj3EESB_SB_jSB_SB_SB_SB_SB_SB_iiiiiiiiiiiDpT3_
                                        ; -- End function
	.set _ZL19k_bin_bcast_unravelIXadL_ZL6op_mulffEEfffJPKfS1_S1_S1_S1_S1_EEvPKT0_PKT1_PT2_15HIP_vector_typeIjLj3EESB_SB_jSB_SB_SB_SB_SB_SB_iiiiiiiiiiiDpT3_.num_vgpr, 16
	.set _ZL19k_bin_bcast_unravelIXadL_ZL6op_mulffEEfffJPKfS1_S1_S1_S1_S1_EEvPKT0_PKT1_PT2_15HIP_vector_typeIjLj3EESB_SB_jSB_SB_SB_SB_SB_SB_iiiiiiiiiiiDpT3_.num_agpr, 0
	.set _ZL19k_bin_bcast_unravelIXadL_ZL6op_mulffEEfffJPKfS1_S1_S1_S1_S1_EEvPKT0_PKT1_PT2_15HIP_vector_typeIjLj3EESB_SB_jSB_SB_SB_SB_SB_SB_iiiiiiiiiiiDpT3_.numbered_sgpr, 27
	.set _ZL19k_bin_bcast_unravelIXadL_ZL6op_mulffEEfffJPKfS1_S1_S1_S1_S1_EEvPKT0_PKT1_PT2_15HIP_vector_typeIjLj3EESB_SB_jSB_SB_SB_SB_SB_SB_iiiiiiiiiiiDpT3_.num_named_barrier, 0
	.set _ZL19k_bin_bcast_unravelIXadL_ZL6op_mulffEEfffJPKfS1_S1_S1_S1_S1_EEvPKT0_PKT1_PT2_15HIP_vector_typeIjLj3EESB_SB_jSB_SB_SB_SB_SB_SB_iiiiiiiiiiiDpT3_.private_seg_size, 0
	.set _ZL19k_bin_bcast_unravelIXadL_ZL6op_mulffEEfffJPKfS1_S1_S1_S1_S1_EEvPKT0_PKT1_PT2_15HIP_vector_typeIjLj3EESB_SB_jSB_SB_SB_SB_SB_SB_iiiiiiiiiiiDpT3_.uses_vcc, 1
	.set _ZL19k_bin_bcast_unravelIXadL_ZL6op_mulffEEfffJPKfS1_S1_S1_S1_S1_EEvPKT0_PKT1_PT2_15HIP_vector_typeIjLj3EESB_SB_jSB_SB_SB_SB_SB_SB_iiiiiiiiiiiDpT3_.uses_flat_scratch, 0
	.set _ZL19k_bin_bcast_unravelIXadL_ZL6op_mulffEEfffJPKfS1_S1_S1_S1_S1_EEvPKT0_PKT1_PT2_15HIP_vector_typeIjLj3EESB_SB_jSB_SB_SB_SB_SB_SB_iiiiiiiiiiiDpT3_.has_dyn_sized_stack, 0
	.set _ZL19k_bin_bcast_unravelIXadL_ZL6op_mulffEEfffJPKfS1_S1_S1_S1_S1_EEvPKT0_PKT1_PT2_15HIP_vector_typeIjLj3EESB_SB_jSB_SB_SB_SB_SB_SB_iiiiiiiiiiiDpT3_.has_recursion, 0
	.set _ZL19k_bin_bcast_unravelIXadL_ZL6op_mulffEEfffJPKfS1_S1_S1_S1_S1_EEvPKT0_PKT1_PT2_15HIP_vector_typeIjLj3EESB_SB_jSB_SB_SB_SB_SB_SB_iiiiiiiiiiiDpT3_.has_indirect_call, 0
	.section	.AMDGPU.csdata,"",@progbits
; Kernel info:
; codeLenInByte = 884
; TotalNumSgprs: 29
; NumVgprs: 16
; ScratchSize: 0
; MemoryBound: 0
; FloatMode: 240
; IeeeMode: 1
; LDSByteSize: 0 bytes/workgroup (compile time only)
; SGPRBlocks: 0
; VGPRBlocks: 0
; NumSGPRsForWavesPerEU: 29
; NumVGPRsForWavesPerEU: 16
; NamedBarCnt: 0
; Occupancy: 16
; WaveLimiterHint : 1
; COMPUTE_PGM_RSRC2:SCRATCH_EN: 0
; COMPUTE_PGM_RSRC2:USER_SGPR: 2
; COMPUTE_PGM_RSRC2:TRAP_HANDLER: 0
; COMPUTE_PGM_RSRC2:TGID_X_EN: 1
; COMPUTE_PGM_RSRC2:TGID_Y_EN: 0
; COMPUTE_PGM_RSRC2:TGID_Z_EN: 0
; COMPUTE_PGM_RSRC2:TIDIG_COMP_CNT: 0
	.section	.text._ZL11k_bin_bcastIXadL_ZL6op_mulffEEfffJPKfS1_S1_S1_S1_S1_EEvPKT0_PKT1_PT2_iii15HIP_vector_typeIjLj3EESB_SB_SB_SB_iiiiiiiiiiiDpT3_,"axG",@progbits,_ZL11k_bin_bcastIXadL_ZL6op_mulffEEfffJPKfS1_S1_S1_S1_S1_EEvPKT0_PKT1_PT2_iii15HIP_vector_typeIjLj3EESB_SB_SB_SB_iiiiiiiiiiiDpT3_,comdat
	.globl	_ZL11k_bin_bcastIXadL_ZL6op_mulffEEfffJPKfS1_S1_S1_S1_S1_EEvPKT0_PKT1_PT2_iii15HIP_vector_typeIjLj3EESB_SB_SB_SB_iiiiiiiiiiiDpT3_ ; -- Begin function _ZL11k_bin_bcastIXadL_ZL6op_mulffEEfffJPKfS1_S1_S1_S1_S1_EEvPKT0_PKT1_PT2_iii15HIP_vector_typeIjLj3EESB_SB_SB_SB_iiiiiiiiiiiDpT3_
	.p2align	8
	.type	_ZL11k_bin_bcastIXadL_ZL6op_mulffEEfffJPKfS1_S1_S1_S1_S1_EEvPKT0_PKT1_PT2_iii15HIP_vector_typeIjLj3EESB_SB_SB_SB_iiiiiiiiiiiDpT3_,@function
_ZL11k_bin_bcastIXadL_ZL6op_mulffEEfffJPKfS1_S1_S1_S1_S1_EEvPKT0_PKT1_PT2_iii15HIP_vector_typeIjLj3EESB_SB_SB_SB_iiiiiiiiiiiDpT3_: ; @_ZL11k_bin_bcastIXadL_ZL6op_mulffEEfffJPKfS1_S1_S1_S1_S1_EEvPKT0_PKT1_PT2_iii15HIP_vector_typeIjLj3EESB_SB_SB_SB_iiiiiiiiiiiDpT3_
; %bb.0:
	s_load_b64 s[2:3], s[0:1], 0xcc
	s_bfe_u32 s5, ttmp6, 0x40014
	s_bfe_u32 s16, ttmp6, 0x40010
	;; [unrolled: 1-line block ×3, first 2 shown]
	s_lshr_b32 s4, ttmp7, 16
	s_add_co_i32 s5, s5, 1
	s_and_b32 s7, ttmp7, 0xffff
	s_load_b256 s[8:15], s[0:1], 0x18
	s_add_co_i32 s16, s16, 1
	s_add_co_i32 s19, s19, 1
	s_bfe_u32 s6, ttmp6, 0x40008
	s_mul_i32 s5, s4, s5
	s_bfe_u32 s17, ttmp6, 0x40004
	s_and_b32 s18, ttmp6, 15
	s_mul_i32 s16, s7, s16
	s_mul_i32 s19, ttmp9, s19
	s_add_co_i32 s6, s6, s5
	s_add_co_i32 s17, s17, s16
	;; [unrolled: 1-line block ×3, first 2 shown]
	v_bfe_u32 v1, v0, 20, 10
	s_wait_kmcnt 0x0
	s_lshr_b32 s5, s2, 16
	s_and_b32 s33, s2, 0xffff
	s_getreg_b32 s2, hwreg(HW_REG_IB_STS2, 6, 4)
	s_and_b32 s3, s3, 0xffff
	s_cmp_eq_u32 s2, 0
	v_and_b32_e32 v2, 0x3ff, v0
	s_cselect_b32 s2, s4, s6
	v_bfe_u32 v4, v0, 10, 10
	v_mad_u32 v3, s2, s3, v1
	s_cselect_b32 s2, ttmp9, s18
	s_cselect_b32 s3, s7, s17
	v_mad_u32 v0, s2, s33, v2
	v_mad_u32 v2, s3, s5, v4
	s_delay_alu instid0(VALU_DEP_3) | instskip(NEXT) | instid1(VALU_DEP_3)
	v_mul_hi_u32 v1, v3, s11
	v_cmp_gt_u32_e32 vcc_lo, s8, v0
	s_delay_alu instid0(VALU_DEP_3) | instskip(SKIP_2) | instid1(VALU_DEP_1)
	v_cmp_gt_u32_e64 s2, s9, v2
	s_and_b32 s2, vcc_lo, s2
	v_add_nc_u32_e32 v1, v3, v1
	v_lshrrev_b32_e32 v1, s12, v1
	s_delay_alu instid0(VALU_DEP_1) | instskip(SKIP_3) | instid1(VALU_DEP_1)
	v_mul_lo_u32 v5, v1, s13
	v_cmp_gt_u32_e64 s3, s10, v1
	s_and_b32 s2, s2, s3
	v_sub_nc_u32_e32 v3, v3, v5
	v_cmp_gt_u32_e64 s4, s13, v3
	s_and_b32 s2, s2, s4
	s_delay_alu instid0(SALU_CYCLE_1)
	s_and_saveexec_b32 s3, s2
	s_cbranch_execz .LBB129_6
; %bb.1:
	v_cmp_gt_i32_e32 vcc_lo, s8, v0
	s_and_b32 exec_lo, exec_lo, vcc_lo
	s_cbranch_execz .LBB129_6
; %bb.2:
	s_clause 0x3
	s_load_b256 s[24:31], s[0:1], 0x3c
	s_load_b32 s2, s[0:1], 0x5c
	s_load_b256 s[16:23], s[0:1], 0x60
	s_load_b96 s[36:38], s[0:1], 0x80
	s_add_nc_u64 s[4:5], s[0:1], 0xc0
	s_load_b32 s9, s[4:5], 0x0
	s_load_b32 s12, s[0:1], 0x38
	s_wait_xcnt 0x0
	s_clause 0x1
	s_load_b128 s[4:7], s[0:1], 0xb0
	s_load_b64 s[10:11], s[0:1], 0x10
	s_wait_kmcnt 0x0
	v_mul_hi_u32 v4, s30, v3
	v_mul_hi_u32 v5, s27, v1
	;; [unrolled: 1-line block ×3, first 2 shown]
	v_mul_lo_u32 v7, v2, s20
	v_mul_lo_u32 v8, v2, s16
	s_delay_alu instid0(VALU_DEP_4) | instskip(NEXT) | instid1(VALU_DEP_3)
	v_dual_add_nc_u32 v4, v3, v4 :: v_dual_add_nc_u32 v5, v1, v5
	v_mad_u32 v7, v1, s21, v7
	s_delay_alu instid0(VALU_DEP_3) | instskip(NEXT) | instid1(VALU_DEP_3)
	v_mad_u32 v8, v1, s17, v8
	v_dual_lshrrev_b32 v4, s31, v4 :: v_dual_lshrrev_b32 v5, s28, v5
	s_delay_alu instid0(VALU_DEP_1) | instskip(SKIP_1) | instid1(VALU_DEP_3)
	v_mul_lo_u32 v4, v4, s2
	v_add_nc_u32_e32 v6, v2, v6
	v_mul_lo_u32 v5, v5, s29
	s_load_b64 s[2:3], s[0:1], 0x0
	v_mad_u32 v8, v3, s18, v8
	s_delay_alu instid0(VALU_DEP_3) | instskip(NEXT) | instid1(VALU_DEP_3)
	v_dual_sub_nc_u32 v4, v3, v4 :: v_dual_lshrrev_b32 v6, s25, v6
	v_sub_nc_u32_e32 v5, v1, v5
	s_delay_alu instid0(VALU_DEP_2) | instskip(NEXT) | instid1(VALU_DEP_3)
	v_mul_lo_u32 v9, v4, s38
	v_mul_lo_u32 v6, v6, s26
	v_mad_u32 v4, v3, s22, v7
	s_load_b256 s[24:31], s[0:1], 0x90
	v_mov_b32_e32 v1, 0
	s_wait_xcnt 0x0
	s_mov_b32 s1, 0
	s_mov_b32 s0, s14
	s_wait_kmcnt 0x0
	s_cmp_lg_u64 s[2:3], 0
	s_delay_alu instid0(VALU_DEP_4) | instskip(NEXT) | instid1(VALU_DEP_4)
	v_mad_u32 v7, v5, s37, v9
	v_sub_nc_u32_e32 v2, v2, v6
	v_mul_lo_u32 v6, s19, v0
	v_dual_mov_b32 v5, v1 :: v_dual_mov_b32 v9, v1
	v_mov_b32_e32 v3, v1
	s_delay_alu instid0(VALU_DEP_2) | instskip(NEXT) | instid1(VALU_DEP_3)
	v_lshl_add_u64 v[4:5], v[4:5], 2, s[2:3]
	v_lshl_add_u64 v[8:9], v[8:9], 2, s[10:11]
	s_mul_i32 s2, s9, s33
	v_mad_u32 v2, v2, s36, v7
	s_cselect_b32 s3, -1, 0
	s_mul_i32 s9, s2, s19
	s_sub_co_i32 s10, 0, s12
	s_mov_b32 s11, s1
	s_branch .LBB129_4
.LBB129_3:                              ;   in Loop: Header=BB129_4 Depth=1
	s_wait_xcnt 0x0
	v_mul_u64_e32 v[10:11], s[0:1], v[0:1]
	s_delay_alu instid0(VALU_DEP_1) | instskip(NEXT) | instid1(VALU_DEP_1)
	v_dual_add_nc_u32 v6, s9, v6 :: v_dual_add_nc_u32 v10, v0, v11
	v_dual_mov_b32 v11, v1 :: v_dual_lshrrev_b32 v10, s15, v10
	s_delay_alu instid0(VALU_DEP_1) | instskip(NEXT) | instid1(VALU_DEP_1)
	v_mad_u32 v10, s10, v10, v0
	v_mul_lo_u32 v10, v10, s23
	s_delay_alu instid0(VALU_DEP_1) | instskip(NEXT) | instid1(VALU_DEP_1)
	v_add_nc_u64_e32 v[10:11], v[10:11], v[2:3]
	v_lshlrev_b64_e32 v[10:11], 2, v[10:11]
	s_delay_alu instid0(VALU_DEP_1)
	v_add_nc_u64_e32 v[12:13], s[24:25], v[10:11]
	v_add_nc_u64_e32 v[14:15], s[26:27], v[10:11]
	global_load_b32 v16, v[12:13], off
	s_wait_xcnt 0x0
	v_add_nc_u64_e32 v[12:13], s[28:29], v[10:11]
	global_load_b32 v17, v[14:15], off
	s_wait_xcnt 0x0
	;; [unrolled: 3-line block ×3, first 2 shown]
	v_add_nc_u64_e32 v[12:13], s[4:5], v[10:11]
	global_load_b32 v14, v[14:15], off
	v_add_nc_u64_e32 v[10:11], s[6:7], v[10:11]
	global_load_b32 v15, v[12:13], off
	global_load_b32 v19, v[10:11], off
	s_wait_xcnt 0x0
	v_dual_mov_b32 v10, v0 :: v_dual_ashrrev_i32 v11, 31, v0
	v_add_nc_u32_e32 v0, s2, v0
	s_delay_alu instid0(VALU_DEP_2) | instskip(NEXT) | instid1(VALU_DEP_2)
	v_lshl_add_u64 v[10:11], v[10:11], 2, v[8:9]
	v_cmp_le_i32_e32 vcc_lo, s8, v0
	s_or_b32 s11, vcc_lo, s11
	s_wait_loadcnt 0x5
	v_mul_f32_e32 v7, v7, v16
	s_wait_loadcnt 0x4
	s_delay_alu instid0(VALU_DEP_1) | instskip(SKIP_1) | instid1(VALU_DEP_1)
	v_mul_f32_e32 v7, v7, v17
	s_wait_loadcnt 0x3
	v_mul_f32_e32 v7, v7, v18
	s_wait_loadcnt 0x2
	s_delay_alu instid0(VALU_DEP_1) | instskip(SKIP_1) | instid1(VALU_DEP_1)
	v_mul_f32_e32 v7, v7, v14
	s_wait_loadcnt 0x1
	v_mul_f32_e32 v7, v7, v15
	s_wait_loadcnt 0x0
	s_delay_alu instid0(VALU_DEP_1)
	v_mul_f32_e32 v7, v7, v19
	global_store_b32 v[10:11], v7, off
	s_wait_xcnt 0x0
	s_and_not1_b32 exec_lo, exec_lo, s11
	s_cbranch_execz .LBB129_6
.LBB129_4:                              ; =>This Inner Loop Header: Depth=1
	v_mov_b32_e32 v7, 0
	s_and_not1_b32 vcc_lo, exec_lo, s3
	s_cbranch_vccnz .LBB129_3
; %bb.5:                                ;   in Loop: Header=BB129_4 Depth=1
	v_ashrrev_i32_e32 v7, 31, v6
	s_delay_alu instid0(VALU_DEP_1)
	v_lshl_add_u64 v[10:11], v[6:7], 2, v[4:5]
	global_load_b32 v7, v[10:11], off
	s_branch .LBB129_3
.LBB129_6:
	s_endpgm
	.section	.rodata,"a",@progbits
	.p2align	6, 0x0
	.amdhsa_kernel _ZL11k_bin_bcastIXadL_ZL6op_mulffEEfffJPKfS1_S1_S1_S1_S1_EEvPKT0_PKT1_PT2_iii15HIP_vector_typeIjLj3EESB_SB_SB_SB_iiiiiiiiiiiDpT3_
		.amdhsa_group_segment_fixed_size 0
		.amdhsa_private_segment_fixed_size 0
		.amdhsa_kernarg_size 448
		.amdhsa_user_sgpr_count 2
		.amdhsa_user_sgpr_dispatch_ptr 0
		.amdhsa_user_sgpr_queue_ptr 0
		.amdhsa_user_sgpr_kernarg_segment_ptr 1
		.amdhsa_user_sgpr_dispatch_id 0
		.amdhsa_user_sgpr_kernarg_preload_length 0
		.amdhsa_user_sgpr_kernarg_preload_offset 0
		.amdhsa_user_sgpr_private_segment_size 0
		.amdhsa_wavefront_size32 1
		.amdhsa_uses_dynamic_stack 0
		.amdhsa_enable_private_segment 0
		.amdhsa_system_sgpr_workgroup_id_x 1
		.amdhsa_system_sgpr_workgroup_id_y 1
		.amdhsa_system_sgpr_workgroup_id_z 1
		.amdhsa_system_sgpr_workgroup_info 0
		.amdhsa_system_vgpr_workitem_id 2
		.amdhsa_next_free_vgpr 20
		.amdhsa_next_free_sgpr 39
		.amdhsa_named_barrier_count 0
		.amdhsa_reserve_vcc 1
		.amdhsa_float_round_mode_32 0
		.amdhsa_float_round_mode_16_64 0
		.amdhsa_float_denorm_mode_32 3
		.amdhsa_float_denorm_mode_16_64 3
		.amdhsa_fp16_overflow 0
		.amdhsa_memory_ordered 1
		.amdhsa_forward_progress 1
		.amdhsa_inst_pref_size 9
		.amdhsa_round_robin_scheduling 0
		.amdhsa_exception_fp_ieee_invalid_op 0
		.amdhsa_exception_fp_denorm_src 0
		.amdhsa_exception_fp_ieee_div_zero 0
		.amdhsa_exception_fp_ieee_overflow 0
		.amdhsa_exception_fp_ieee_underflow 0
		.amdhsa_exception_fp_ieee_inexact 0
		.amdhsa_exception_int_div_zero 0
	.end_amdhsa_kernel
	.section	.text._ZL11k_bin_bcastIXadL_ZL6op_mulffEEfffJPKfS1_S1_S1_S1_S1_EEvPKT0_PKT1_PT2_iii15HIP_vector_typeIjLj3EESB_SB_SB_SB_iiiiiiiiiiiDpT3_,"axG",@progbits,_ZL11k_bin_bcastIXadL_ZL6op_mulffEEfffJPKfS1_S1_S1_S1_S1_EEvPKT0_PKT1_PT2_iii15HIP_vector_typeIjLj3EESB_SB_SB_SB_iiiiiiiiiiiDpT3_,comdat
.Lfunc_end129:
	.size	_ZL11k_bin_bcastIXadL_ZL6op_mulffEEfffJPKfS1_S1_S1_S1_S1_EEvPKT0_PKT1_PT2_iii15HIP_vector_typeIjLj3EESB_SB_SB_SB_iiiiiiiiiiiDpT3_, .Lfunc_end129-_ZL11k_bin_bcastIXadL_ZL6op_mulffEEfffJPKfS1_S1_S1_S1_S1_EEvPKT0_PKT1_PT2_iii15HIP_vector_typeIjLj3EESB_SB_SB_SB_iiiiiiiiiiiDpT3_
                                        ; -- End function
	.set _ZL11k_bin_bcastIXadL_ZL6op_mulffEEfffJPKfS1_S1_S1_S1_S1_EEvPKT0_PKT1_PT2_iii15HIP_vector_typeIjLj3EESB_SB_SB_SB_iiiiiiiiiiiDpT3_.num_vgpr, 20
	.set _ZL11k_bin_bcastIXadL_ZL6op_mulffEEfffJPKfS1_S1_S1_S1_S1_EEvPKT0_PKT1_PT2_iii15HIP_vector_typeIjLj3EESB_SB_SB_SB_iiiiiiiiiiiDpT3_.num_agpr, 0
	.set _ZL11k_bin_bcastIXadL_ZL6op_mulffEEfffJPKfS1_S1_S1_S1_S1_EEvPKT0_PKT1_PT2_iii15HIP_vector_typeIjLj3EESB_SB_SB_SB_iiiiiiiiiiiDpT3_.numbered_sgpr, 39
	.set _ZL11k_bin_bcastIXadL_ZL6op_mulffEEfffJPKfS1_S1_S1_S1_S1_EEvPKT0_PKT1_PT2_iii15HIP_vector_typeIjLj3EESB_SB_SB_SB_iiiiiiiiiiiDpT3_.num_named_barrier, 0
	.set _ZL11k_bin_bcastIXadL_ZL6op_mulffEEfffJPKfS1_S1_S1_S1_S1_EEvPKT0_PKT1_PT2_iii15HIP_vector_typeIjLj3EESB_SB_SB_SB_iiiiiiiiiiiDpT3_.private_seg_size, 0
	.set _ZL11k_bin_bcastIXadL_ZL6op_mulffEEfffJPKfS1_S1_S1_S1_S1_EEvPKT0_PKT1_PT2_iii15HIP_vector_typeIjLj3EESB_SB_SB_SB_iiiiiiiiiiiDpT3_.uses_vcc, 1
	.set _ZL11k_bin_bcastIXadL_ZL6op_mulffEEfffJPKfS1_S1_S1_S1_S1_EEvPKT0_PKT1_PT2_iii15HIP_vector_typeIjLj3EESB_SB_SB_SB_iiiiiiiiiiiDpT3_.uses_flat_scratch, 0
	.set _ZL11k_bin_bcastIXadL_ZL6op_mulffEEfffJPKfS1_S1_S1_S1_S1_EEvPKT0_PKT1_PT2_iii15HIP_vector_typeIjLj3EESB_SB_SB_SB_iiiiiiiiiiiDpT3_.has_dyn_sized_stack, 0
	.set _ZL11k_bin_bcastIXadL_ZL6op_mulffEEfffJPKfS1_S1_S1_S1_S1_EEvPKT0_PKT1_PT2_iii15HIP_vector_typeIjLj3EESB_SB_SB_SB_iiiiiiiiiiiDpT3_.has_recursion, 0
	.set _ZL11k_bin_bcastIXadL_ZL6op_mulffEEfffJPKfS1_S1_S1_S1_S1_EEvPKT0_PKT1_PT2_iii15HIP_vector_typeIjLj3EESB_SB_SB_SB_iiiiiiiiiiiDpT3_.has_indirect_call, 0
	.section	.AMDGPU.csdata,"",@progbits
; Kernel info:
; codeLenInByte = 1036
; TotalNumSgprs: 41
; NumVgprs: 20
; ScratchSize: 0
; MemoryBound: 0
; FloatMode: 240
; IeeeMode: 1
; LDSByteSize: 0 bytes/workgroup (compile time only)
; SGPRBlocks: 0
; VGPRBlocks: 1
; NumSGPRsForWavesPerEU: 41
; NumVGPRsForWavesPerEU: 20
; NamedBarCnt: 0
; Occupancy: 16
; WaveLimiterHint : 1
; COMPUTE_PGM_RSRC2:SCRATCH_EN: 0
; COMPUTE_PGM_RSRC2:USER_SGPR: 2
; COMPUTE_PGM_RSRC2:TRAP_HANDLER: 0
; COMPUTE_PGM_RSRC2:TGID_X_EN: 1
; COMPUTE_PGM_RSRC2:TGID_Y_EN: 1
; COMPUTE_PGM_RSRC2:TGID_Z_EN: 1
; COMPUTE_PGM_RSRC2:TIDIG_COMP_CNT: 2
	.section	.text._ZL19k_bin_bcast_unravelIXadL_ZL6op_mulffEE6__halfS0_S0_JPKS0_S2_S2_S2_S2_S2_EEvPKT0_PKT1_PT2_15HIP_vector_typeIjLj3EESC_SC_jSC_SC_SC_SC_SC_SC_iiiiiiiiiiiDpT3_,"axG",@progbits,_ZL19k_bin_bcast_unravelIXadL_ZL6op_mulffEE6__halfS0_S0_JPKS0_S2_S2_S2_S2_S2_EEvPKT0_PKT1_PT2_15HIP_vector_typeIjLj3EESC_SC_jSC_SC_SC_SC_SC_SC_iiiiiiiiiiiDpT3_,comdat
	.globl	_ZL19k_bin_bcast_unravelIXadL_ZL6op_mulffEE6__halfS0_S0_JPKS0_S2_S2_S2_S2_S2_EEvPKT0_PKT1_PT2_15HIP_vector_typeIjLj3EESC_SC_jSC_SC_SC_SC_SC_SC_iiiiiiiiiiiDpT3_ ; -- Begin function _ZL19k_bin_bcast_unravelIXadL_ZL6op_mulffEE6__halfS0_S0_JPKS0_S2_S2_S2_S2_S2_EEvPKT0_PKT1_PT2_15HIP_vector_typeIjLj3EESC_SC_jSC_SC_SC_SC_SC_SC_iiiiiiiiiiiDpT3_
	.p2align	8
	.type	_ZL19k_bin_bcast_unravelIXadL_ZL6op_mulffEE6__halfS0_S0_JPKS0_S2_S2_S2_S2_S2_EEvPKT0_PKT1_PT2_15HIP_vector_typeIjLj3EESC_SC_jSC_SC_SC_SC_SC_SC_iiiiiiiiiiiDpT3_,@function
_ZL19k_bin_bcast_unravelIXadL_ZL6op_mulffEE6__halfS0_S0_JPKS0_S2_S2_S2_S2_S2_EEvPKT0_PKT1_PT2_15HIP_vector_typeIjLj3EESC_SC_jSC_SC_SC_SC_SC_SC_iiiiiiiiiiiDpT3_: ; @_ZL19k_bin_bcast_unravelIXadL_ZL6op_mulffEE6__halfS0_S0_JPKS0_S2_S2_S2_S2_S2_EEvPKT0_PKT1_PT2_15HIP_vector_typeIjLj3EESC_SC_jSC_SC_SC_SC_SC_SC_iiiiiiiiiiiDpT3_
; %bb.0:
	s_load_b32 s2, s[0:1], 0xf4
	s_bfe_u32 s3, ttmp6, 0x4000c
	s_load_b256 s[4:11], s[0:1], 0x38
	s_add_co_i32 s3, s3, 1
	s_and_b32 s12, ttmp6, 15
	s_mul_i32 s3, ttmp9, s3
	s_getreg_b32 s13, hwreg(HW_REG_IB_STS2, 6, 4)
	s_add_co_i32 s12, s12, s3
	s_wait_kmcnt 0x0
	s_and_b32 s2, s2, 0xffff
	s_cmp_eq_u32 s13, 0
	s_cselect_b32 s3, ttmp9, s12
	s_delay_alu instid0(SALU_CYCLE_1) | instskip(SKIP_1) | instid1(VALU_DEP_1)
	v_mad_u32 v0, s3, s2, v0
	s_load_b32 s2, s[0:1], 0x2c
	v_mul_hi_u32 v1, v0, s6
	s_delay_alu instid0(VALU_DEP_1) | instskip(NEXT) | instid1(VALU_DEP_1)
	v_add_nc_u32_e32 v1, v0, v1
	v_lshrrev_b32_e32 v1, s7, v1
	s_delay_alu instid0(VALU_DEP_1) | instskip(NEXT) | instid1(VALU_DEP_1)
	v_mul_lo_u32 v2, v1, s8
	v_sub_nc_u32_e32 v0, v0, v2
	s_delay_alu instid0(VALU_DEP_1) | instskip(NEXT) | instid1(VALU_DEP_1)
	v_mul_hi_u32 v2, v0, s9
	v_add_nc_u32_e32 v2, v0, v2
	s_delay_alu instid0(VALU_DEP_1) | instskip(SKIP_1) | instid1(VALU_DEP_1)
	v_lshrrev_b32_e32 v2, s10, v2
	s_load_b96 s[8:10], s[0:1], 0x18
	v_mul_lo_u32 v3, v2, s11
	s_delay_alu instid0(VALU_DEP_1) | instskip(SKIP_3) | instid1(VALU_DEP_3)
	v_sub_nc_u32_e32 v0, v0, v3
	v_cmp_gt_u32_e64 s3, s4, v2
	v_cmp_gt_u32_e64 s4, s5, v1
	s_wait_kmcnt 0x0
	v_mul_hi_u32 v3, v0, s8
	s_delay_alu instid0(VALU_DEP_1) | instskip(NEXT) | instid1(VALU_DEP_1)
	v_add_nc_u32_e32 v3, v0, v3
	v_lshrrev_b32_e32 v4, s9, v3
	s_delay_alu instid0(VALU_DEP_1) | instskip(NEXT) | instid1(VALU_DEP_1)
	v_mul_lo_u32 v3, v4, s10
	v_sub_nc_u32_e32 v0, v0, v3
	v_cmp_gt_u32_e64 s2, s2, v4
	s_delay_alu instid0(VALU_DEP_2) | instskip(SKIP_1) | instid1(SALU_CYCLE_1)
	v_cmp_gt_u32_e32 vcc_lo, s10, v0
	s_and_b32 s2, vcc_lo, s2
	s_and_b32 s2, s2, s3
	s_delay_alu instid0(SALU_CYCLE_1) | instskip(NEXT) | instid1(SALU_CYCLE_1)
	s_and_b32 s2, s4, s2
	s_and_saveexec_b32 s3, s2
	s_cbranch_execz .LBB130_4
; %bb.1:
	s_clause 0x4
	s_load_b64 s[2:3], s[0:1], 0x0
	s_load_b96 s[24:26], s[0:1], 0xa8
	s_load_b256 s[4:11], s[0:1], 0x88
	s_load_b128 s[20:23], s[0:1], 0x78
	s_load_b256 s[12:19], s[0:1], 0x58
	v_dual_mov_b32 v3, 0 :: v_dual_mov_b32 v5, 0
	s_wait_kmcnt 0x0
	s_cmp_eq_u64 s[2:3], 0
	s_cbranch_scc1 .LBB130_3
; %bb.2:
	v_mul_lo_u32 v5, v1, s10
	v_mov_b32_e32 v7, 0
	s_delay_alu instid0(VALU_DEP_2) | instskip(NEXT) | instid1(VALU_DEP_1)
	v_mad_u32 v5, v2, s9, v5
	v_mad_u32 v6, v4, s8, v5
	s_delay_alu instid0(VALU_DEP_1) | instskip(SKIP_1) | instid1(VALU_DEP_1)
	v_lshl_add_u64 v[8:9], v[6:7], 1, s[2:3]
	v_mul_lo_u32 v6, v0, s7
	v_lshl_add_u64 v[6:7], v[6:7], 1, v[8:9]
	global_load_u16 v5, v[6:7], off
	s_wait_loadcnt 0x0
	v_cvt_f32_f16_e32 v5, v5
.LBB130_3:
	v_mul_hi_u32 v6, s21, v1
	v_mul_hi_u32 v7, s18, v2
	;; [unrolled: 1-line block ×4, first 2 shown]
	s_delay_alu instid0(VALU_DEP_3) | instskip(NEXT) | instid1(VALU_DEP_1)
	v_dual_add_nc_u32 v6, v1, v6 :: v_dual_add_nc_u32 v7, v2, v7
	v_dual_lshrrev_b32 v6, s22, v6 :: v_dual_lshrrev_b32 v7, s19, v7
	s_delay_alu instid0(VALU_DEP_1) | instskip(SKIP_1) | instid1(VALU_DEP_3)
	v_mul_lo_u32 v6, v6, s23
	v_add_nc_u32_e32 v8, v4, v8
	v_mul_lo_u32 v7, v7, s20
	s_delay_alu instid0(VALU_DEP_3) | instskip(NEXT) | instid1(VALU_DEP_3)
	v_dual_sub_nc_u32 v6, v1, v6 :: v_dual_add_nc_u32 v9, v0, v9
	v_lshrrev_b32_e32 v8, s16, v8
	v_mul_lo_u32 v1, v1, s6
	s_delay_alu instid0(VALU_DEP_4) | instskip(NEXT) | instid1(VALU_DEP_4)
	v_sub_nc_u32_e32 v7, v2, v7
	v_mul_lo_u32 v6, v6, s26
	v_lshrrev_b32_e32 v9, s13, v9
	v_mul_lo_u32 v8, v8, s17
	s_load_b128 s[16:19], s[0:1], 0xd8
	s_delay_alu instid0(VALU_DEP_2) | instskip(SKIP_2) | instid1(VALU_DEP_4)
	v_mul_lo_u32 v9, v9, s14
	v_mad_u32 v1, v2, s5, v1
	v_mad_u32 v7, v7, s25, v6
	v_sub_nc_u32_e32 v8, v4, v8
	s_delay_alu instid0(VALU_DEP_1) | instskip(NEXT) | instid1(VALU_DEP_1)
	v_mad_u32 v8, v8, s24, v7
	v_dual_sub_nc_u32 v6, v0, v9 :: v_dual_ashrrev_i32 v9, 31, v8
	s_delay_alu instid0(VALU_DEP_1) | instskip(SKIP_1) | instid1(VALU_DEP_1)
	v_mul_lo_u32 v6, v6, s11
	s_load_b256 s[8:15], s[0:1], 0xb8
	v_ashrrev_i32_e32 v7, 31, v6
	s_wait_xcnt 0x0
	s_load_b64 s[0:1], s[0:1], 0x10
	s_delay_alu instid0(VALU_DEP_1) | instskip(NEXT) | instid1(VALU_DEP_1)
	v_add_nc_u64_e32 v[6:7], v[6:7], v[8:9]
	v_lshlrev_b64_e32 v[6:7], 1, v[6:7]
	s_wait_kmcnt 0x0
	s_delay_alu instid0(VALU_DEP_1)
	v_add_nc_u64_e32 v[8:9], s[8:9], v[6:7]
	v_add_nc_u64_e32 v[10:11], s[10:11], v[6:7]
	global_load_u16 v12, v[8:9], off
	s_wait_xcnt 0x0
	v_add_nc_u64_e32 v[8:9], s[12:13], v[6:7]
	global_load_u16 v13, v[10:11], off
	s_wait_xcnt 0x0
	;; [unrolled: 3-line block ×3, first 2 shown]
	v_add_nc_u64_e32 v[8:9], s[16:17], v[6:7]
	v_add_nc_u64_e32 v[6:7], s[18:19], v[6:7]
	global_load_u16 v15, v[10:11], off
	global_load_u16 v16, v[8:9], off
	;; [unrolled: 1-line block ×3, first 2 shown]
	s_wait_loadcnt 0x5
	s_wait_xcnt 0x0
	v_cvt_f32_f16_e32 v7, v12
	s_wait_loadcnt 0x4
	v_cvt_f32_f16_e32 v2, v13
	s_delay_alu instid0(VALU_DEP_2) | instskip(SKIP_2) | instid1(VALU_DEP_2)
	v_mul_f32_e32 v5, v5, v7
	s_wait_loadcnt 0x3
	v_cvt_f32_f16_e32 v7, v14
	v_mul_f32_e32 v5, v5, v2
	v_mad_u32 v2, v4, s4, v1
	s_wait_loadcnt 0x2
	v_cvt_f32_f16_e32 v1, v15
	s_delay_alu instid0(VALU_DEP_3) | instskip(SKIP_2) | instid1(VALU_DEP_2)
	v_mul_f32_e32 v4, v5, v7
	s_wait_loadcnt 0x1
	v_cvt_f32_f16_e32 v5, v16
	v_dual_mul_f32 v4, v4, v1 :: v_dual_mov_b32 v1, v3
	v_lshl_add_u64 v[2:3], v[2:3], 1, s[0:1]
	s_delay_alu instid0(VALU_DEP_2) | instskip(NEXT) | instid1(VALU_DEP_2)
	v_mul_f32_e32 v4, v4, v5
	v_lshl_add_u64 v[0:1], v[0:1], 1, v[2:3]
	s_wait_loadcnt 0x0
	s_delay_alu instid0(VALU_DEP_2)
	v_fma_mixlo_f16 v4, v4, v6, 0 op_sel_hi:[0,1,0]
	global_store_b16 v[0:1], v4, off
.LBB130_4:
	s_endpgm
	.section	.rodata,"a",@progbits
	.p2align	6, 0x0
	.amdhsa_kernel _ZL19k_bin_bcast_unravelIXadL_ZL6op_mulffEE6__halfS0_S0_JPKS0_S2_S2_S2_S2_S2_EEvPKT0_PKT1_PT2_15HIP_vector_typeIjLj3EESC_SC_jSC_SC_SC_SC_SC_SC_iiiiiiiiiiiDpT3_
		.amdhsa_group_segment_fixed_size 0
		.amdhsa_private_segment_fixed_size 0
		.amdhsa_kernarg_size 488
		.amdhsa_user_sgpr_count 2
		.amdhsa_user_sgpr_dispatch_ptr 0
		.amdhsa_user_sgpr_queue_ptr 0
		.amdhsa_user_sgpr_kernarg_segment_ptr 1
		.amdhsa_user_sgpr_dispatch_id 0
		.amdhsa_user_sgpr_kernarg_preload_length 0
		.amdhsa_user_sgpr_kernarg_preload_offset 0
		.amdhsa_user_sgpr_private_segment_size 0
		.amdhsa_wavefront_size32 1
		.amdhsa_uses_dynamic_stack 0
		.amdhsa_enable_private_segment 0
		.amdhsa_system_sgpr_workgroup_id_x 1
		.amdhsa_system_sgpr_workgroup_id_y 0
		.amdhsa_system_sgpr_workgroup_id_z 0
		.amdhsa_system_sgpr_workgroup_info 0
		.amdhsa_system_vgpr_workitem_id 0
		.amdhsa_next_free_vgpr 17
		.amdhsa_next_free_sgpr 27
		.amdhsa_named_barrier_count 0
		.amdhsa_reserve_vcc 1
		.amdhsa_float_round_mode_32 0
		.amdhsa_float_round_mode_16_64 0
		.amdhsa_float_denorm_mode_32 3
		.amdhsa_float_denorm_mode_16_64 3
		.amdhsa_fp16_overflow 0
		.amdhsa_memory_ordered 1
		.amdhsa_forward_progress 1
		.amdhsa_inst_pref_size 8
		.amdhsa_round_robin_scheduling 0
		.amdhsa_exception_fp_ieee_invalid_op 0
		.amdhsa_exception_fp_denorm_src 0
		.amdhsa_exception_fp_ieee_div_zero 0
		.amdhsa_exception_fp_ieee_overflow 0
		.amdhsa_exception_fp_ieee_underflow 0
		.amdhsa_exception_fp_ieee_inexact 0
		.amdhsa_exception_int_div_zero 0
	.end_amdhsa_kernel
	.section	.text._ZL19k_bin_bcast_unravelIXadL_ZL6op_mulffEE6__halfS0_S0_JPKS0_S2_S2_S2_S2_S2_EEvPKT0_PKT1_PT2_15HIP_vector_typeIjLj3EESC_SC_jSC_SC_SC_SC_SC_SC_iiiiiiiiiiiDpT3_,"axG",@progbits,_ZL19k_bin_bcast_unravelIXadL_ZL6op_mulffEE6__halfS0_S0_JPKS0_S2_S2_S2_S2_S2_EEvPKT0_PKT1_PT2_15HIP_vector_typeIjLj3EESC_SC_jSC_SC_SC_SC_SC_SC_iiiiiiiiiiiDpT3_,comdat
.Lfunc_end130:
	.size	_ZL19k_bin_bcast_unravelIXadL_ZL6op_mulffEE6__halfS0_S0_JPKS0_S2_S2_S2_S2_S2_EEvPKT0_PKT1_PT2_15HIP_vector_typeIjLj3EESC_SC_jSC_SC_SC_SC_SC_SC_iiiiiiiiiiiDpT3_, .Lfunc_end130-_ZL19k_bin_bcast_unravelIXadL_ZL6op_mulffEE6__halfS0_S0_JPKS0_S2_S2_S2_S2_S2_EEvPKT0_PKT1_PT2_15HIP_vector_typeIjLj3EESC_SC_jSC_SC_SC_SC_SC_SC_iiiiiiiiiiiDpT3_
                                        ; -- End function
	.set _ZL19k_bin_bcast_unravelIXadL_ZL6op_mulffEE6__halfS0_S0_JPKS0_S2_S2_S2_S2_S2_EEvPKT0_PKT1_PT2_15HIP_vector_typeIjLj3EESC_SC_jSC_SC_SC_SC_SC_SC_iiiiiiiiiiiDpT3_.num_vgpr, 17
	.set _ZL19k_bin_bcast_unravelIXadL_ZL6op_mulffEE6__halfS0_S0_JPKS0_S2_S2_S2_S2_S2_EEvPKT0_PKT1_PT2_15HIP_vector_typeIjLj3EESC_SC_jSC_SC_SC_SC_SC_SC_iiiiiiiiiiiDpT3_.num_agpr, 0
	.set _ZL19k_bin_bcast_unravelIXadL_ZL6op_mulffEE6__halfS0_S0_JPKS0_S2_S2_S2_S2_S2_EEvPKT0_PKT1_PT2_15HIP_vector_typeIjLj3EESC_SC_jSC_SC_SC_SC_SC_SC_iiiiiiiiiiiDpT3_.numbered_sgpr, 27
	.set _ZL19k_bin_bcast_unravelIXadL_ZL6op_mulffEE6__halfS0_S0_JPKS0_S2_S2_S2_S2_S2_EEvPKT0_PKT1_PT2_15HIP_vector_typeIjLj3EESC_SC_jSC_SC_SC_SC_SC_SC_iiiiiiiiiiiDpT3_.num_named_barrier, 0
	.set _ZL19k_bin_bcast_unravelIXadL_ZL6op_mulffEE6__halfS0_S0_JPKS0_S2_S2_S2_S2_S2_EEvPKT0_PKT1_PT2_15HIP_vector_typeIjLj3EESC_SC_jSC_SC_SC_SC_SC_SC_iiiiiiiiiiiDpT3_.private_seg_size, 0
	.set _ZL19k_bin_bcast_unravelIXadL_ZL6op_mulffEE6__halfS0_S0_JPKS0_S2_S2_S2_S2_S2_EEvPKT0_PKT1_PT2_15HIP_vector_typeIjLj3EESC_SC_jSC_SC_SC_SC_SC_SC_iiiiiiiiiiiDpT3_.uses_vcc, 1
	.set _ZL19k_bin_bcast_unravelIXadL_ZL6op_mulffEE6__halfS0_S0_JPKS0_S2_S2_S2_S2_S2_EEvPKT0_PKT1_PT2_15HIP_vector_typeIjLj3EESC_SC_jSC_SC_SC_SC_SC_SC_iiiiiiiiiiiDpT3_.uses_flat_scratch, 0
	.set _ZL19k_bin_bcast_unravelIXadL_ZL6op_mulffEE6__halfS0_S0_JPKS0_S2_S2_S2_S2_S2_EEvPKT0_PKT1_PT2_15HIP_vector_typeIjLj3EESC_SC_jSC_SC_SC_SC_SC_SC_iiiiiiiiiiiDpT3_.has_dyn_sized_stack, 0
	.set _ZL19k_bin_bcast_unravelIXadL_ZL6op_mulffEE6__halfS0_S0_JPKS0_S2_S2_S2_S2_S2_EEvPKT0_PKT1_PT2_15HIP_vector_typeIjLj3EESC_SC_jSC_SC_SC_SC_SC_SC_iiiiiiiiiiiDpT3_.has_recursion, 0
	.set _ZL19k_bin_bcast_unravelIXadL_ZL6op_mulffEE6__halfS0_S0_JPKS0_S2_S2_S2_S2_S2_EEvPKT0_PKT1_PT2_15HIP_vector_typeIjLj3EESC_SC_jSC_SC_SC_SC_SC_SC_iiiiiiiiiiiDpT3_.has_indirect_call, 0
	.section	.AMDGPU.csdata,"",@progbits
; Kernel info:
; codeLenInByte = 916
; TotalNumSgprs: 29
; NumVgprs: 17
; ScratchSize: 0
; MemoryBound: 0
; FloatMode: 240
; IeeeMode: 1
; LDSByteSize: 0 bytes/workgroup (compile time only)
; SGPRBlocks: 0
; VGPRBlocks: 1
; NumSGPRsForWavesPerEU: 29
; NumVGPRsForWavesPerEU: 17
; NamedBarCnt: 0
; Occupancy: 16
; WaveLimiterHint : 1
; COMPUTE_PGM_RSRC2:SCRATCH_EN: 0
; COMPUTE_PGM_RSRC2:USER_SGPR: 2
; COMPUTE_PGM_RSRC2:TRAP_HANDLER: 0
; COMPUTE_PGM_RSRC2:TGID_X_EN: 1
; COMPUTE_PGM_RSRC2:TGID_Y_EN: 0
; COMPUTE_PGM_RSRC2:TGID_Z_EN: 0
; COMPUTE_PGM_RSRC2:TIDIG_COMP_CNT: 0
	.section	.text._ZL11k_bin_bcastIXadL_ZL6op_mulffEE6__halfS0_S0_JPKS0_S2_S2_S2_S2_S2_EEvPKT0_PKT1_PT2_iii15HIP_vector_typeIjLj3EESC_SC_SC_SC_iiiiiiiiiiiDpT3_,"axG",@progbits,_ZL11k_bin_bcastIXadL_ZL6op_mulffEE6__halfS0_S0_JPKS0_S2_S2_S2_S2_S2_EEvPKT0_PKT1_PT2_iii15HIP_vector_typeIjLj3EESC_SC_SC_SC_iiiiiiiiiiiDpT3_,comdat
	.globl	_ZL11k_bin_bcastIXadL_ZL6op_mulffEE6__halfS0_S0_JPKS0_S2_S2_S2_S2_S2_EEvPKT0_PKT1_PT2_iii15HIP_vector_typeIjLj3EESC_SC_SC_SC_iiiiiiiiiiiDpT3_ ; -- Begin function _ZL11k_bin_bcastIXadL_ZL6op_mulffEE6__halfS0_S0_JPKS0_S2_S2_S2_S2_S2_EEvPKT0_PKT1_PT2_iii15HIP_vector_typeIjLj3EESC_SC_SC_SC_iiiiiiiiiiiDpT3_
	.p2align	8
	.type	_ZL11k_bin_bcastIXadL_ZL6op_mulffEE6__halfS0_S0_JPKS0_S2_S2_S2_S2_S2_EEvPKT0_PKT1_PT2_iii15HIP_vector_typeIjLj3EESC_SC_SC_SC_iiiiiiiiiiiDpT3_,@function
_ZL11k_bin_bcastIXadL_ZL6op_mulffEE6__halfS0_S0_JPKS0_S2_S2_S2_S2_S2_EEvPKT0_PKT1_PT2_iii15HIP_vector_typeIjLj3EESC_SC_SC_SC_iiiiiiiiiiiDpT3_: ; @_ZL11k_bin_bcastIXadL_ZL6op_mulffEE6__halfS0_S0_JPKS0_S2_S2_S2_S2_S2_EEvPKT0_PKT1_PT2_iii15HIP_vector_typeIjLj3EESC_SC_SC_SC_iiiiiiiiiiiDpT3_
; %bb.0:
	s_load_b64 s[2:3], s[0:1], 0xcc
	s_bfe_u32 s5, ttmp6, 0x40014
	s_bfe_u32 s16, ttmp6, 0x40010
	;; [unrolled: 1-line block ×3, first 2 shown]
	s_lshr_b32 s4, ttmp7, 16
	s_add_co_i32 s5, s5, 1
	s_and_b32 s7, ttmp7, 0xffff
	s_load_b256 s[8:15], s[0:1], 0x18
	s_add_co_i32 s16, s16, 1
	s_add_co_i32 s19, s19, 1
	s_bfe_u32 s6, ttmp6, 0x40008
	s_mul_i32 s5, s4, s5
	s_bfe_u32 s17, ttmp6, 0x40004
	s_and_b32 s18, ttmp6, 15
	s_mul_i32 s16, s7, s16
	s_mul_i32 s19, ttmp9, s19
	s_add_co_i32 s6, s6, s5
	s_add_co_i32 s17, s17, s16
	;; [unrolled: 1-line block ×3, first 2 shown]
	v_bfe_u32 v1, v0, 20, 10
	s_wait_kmcnt 0x0
	s_lshr_b32 s5, s2, 16
	s_and_b32 s33, s2, 0xffff
	s_getreg_b32 s2, hwreg(HW_REG_IB_STS2, 6, 4)
	s_and_b32 s3, s3, 0xffff
	s_cmp_eq_u32 s2, 0
	v_and_b32_e32 v2, 0x3ff, v0
	s_cselect_b32 s2, s4, s6
	v_bfe_u32 v4, v0, 10, 10
	v_mad_u32 v3, s2, s3, v1
	s_cselect_b32 s2, ttmp9, s18
	s_cselect_b32 s3, s7, s17
	v_mad_u32 v0, s2, s33, v2
	v_mad_u32 v2, s3, s5, v4
	s_delay_alu instid0(VALU_DEP_3) | instskip(NEXT) | instid1(VALU_DEP_3)
	v_mul_hi_u32 v1, v3, s11
	v_cmp_gt_u32_e32 vcc_lo, s8, v0
	s_delay_alu instid0(VALU_DEP_3) | instskip(SKIP_2) | instid1(VALU_DEP_1)
	v_cmp_gt_u32_e64 s2, s9, v2
	s_and_b32 s2, vcc_lo, s2
	v_add_nc_u32_e32 v1, v3, v1
	v_lshrrev_b32_e32 v1, s12, v1
	s_delay_alu instid0(VALU_DEP_1) | instskip(SKIP_3) | instid1(VALU_DEP_1)
	v_mul_lo_u32 v5, v1, s13
	v_cmp_gt_u32_e64 s3, s10, v1
	s_and_b32 s2, s2, s3
	v_sub_nc_u32_e32 v3, v3, v5
	v_cmp_gt_u32_e64 s4, s13, v3
	s_and_b32 s2, s2, s4
	s_delay_alu instid0(SALU_CYCLE_1)
	s_and_saveexec_b32 s3, s2
	s_cbranch_execz .LBB131_6
; %bb.1:
	v_cmp_gt_i32_e32 vcc_lo, s8, v0
	s_and_b32 exec_lo, exec_lo, vcc_lo
	s_cbranch_execz .LBB131_6
; %bb.2:
	s_clause 0x3
	s_load_b256 s[24:31], s[0:1], 0x3c
	s_load_b32 s2, s[0:1], 0x5c
	s_load_b256 s[16:23], s[0:1], 0x60
	s_load_b96 s[36:38], s[0:1], 0x80
	s_add_nc_u64 s[4:5], s[0:1], 0xc0
	s_load_b32 s9, s[4:5], 0x0
	s_load_b32 s12, s[0:1], 0x38
	s_wait_xcnt 0x0
	s_clause 0x1
	s_load_b128 s[4:7], s[0:1], 0xb0
	s_load_b64 s[10:11], s[0:1], 0x10
	s_wait_kmcnt 0x0
	v_mul_hi_u32 v4, s30, v3
	v_mul_hi_u32 v5, s27, v1
	v_mul_hi_u32 v6, s24, v2
	v_mul_lo_u32 v7, v2, s20
	v_mul_lo_u32 v8, v2, s16
	s_delay_alu instid0(VALU_DEP_4) | instskip(NEXT) | instid1(VALU_DEP_3)
	v_dual_add_nc_u32 v4, v3, v4 :: v_dual_add_nc_u32 v5, v1, v5
	v_mad_u32 v7, v1, s21, v7
	s_delay_alu instid0(VALU_DEP_3) | instskip(NEXT) | instid1(VALU_DEP_3)
	v_mad_u32 v8, v1, s17, v8
	v_dual_lshrrev_b32 v4, s31, v4 :: v_dual_lshrrev_b32 v5, s28, v5
	s_delay_alu instid0(VALU_DEP_1) | instskip(SKIP_1) | instid1(VALU_DEP_3)
	v_mul_lo_u32 v4, v4, s2
	v_add_nc_u32_e32 v6, v2, v6
	v_mul_lo_u32 v5, v5, s29
	s_load_b64 s[2:3], s[0:1], 0x0
	v_mad_u32 v8, v3, s18, v8
	s_delay_alu instid0(VALU_DEP_3) | instskip(NEXT) | instid1(VALU_DEP_3)
	v_dual_sub_nc_u32 v4, v3, v4 :: v_dual_lshrrev_b32 v6, s25, v6
	v_sub_nc_u32_e32 v5, v1, v5
	s_delay_alu instid0(VALU_DEP_2) | instskip(NEXT) | instid1(VALU_DEP_3)
	v_mul_lo_u32 v9, v4, s38
	v_mul_lo_u32 v6, v6, s26
	v_mad_u32 v4, v3, s22, v7
	s_load_b256 s[24:31], s[0:1], 0x90
	v_mov_b32_e32 v1, 0
	s_wait_xcnt 0x0
	s_mov_b32 s1, 0
	s_mov_b32 s0, s14
	s_wait_kmcnt 0x0
	s_cmp_lg_u64 s[2:3], 0
	s_delay_alu instid0(VALU_DEP_4) | instskip(NEXT) | instid1(VALU_DEP_4)
	v_mad_u32 v7, v5, s37, v9
	v_sub_nc_u32_e32 v2, v2, v6
	v_mul_lo_u32 v6, s19, v0
	v_dual_mov_b32 v5, v1 :: v_dual_mov_b32 v9, v1
	v_mov_b32_e32 v3, v1
	s_delay_alu instid0(VALU_DEP_2) | instskip(NEXT) | instid1(VALU_DEP_3)
	v_lshl_add_u64 v[4:5], v[4:5], 1, s[2:3]
	v_lshl_add_u64 v[8:9], v[8:9], 1, s[10:11]
	s_mul_i32 s2, s9, s33
	v_mad_u32 v2, v2, s36, v7
	s_cselect_b32 s3, -1, 0
	s_mul_i32 s9, s2, s19
	s_sub_co_i32 s10, 0, s12
	s_mov_b32 s11, s1
	s_branch .LBB131_4
.LBB131_3:                              ;   in Loop: Header=BB131_4 Depth=1
	s_wait_xcnt 0x0
	v_mul_u64_e32 v[10:11], s[0:1], v[0:1]
	s_delay_alu instid0(VALU_DEP_1) | instskip(NEXT) | instid1(VALU_DEP_1)
	v_dual_add_nc_u32 v6, s9, v6 :: v_dual_add_nc_u32 v10, v0, v11
	v_dual_mov_b32 v11, v1 :: v_dual_lshrrev_b32 v10, s15, v10
	s_delay_alu instid0(VALU_DEP_1) | instskip(NEXT) | instid1(VALU_DEP_1)
	v_mad_u32 v10, s10, v10, v0
	v_mul_lo_u32 v10, v10, s23
	s_delay_alu instid0(VALU_DEP_1) | instskip(NEXT) | instid1(VALU_DEP_1)
	v_add_nc_u64_e32 v[10:11], v[10:11], v[2:3]
	v_lshlrev_b64_e32 v[10:11], 1, v[10:11]
	s_delay_alu instid0(VALU_DEP_1)
	v_add_nc_u64_e32 v[12:13], s[24:25], v[10:11]
	v_add_nc_u64_e32 v[14:15], s[26:27], v[10:11]
	global_load_u16 v16, v[12:13], off
	s_wait_xcnt 0x0
	v_add_nc_u64_e32 v[12:13], s[28:29], v[10:11]
	global_load_u16 v17, v[14:15], off
	s_wait_xcnt 0x0
	;; [unrolled: 3-line block ×3, first 2 shown]
	v_add_nc_u64_e32 v[12:13], s[4:5], v[10:11]
	global_load_u16 v19, v[14:15], off
	global_load_u16 v20, v[12:13], off
	v_add_nc_u64_e32 v[10:11], s[6:7], v[10:11]
	global_load_u16 v12, v[10:11], off
	s_wait_loadcnt 0x5
	s_wait_xcnt 0x0
	v_cvt_f32_f16_e32 v10, v16
	s_wait_loadcnt 0x4
	v_cvt_f32_f16_e32 v11, v17
	s_delay_alu instid0(VALU_DEP_2) | instskip(SKIP_2) | instid1(VALU_DEP_2)
	v_mul_f32_e32 v7, v7, v10
	s_wait_loadcnt 0x3
	v_cvt_f32_f16_e32 v10, v18
	v_mul_f32_e32 v7, v7, v11
	s_wait_loadcnt 0x2
	v_cvt_f32_f16_e32 v11, v19
	s_delay_alu instid0(VALU_DEP_2) | instskip(SKIP_2) | instid1(VALU_DEP_2)
	v_dual_mul_f32 v7, v7, v10 :: v_dual_mov_b32 v10, v0
	s_wait_loadcnt 0x1
	v_cvt_f32_f16_e32 v13, v20
	v_dual_mul_f32 v7, v7, v11 :: v_dual_ashrrev_i32 v11, 31, v0
	s_delay_alu instid0(VALU_DEP_1) | instskip(NEXT) | instid1(VALU_DEP_2)
	v_dual_mul_f32 v7, v7, v13 :: v_dual_add_nc_u32 v0, s2, v0
	v_lshl_add_u64 v[10:11], v[10:11], 1, v[8:9]
	s_delay_alu instid0(VALU_DEP_2) | instskip(SKIP_1) | instid1(VALU_DEP_3)
	v_cmp_le_i32_e32 vcc_lo, s8, v0
	s_wait_loadcnt 0x0
	v_fma_mixlo_f16 v7, v7, v12, 0 op_sel_hi:[0,1,0]
	s_or_b32 s11, vcc_lo, s11
	global_store_b16 v[10:11], v7, off
	s_wait_xcnt 0x0
	s_and_not1_b32 exec_lo, exec_lo, s11
	s_cbranch_execz .LBB131_6
.LBB131_4:                              ; =>This Inner Loop Header: Depth=1
	v_mov_b32_e32 v7, 0
	s_and_not1_b32 vcc_lo, exec_lo, s3
	s_cbranch_vccnz .LBB131_3
; %bb.5:                                ;   in Loop: Header=BB131_4 Depth=1
	v_ashrrev_i32_e32 v7, 31, v6
	s_delay_alu instid0(VALU_DEP_1)
	v_lshl_add_u64 v[10:11], v[6:7], 1, v[4:5]
	global_load_u16 v7, v[10:11], off
	s_wait_loadcnt 0x0
	v_cvt_f32_f16_e32 v7, v7
	s_branch .LBB131_3
.LBB131_6:
	s_endpgm
	.section	.rodata,"a",@progbits
	.p2align	6, 0x0
	.amdhsa_kernel _ZL11k_bin_bcastIXadL_ZL6op_mulffEE6__halfS0_S0_JPKS0_S2_S2_S2_S2_S2_EEvPKT0_PKT1_PT2_iii15HIP_vector_typeIjLj3EESC_SC_SC_SC_iiiiiiiiiiiDpT3_
		.amdhsa_group_segment_fixed_size 0
		.amdhsa_private_segment_fixed_size 0
		.amdhsa_kernarg_size 448
		.amdhsa_user_sgpr_count 2
		.amdhsa_user_sgpr_dispatch_ptr 0
		.amdhsa_user_sgpr_queue_ptr 0
		.amdhsa_user_sgpr_kernarg_segment_ptr 1
		.amdhsa_user_sgpr_dispatch_id 0
		.amdhsa_user_sgpr_kernarg_preload_length 0
		.amdhsa_user_sgpr_kernarg_preload_offset 0
		.amdhsa_user_sgpr_private_segment_size 0
		.amdhsa_wavefront_size32 1
		.amdhsa_uses_dynamic_stack 0
		.amdhsa_enable_private_segment 0
		.amdhsa_system_sgpr_workgroup_id_x 1
		.amdhsa_system_sgpr_workgroup_id_y 1
		.amdhsa_system_sgpr_workgroup_id_z 1
		.amdhsa_system_sgpr_workgroup_info 0
		.amdhsa_system_vgpr_workitem_id 2
		.amdhsa_next_free_vgpr 21
		.amdhsa_next_free_sgpr 39
		.amdhsa_named_barrier_count 0
		.amdhsa_reserve_vcc 1
		.amdhsa_float_round_mode_32 0
		.amdhsa_float_round_mode_16_64 0
		.amdhsa_float_denorm_mode_32 3
		.amdhsa_float_denorm_mode_16_64 3
		.amdhsa_fp16_overflow 0
		.amdhsa_memory_ordered 1
		.amdhsa_forward_progress 1
		.amdhsa_inst_pref_size 9
		.amdhsa_round_robin_scheduling 0
		.amdhsa_exception_fp_ieee_invalid_op 0
		.amdhsa_exception_fp_denorm_src 0
		.amdhsa_exception_fp_ieee_div_zero 0
		.amdhsa_exception_fp_ieee_overflow 0
		.amdhsa_exception_fp_ieee_underflow 0
		.amdhsa_exception_fp_ieee_inexact 0
		.amdhsa_exception_int_div_zero 0
	.end_amdhsa_kernel
	.section	.text._ZL11k_bin_bcastIXadL_ZL6op_mulffEE6__halfS0_S0_JPKS0_S2_S2_S2_S2_S2_EEvPKT0_PKT1_PT2_iii15HIP_vector_typeIjLj3EESC_SC_SC_SC_iiiiiiiiiiiDpT3_,"axG",@progbits,_ZL11k_bin_bcastIXadL_ZL6op_mulffEE6__halfS0_S0_JPKS0_S2_S2_S2_S2_S2_EEvPKT0_PKT1_PT2_iii15HIP_vector_typeIjLj3EESC_SC_SC_SC_iiiiiiiiiiiDpT3_,comdat
.Lfunc_end131:
	.size	_ZL11k_bin_bcastIXadL_ZL6op_mulffEE6__halfS0_S0_JPKS0_S2_S2_S2_S2_S2_EEvPKT0_PKT1_PT2_iii15HIP_vector_typeIjLj3EESC_SC_SC_SC_iiiiiiiiiiiDpT3_, .Lfunc_end131-_ZL11k_bin_bcastIXadL_ZL6op_mulffEE6__halfS0_S0_JPKS0_S2_S2_S2_S2_S2_EEvPKT0_PKT1_PT2_iii15HIP_vector_typeIjLj3EESC_SC_SC_SC_iiiiiiiiiiiDpT3_
                                        ; -- End function
	.set _ZL11k_bin_bcastIXadL_ZL6op_mulffEE6__halfS0_S0_JPKS0_S2_S2_S2_S2_S2_EEvPKT0_PKT1_PT2_iii15HIP_vector_typeIjLj3EESC_SC_SC_SC_iiiiiiiiiiiDpT3_.num_vgpr, 21
	.set _ZL11k_bin_bcastIXadL_ZL6op_mulffEE6__halfS0_S0_JPKS0_S2_S2_S2_S2_S2_EEvPKT0_PKT1_PT2_iii15HIP_vector_typeIjLj3EESC_SC_SC_SC_iiiiiiiiiiiDpT3_.num_agpr, 0
	.set _ZL11k_bin_bcastIXadL_ZL6op_mulffEE6__halfS0_S0_JPKS0_S2_S2_S2_S2_S2_EEvPKT0_PKT1_PT2_iii15HIP_vector_typeIjLj3EESC_SC_SC_SC_iiiiiiiiiiiDpT3_.numbered_sgpr, 39
	.set _ZL11k_bin_bcastIXadL_ZL6op_mulffEE6__halfS0_S0_JPKS0_S2_S2_S2_S2_S2_EEvPKT0_PKT1_PT2_iii15HIP_vector_typeIjLj3EESC_SC_SC_SC_iiiiiiiiiiiDpT3_.num_named_barrier, 0
	.set _ZL11k_bin_bcastIXadL_ZL6op_mulffEE6__halfS0_S0_JPKS0_S2_S2_S2_S2_S2_EEvPKT0_PKT1_PT2_iii15HIP_vector_typeIjLj3EESC_SC_SC_SC_iiiiiiiiiiiDpT3_.private_seg_size, 0
	.set _ZL11k_bin_bcastIXadL_ZL6op_mulffEE6__halfS0_S0_JPKS0_S2_S2_S2_S2_S2_EEvPKT0_PKT1_PT2_iii15HIP_vector_typeIjLj3EESC_SC_SC_SC_iiiiiiiiiiiDpT3_.uses_vcc, 1
	.set _ZL11k_bin_bcastIXadL_ZL6op_mulffEE6__halfS0_S0_JPKS0_S2_S2_S2_S2_S2_EEvPKT0_PKT1_PT2_iii15HIP_vector_typeIjLj3EESC_SC_SC_SC_iiiiiiiiiiiDpT3_.uses_flat_scratch, 0
	.set _ZL11k_bin_bcastIXadL_ZL6op_mulffEE6__halfS0_S0_JPKS0_S2_S2_S2_S2_S2_EEvPKT0_PKT1_PT2_iii15HIP_vector_typeIjLj3EESC_SC_SC_SC_iiiiiiiiiiiDpT3_.has_dyn_sized_stack, 0
	.set _ZL11k_bin_bcastIXadL_ZL6op_mulffEE6__halfS0_S0_JPKS0_S2_S2_S2_S2_S2_EEvPKT0_PKT1_PT2_iii15HIP_vector_typeIjLj3EESC_SC_SC_SC_iiiiiiiiiiiDpT3_.has_recursion, 0
	.set _ZL11k_bin_bcastIXadL_ZL6op_mulffEE6__halfS0_S0_JPKS0_S2_S2_S2_S2_S2_EEvPKT0_PKT1_PT2_iii15HIP_vector_typeIjLj3EESC_SC_SC_SC_iiiiiiiiiiiDpT3_.has_indirect_call, 0
	.section	.AMDGPU.csdata,"",@progbits
; Kernel info:
; codeLenInByte = 1072
; TotalNumSgprs: 41
; NumVgprs: 21
; ScratchSize: 0
; MemoryBound: 0
; FloatMode: 240
; IeeeMode: 1
; LDSByteSize: 0 bytes/workgroup (compile time only)
; SGPRBlocks: 0
; VGPRBlocks: 1
; NumSGPRsForWavesPerEU: 41
; NumVGPRsForWavesPerEU: 21
; NamedBarCnt: 0
; Occupancy: 16
; WaveLimiterHint : 1
; COMPUTE_PGM_RSRC2:SCRATCH_EN: 0
; COMPUTE_PGM_RSRC2:USER_SGPR: 2
; COMPUTE_PGM_RSRC2:TRAP_HANDLER: 0
; COMPUTE_PGM_RSRC2:TGID_X_EN: 1
; COMPUTE_PGM_RSRC2:TGID_Y_EN: 1
; COMPUTE_PGM_RSRC2:TGID_Z_EN: 1
; COMPUTE_PGM_RSRC2:TIDIG_COMP_CNT: 2
	.section	.text._ZL19k_bin_bcast_unravelIXadL_ZL6op_mulffEE6__halffS0_JPKfS2_S2_S2_S2_S2_EEvPKT0_PKT1_PT2_15HIP_vector_typeIjLj3EESC_SC_jSC_SC_SC_SC_SC_SC_iiiiiiiiiiiDpT3_,"axG",@progbits,_ZL19k_bin_bcast_unravelIXadL_ZL6op_mulffEE6__halffS0_JPKfS2_S2_S2_S2_S2_EEvPKT0_PKT1_PT2_15HIP_vector_typeIjLj3EESC_SC_jSC_SC_SC_SC_SC_SC_iiiiiiiiiiiDpT3_,comdat
	.globl	_ZL19k_bin_bcast_unravelIXadL_ZL6op_mulffEE6__halffS0_JPKfS2_S2_S2_S2_S2_EEvPKT0_PKT1_PT2_15HIP_vector_typeIjLj3EESC_SC_jSC_SC_SC_SC_SC_SC_iiiiiiiiiiiDpT3_ ; -- Begin function _ZL19k_bin_bcast_unravelIXadL_ZL6op_mulffEE6__halffS0_JPKfS2_S2_S2_S2_S2_EEvPKT0_PKT1_PT2_15HIP_vector_typeIjLj3EESC_SC_jSC_SC_SC_SC_SC_SC_iiiiiiiiiiiDpT3_
	.p2align	8
	.type	_ZL19k_bin_bcast_unravelIXadL_ZL6op_mulffEE6__halffS0_JPKfS2_S2_S2_S2_S2_EEvPKT0_PKT1_PT2_15HIP_vector_typeIjLj3EESC_SC_jSC_SC_SC_SC_SC_SC_iiiiiiiiiiiDpT3_,@function
_ZL19k_bin_bcast_unravelIXadL_ZL6op_mulffEE6__halffS0_JPKfS2_S2_S2_S2_S2_EEvPKT0_PKT1_PT2_15HIP_vector_typeIjLj3EESC_SC_jSC_SC_SC_SC_SC_SC_iiiiiiiiiiiDpT3_: ; @_ZL19k_bin_bcast_unravelIXadL_ZL6op_mulffEE6__halffS0_JPKfS2_S2_S2_S2_S2_EEvPKT0_PKT1_PT2_15HIP_vector_typeIjLj3EESC_SC_jSC_SC_SC_SC_SC_SC_iiiiiiiiiiiDpT3_
; %bb.0:
	s_load_b32 s2, s[0:1], 0xf4
	s_bfe_u32 s3, ttmp6, 0x4000c
	s_load_b256 s[4:11], s[0:1], 0x38
	s_add_co_i32 s3, s3, 1
	s_and_b32 s12, ttmp6, 15
	s_mul_i32 s3, ttmp9, s3
	s_getreg_b32 s13, hwreg(HW_REG_IB_STS2, 6, 4)
	s_add_co_i32 s12, s12, s3
	s_wait_kmcnt 0x0
	s_and_b32 s2, s2, 0xffff
	s_cmp_eq_u32 s13, 0
	s_cselect_b32 s3, ttmp9, s12
	s_delay_alu instid0(SALU_CYCLE_1) | instskip(SKIP_1) | instid1(VALU_DEP_1)
	v_mad_u32 v0, s3, s2, v0
	s_load_b32 s2, s[0:1], 0x2c
	v_mul_hi_u32 v1, v0, s6
	s_delay_alu instid0(VALU_DEP_1) | instskip(NEXT) | instid1(VALU_DEP_1)
	v_add_nc_u32_e32 v1, v0, v1
	v_lshrrev_b32_e32 v1, s7, v1
	s_delay_alu instid0(VALU_DEP_1) | instskip(NEXT) | instid1(VALU_DEP_1)
	v_mul_lo_u32 v2, v1, s8
	v_sub_nc_u32_e32 v0, v0, v2
	s_delay_alu instid0(VALU_DEP_1) | instskip(NEXT) | instid1(VALU_DEP_1)
	v_mul_hi_u32 v2, v0, s9
	v_add_nc_u32_e32 v2, v0, v2
	s_delay_alu instid0(VALU_DEP_1) | instskip(SKIP_1) | instid1(VALU_DEP_1)
	v_lshrrev_b32_e32 v2, s10, v2
	s_load_b96 s[8:10], s[0:1], 0x18
	v_mul_lo_u32 v3, v2, s11
	s_delay_alu instid0(VALU_DEP_1) | instskip(SKIP_3) | instid1(VALU_DEP_3)
	v_sub_nc_u32_e32 v0, v0, v3
	v_cmp_gt_u32_e64 s3, s4, v2
	v_cmp_gt_u32_e64 s4, s5, v1
	s_wait_kmcnt 0x0
	v_mul_hi_u32 v3, v0, s8
	s_delay_alu instid0(VALU_DEP_1) | instskip(NEXT) | instid1(VALU_DEP_1)
	v_add_nc_u32_e32 v3, v0, v3
	v_lshrrev_b32_e32 v4, s9, v3
	s_delay_alu instid0(VALU_DEP_1) | instskip(NEXT) | instid1(VALU_DEP_1)
	v_mul_lo_u32 v3, v4, s10
	v_sub_nc_u32_e32 v0, v0, v3
	v_cmp_gt_u32_e64 s2, s2, v4
	s_delay_alu instid0(VALU_DEP_2) | instskip(SKIP_1) | instid1(SALU_CYCLE_1)
	v_cmp_gt_u32_e32 vcc_lo, s10, v0
	s_and_b32 s2, vcc_lo, s2
	s_and_b32 s2, s2, s3
	s_delay_alu instid0(SALU_CYCLE_1) | instskip(NEXT) | instid1(SALU_CYCLE_1)
	s_and_b32 s2, s4, s2
	s_and_saveexec_b32 s3, s2
	s_cbranch_execz .LBB132_4
; %bb.1:
	s_clause 0x4
	s_load_b64 s[2:3], s[0:1], 0x0
	s_load_b96 s[24:26], s[0:1], 0xa8
	s_load_b256 s[4:11], s[0:1], 0x88
	s_load_b128 s[20:23], s[0:1], 0x78
	s_load_b256 s[12:19], s[0:1], 0x58
	v_dual_mov_b32 v3, 0 :: v_dual_mov_b32 v5, 0
	s_wait_kmcnt 0x0
	s_cmp_eq_u64 s[2:3], 0
	s_cbranch_scc1 .LBB132_3
; %bb.2:
	v_mul_lo_u32 v5, v1, s10
	v_mov_b32_e32 v7, 0
	s_delay_alu instid0(VALU_DEP_2) | instskip(NEXT) | instid1(VALU_DEP_1)
	v_mad_u32 v5, v2, s9, v5
	v_mad_u32 v6, v4, s8, v5
	s_delay_alu instid0(VALU_DEP_1) | instskip(SKIP_1) | instid1(VALU_DEP_1)
	v_lshl_add_u64 v[8:9], v[6:7], 1, s[2:3]
	v_mul_lo_u32 v6, v0, s7
	v_lshl_add_u64 v[6:7], v[6:7], 1, v[8:9]
	global_load_u16 v5, v[6:7], off
	s_wait_loadcnt 0x0
	v_cvt_f32_f16_e32 v5, v5
.LBB132_3:
	v_mul_hi_u32 v6, s21, v1
	v_mul_hi_u32 v7, s18, v2
	;; [unrolled: 1-line block ×4, first 2 shown]
	s_delay_alu instid0(VALU_DEP_3) | instskip(NEXT) | instid1(VALU_DEP_1)
	v_dual_add_nc_u32 v6, v1, v6 :: v_dual_add_nc_u32 v7, v2, v7
	v_dual_lshrrev_b32 v6, s22, v6 :: v_dual_lshrrev_b32 v7, s19, v7
	s_delay_alu instid0(VALU_DEP_1) | instskip(SKIP_1) | instid1(VALU_DEP_3)
	v_mul_lo_u32 v6, v6, s23
	v_add_nc_u32_e32 v8, v4, v8
	v_mul_lo_u32 v7, v7, s20
	s_delay_alu instid0(VALU_DEP_3) | instskip(NEXT) | instid1(VALU_DEP_3)
	v_dual_sub_nc_u32 v6, v1, v6 :: v_dual_add_nc_u32 v9, v0, v9
	v_lshrrev_b32_e32 v8, s16, v8
	v_mul_lo_u32 v1, v1, s6
	s_delay_alu instid0(VALU_DEP_4) | instskip(NEXT) | instid1(VALU_DEP_4)
	v_sub_nc_u32_e32 v7, v2, v7
	v_mul_lo_u32 v6, v6, s26
	v_lshrrev_b32_e32 v9, s13, v9
	v_mul_lo_u32 v8, v8, s17
	s_load_b128 s[16:19], s[0:1], 0xd8
	s_delay_alu instid0(VALU_DEP_2) | instskip(SKIP_2) | instid1(VALU_DEP_4)
	v_mul_lo_u32 v9, v9, s14
	v_mad_u32 v1, v2, s5, v1
	v_mad_u32 v7, v7, s25, v6
	v_sub_nc_u32_e32 v8, v4, v8
	s_delay_alu instid0(VALU_DEP_1) | instskip(NEXT) | instid1(VALU_DEP_1)
	v_mad_u32 v8, v8, s24, v7
	v_dual_sub_nc_u32 v6, v0, v9 :: v_dual_ashrrev_i32 v9, 31, v8
	s_delay_alu instid0(VALU_DEP_1) | instskip(SKIP_1) | instid1(VALU_DEP_1)
	v_mul_lo_u32 v6, v6, s11
	s_load_b256 s[8:15], s[0:1], 0xb8
	v_ashrrev_i32_e32 v7, 31, v6
	s_wait_xcnt 0x0
	s_load_b64 s[0:1], s[0:1], 0x10
	s_delay_alu instid0(VALU_DEP_1) | instskip(NEXT) | instid1(VALU_DEP_1)
	v_add_nc_u64_e32 v[6:7], v[6:7], v[8:9]
	v_lshlrev_b64_e32 v[6:7], 2, v[6:7]
	s_wait_kmcnt 0x0
	s_delay_alu instid0(VALU_DEP_1)
	v_add_nc_u64_e32 v[8:9], s[8:9], v[6:7]
	v_add_nc_u64_e32 v[10:11], s[10:11], v[6:7]
	global_load_b32 v12, v[8:9], off
	s_wait_xcnt 0x0
	v_add_nc_u64_e32 v[8:9], s[12:13], v[6:7]
	global_load_b32 v13, v[10:11], off
	s_wait_xcnt 0x0
	;; [unrolled: 3-line block ×3, first 2 shown]
	v_add_nc_u64_e32 v[8:9], s[16:17], v[6:7]
	global_load_b32 v10, v[10:11], off
	v_add_nc_u64_e32 v[6:7], s[18:19], v[6:7]
	global_load_b32 v11, v[8:9], off
	global_load_b32 v15, v[6:7], off
	s_wait_loadcnt 0x5
	v_mul_f32_e32 v2, v5, v12
	s_wait_loadcnt 0x4
	s_delay_alu instid0(VALU_DEP_1) | instskip(SKIP_2) | instid1(VALU_DEP_2)
	v_mul_f32_e32 v5, v2, v13
	v_mad_u32 v2, v4, s4, v1
	s_wait_loadcnt 0x3
	v_mul_f32_e32 v1, v5, v14
	s_wait_loadcnt 0x2
	s_delay_alu instid0(VALU_DEP_1) | instskip(NEXT) | instid1(VALU_DEP_3)
	v_dual_mul_f32 v4, v1, v10 :: v_dual_mov_b32 v1, v3
	v_lshl_add_u64 v[2:3], v[2:3], 1, s[0:1]
	s_wait_loadcnt 0x1
	s_delay_alu instid0(VALU_DEP_2) | instskip(NEXT) | instid1(VALU_DEP_2)
	v_mul_f32_e32 v4, v4, v11
	v_lshl_add_u64 v[0:1], v[0:1], 1, v[2:3]
	s_wait_loadcnt 0x0
	s_delay_alu instid0(VALU_DEP_2)
	v_fma_mixlo_f16 v4, v4, v15, 0
	global_store_b16 v[0:1], v4, off
.LBB132_4:
	s_endpgm
	.section	.rodata,"a",@progbits
	.p2align	6, 0x0
	.amdhsa_kernel _ZL19k_bin_bcast_unravelIXadL_ZL6op_mulffEE6__halffS0_JPKfS2_S2_S2_S2_S2_EEvPKT0_PKT1_PT2_15HIP_vector_typeIjLj3EESC_SC_jSC_SC_SC_SC_SC_SC_iiiiiiiiiiiDpT3_
		.amdhsa_group_segment_fixed_size 0
		.amdhsa_private_segment_fixed_size 0
		.amdhsa_kernarg_size 488
		.amdhsa_user_sgpr_count 2
		.amdhsa_user_sgpr_dispatch_ptr 0
		.amdhsa_user_sgpr_queue_ptr 0
		.amdhsa_user_sgpr_kernarg_segment_ptr 1
		.amdhsa_user_sgpr_dispatch_id 0
		.amdhsa_user_sgpr_kernarg_preload_length 0
		.amdhsa_user_sgpr_kernarg_preload_offset 0
		.amdhsa_user_sgpr_private_segment_size 0
		.amdhsa_wavefront_size32 1
		.amdhsa_uses_dynamic_stack 0
		.amdhsa_enable_private_segment 0
		.amdhsa_system_sgpr_workgroup_id_x 1
		.amdhsa_system_sgpr_workgroup_id_y 0
		.amdhsa_system_sgpr_workgroup_id_z 0
		.amdhsa_system_sgpr_workgroup_info 0
		.amdhsa_system_vgpr_workitem_id 0
		.amdhsa_next_free_vgpr 16
		.amdhsa_next_free_sgpr 27
		.amdhsa_named_barrier_count 0
		.amdhsa_reserve_vcc 1
		.amdhsa_float_round_mode_32 0
		.amdhsa_float_round_mode_16_64 0
		.amdhsa_float_denorm_mode_32 3
		.amdhsa_float_denorm_mode_16_64 3
		.amdhsa_fp16_overflow 0
		.amdhsa_memory_ordered 1
		.amdhsa_forward_progress 1
		.amdhsa_inst_pref_size 7
		.amdhsa_round_robin_scheduling 0
		.amdhsa_exception_fp_ieee_invalid_op 0
		.amdhsa_exception_fp_denorm_src 0
		.amdhsa_exception_fp_ieee_div_zero 0
		.amdhsa_exception_fp_ieee_overflow 0
		.amdhsa_exception_fp_ieee_underflow 0
		.amdhsa_exception_fp_ieee_inexact 0
		.amdhsa_exception_int_div_zero 0
	.end_amdhsa_kernel
	.section	.text._ZL19k_bin_bcast_unravelIXadL_ZL6op_mulffEE6__halffS0_JPKfS2_S2_S2_S2_S2_EEvPKT0_PKT1_PT2_15HIP_vector_typeIjLj3EESC_SC_jSC_SC_SC_SC_SC_SC_iiiiiiiiiiiDpT3_,"axG",@progbits,_ZL19k_bin_bcast_unravelIXadL_ZL6op_mulffEE6__halffS0_JPKfS2_S2_S2_S2_S2_EEvPKT0_PKT1_PT2_15HIP_vector_typeIjLj3EESC_SC_jSC_SC_SC_SC_SC_SC_iiiiiiiiiiiDpT3_,comdat
.Lfunc_end132:
	.size	_ZL19k_bin_bcast_unravelIXadL_ZL6op_mulffEE6__halffS0_JPKfS2_S2_S2_S2_S2_EEvPKT0_PKT1_PT2_15HIP_vector_typeIjLj3EESC_SC_jSC_SC_SC_SC_SC_SC_iiiiiiiiiiiDpT3_, .Lfunc_end132-_ZL19k_bin_bcast_unravelIXadL_ZL6op_mulffEE6__halffS0_JPKfS2_S2_S2_S2_S2_EEvPKT0_PKT1_PT2_15HIP_vector_typeIjLj3EESC_SC_jSC_SC_SC_SC_SC_SC_iiiiiiiiiiiDpT3_
                                        ; -- End function
	.set _ZL19k_bin_bcast_unravelIXadL_ZL6op_mulffEE6__halffS0_JPKfS2_S2_S2_S2_S2_EEvPKT0_PKT1_PT2_15HIP_vector_typeIjLj3EESC_SC_jSC_SC_SC_SC_SC_SC_iiiiiiiiiiiDpT3_.num_vgpr, 16
	.set _ZL19k_bin_bcast_unravelIXadL_ZL6op_mulffEE6__halffS0_JPKfS2_S2_S2_S2_S2_EEvPKT0_PKT1_PT2_15HIP_vector_typeIjLj3EESC_SC_jSC_SC_SC_SC_SC_SC_iiiiiiiiiiiDpT3_.num_agpr, 0
	.set _ZL19k_bin_bcast_unravelIXadL_ZL6op_mulffEE6__halffS0_JPKfS2_S2_S2_S2_S2_EEvPKT0_PKT1_PT2_15HIP_vector_typeIjLj3EESC_SC_jSC_SC_SC_SC_SC_SC_iiiiiiiiiiiDpT3_.numbered_sgpr, 27
	.set _ZL19k_bin_bcast_unravelIXadL_ZL6op_mulffEE6__halffS0_JPKfS2_S2_S2_S2_S2_EEvPKT0_PKT1_PT2_15HIP_vector_typeIjLj3EESC_SC_jSC_SC_SC_SC_SC_SC_iiiiiiiiiiiDpT3_.num_named_barrier, 0
	.set _ZL19k_bin_bcast_unravelIXadL_ZL6op_mulffEE6__halffS0_JPKfS2_S2_S2_S2_S2_EEvPKT0_PKT1_PT2_15HIP_vector_typeIjLj3EESC_SC_jSC_SC_SC_SC_SC_SC_iiiiiiiiiiiDpT3_.private_seg_size, 0
	.set _ZL19k_bin_bcast_unravelIXadL_ZL6op_mulffEE6__halffS0_JPKfS2_S2_S2_S2_S2_EEvPKT0_PKT1_PT2_15HIP_vector_typeIjLj3EESC_SC_jSC_SC_SC_SC_SC_SC_iiiiiiiiiiiDpT3_.uses_vcc, 1
	.set _ZL19k_bin_bcast_unravelIXadL_ZL6op_mulffEE6__halffS0_JPKfS2_S2_S2_S2_S2_EEvPKT0_PKT1_PT2_15HIP_vector_typeIjLj3EESC_SC_jSC_SC_SC_SC_SC_SC_iiiiiiiiiiiDpT3_.uses_flat_scratch, 0
	.set _ZL19k_bin_bcast_unravelIXadL_ZL6op_mulffEE6__halffS0_JPKfS2_S2_S2_S2_S2_EEvPKT0_PKT1_PT2_15HIP_vector_typeIjLj3EESC_SC_jSC_SC_SC_SC_SC_SC_iiiiiiiiiiiDpT3_.has_dyn_sized_stack, 0
	.set _ZL19k_bin_bcast_unravelIXadL_ZL6op_mulffEE6__halffS0_JPKfS2_S2_S2_S2_S2_EEvPKT0_PKT1_PT2_15HIP_vector_typeIjLj3EESC_SC_jSC_SC_SC_SC_SC_SC_iiiiiiiiiiiDpT3_.has_recursion, 0
	.set _ZL19k_bin_bcast_unravelIXadL_ZL6op_mulffEE6__halffS0_JPKfS2_S2_S2_S2_S2_EEvPKT0_PKT1_PT2_15HIP_vector_typeIjLj3EESC_SC_jSC_SC_SC_SC_SC_SC_iiiiiiiiiiiDpT3_.has_indirect_call, 0
	.section	.AMDGPU.csdata,"",@progbits
; Kernel info:
; codeLenInByte = 892
; TotalNumSgprs: 29
; NumVgprs: 16
; ScratchSize: 0
; MemoryBound: 0
; FloatMode: 240
; IeeeMode: 1
; LDSByteSize: 0 bytes/workgroup (compile time only)
; SGPRBlocks: 0
; VGPRBlocks: 0
; NumSGPRsForWavesPerEU: 29
; NumVGPRsForWavesPerEU: 16
; NamedBarCnt: 0
; Occupancy: 16
; WaveLimiterHint : 1
; COMPUTE_PGM_RSRC2:SCRATCH_EN: 0
; COMPUTE_PGM_RSRC2:USER_SGPR: 2
; COMPUTE_PGM_RSRC2:TRAP_HANDLER: 0
; COMPUTE_PGM_RSRC2:TGID_X_EN: 1
; COMPUTE_PGM_RSRC2:TGID_Y_EN: 0
; COMPUTE_PGM_RSRC2:TGID_Z_EN: 0
; COMPUTE_PGM_RSRC2:TIDIG_COMP_CNT: 0
	.section	.text._ZL11k_bin_bcastIXadL_ZL6op_mulffEE6__halffS0_JPKfS2_S2_S2_S2_S2_EEvPKT0_PKT1_PT2_iii15HIP_vector_typeIjLj3EESC_SC_SC_SC_iiiiiiiiiiiDpT3_,"axG",@progbits,_ZL11k_bin_bcastIXadL_ZL6op_mulffEE6__halffS0_JPKfS2_S2_S2_S2_S2_EEvPKT0_PKT1_PT2_iii15HIP_vector_typeIjLj3EESC_SC_SC_SC_iiiiiiiiiiiDpT3_,comdat
	.globl	_ZL11k_bin_bcastIXadL_ZL6op_mulffEE6__halffS0_JPKfS2_S2_S2_S2_S2_EEvPKT0_PKT1_PT2_iii15HIP_vector_typeIjLj3EESC_SC_SC_SC_iiiiiiiiiiiDpT3_ ; -- Begin function _ZL11k_bin_bcastIXadL_ZL6op_mulffEE6__halffS0_JPKfS2_S2_S2_S2_S2_EEvPKT0_PKT1_PT2_iii15HIP_vector_typeIjLj3EESC_SC_SC_SC_iiiiiiiiiiiDpT3_
	.p2align	8
	.type	_ZL11k_bin_bcastIXadL_ZL6op_mulffEE6__halffS0_JPKfS2_S2_S2_S2_S2_EEvPKT0_PKT1_PT2_iii15HIP_vector_typeIjLj3EESC_SC_SC_SC_iiiiiiiiiiiDpT3_,@function
_ZL11k_bin_bcastIXadL_ZL6op_mulffEE6__halffS0_JPKfS2_S2_S2_S2_S2_EEvPKT0_PKT1_PT2_iii15HIP_vector_typeIjLj3EESC_SC_SC_SC_iiiiiiiiiiiDpT3_: ; @_ZL11k_bin_bcastIXadL_ZL6op_mulffEE6__halffS0_JPKfS2_S2_S2_S2_S2_EEvPKT0_PKT1_PT2_iii15HIP_vector_typeIjLj3EESC_SC_SC_SC_iiiiiiiiiiiDpT3_
; %bb.0:
	s_load_b64 s[2:3], s[0:1], 0xcc
	s_bfe_u32 s5, ttmp6, 0x40014
	s_bfe_u32 s16, ttmp6, 0x40010
	s_bfe_u32 s19, ttmp6, 0x4000c
	s_lshr_b32 s4, ttmp7, 16
	s_add_co_i32 s5, s5, 1
	s_and_b32 s7, ttmp7, 0xffff
	s_load_b256 s[8:15], s[0:1], 0x18
	s_add_co_i32 s16, s16, 1
	s_add_co_i32 s19, s19, 1
	s_bfe_u32 s6, ttmp6, 0x40008
	s_mul_i32 s5, s4, s5
	s_bfe_u32 s17, ttmp6, 0x40004
	s_and_b32 s18, ttmp6, 15
	s_mul_i32 s16, s7, s16
	s_mul_i32 s19, ttmp9, s19
	s_add_co_i32 s6, s6, s5
	s_add_co_i32 s17, s17, s16
	;; [unrolled: 1-line block ×3, first 2 shown]
	v_bfe_u32 v1, v0, 20, 10
	s_wait_kmcnt 0x0
	s_lshr_b32 s5, s2, 16
	s_and_b32 s33, s2, 0xffff
	s_getreg_b32 s2, hwreg(HW_REG_IB_STS2, 6, 4)
	s_and_b32 s3, s3, 0xffff
	s_cmp_eq_u32 s2, 0
	v_and_b32_e32 v2, 0x3ff, v0
	s_cselect_b32 s2, s4, s6
	v_bfe_u32 v4, v0, 10, 10
	v_mad_u32 v3, s2, s3, v1
	s_cselect_b32 s2, ttmp9, s18
	s_cselect_b32 s3, s7, s17
	v_mad_u32 v0, s2, s33, v2
	v_mad_u32 v2, s3, s5, v4
	s_delay_alu instid0(VALU_DEP_3) | instskip(NEXT) | instid1(VALU_DEP_3)
	v_mul_hi_u32 v1, v3, s11
	v_cmp_gt_u32_e32 vcc_lo, s8, v0
	s_delay_alu instid0(VALU_DEP_3) | instskip(SKIP_2) | instid1(VALU_DEP_1)
	v_cmp_gt_u32_e64 s2, s9, v2
	s_and_b32 s2, vcc_lo, s2
	v_add_nc_u32_e32 v1, v3, v1
	v_lshrrev_b32_e32 v1, s12, v1
	s_delay_alu instid0(VALU_DEP_1) | instskip(SKIP_3) | instid1(VALU_DEP_1)
	v_mul_lo_u32 v5, v1, s13
	v_cmp_gt_u32_e64 s3, s10, v1
	s_and_b32 s2, s2, s3
	v_sub_nc_u32_e32 v3, v3, v5
	v_cmp_gt_u32_e64 s4, s13, v3
	s_and_b32 s2, s2, s4
	s_delay_alu instid0(SALU_CYCLE_1)
	s_and_saveexec_b32 s3, s2
	s_cbranch_execz .LBB133_6
; %bb.1:
	v_cmp_gt_i32_e32 vcc_lo, s8, v0
	s_and_b32 exec_lo, exec_lo, vcc_lo
	s_cbranch_execz .LBB133_6
; %bb.2:
	s_clause 0x3
	s_load_b256 s[24:31], s[0:1], 0x3c
	s_load_b32 s2, s[0:1], 0x5c
	s_load_b256 s[16:23], s[0:1], 0x60
	s_load_b96 s[36:38], s[0:1], 0x80
	s_add_nc_u64 s[4:5], s[0:1], 0xc0
	s_load_b32 s9, s[4:5], 0x0
	s_load_b32 s12, s[0:1], 0x38
	s_wait_xcnt 0x0
	s_clause 0x1
	s_load_b128 s[4:7], s[0:1], 0xb0
	s_load_b64 s[10:11], s[0:1], 0x10
	s_wait_kmcnt 0x0
	v_mul_hi_u32 v4, s30, v3
	v_mul_hi_u32 v5, s27, v1
	;; [unrolled: 1-line block ×3, first 2 shown]
	v_mul_lo_u32 v7, v2, s20
	v_mul_lo_u32 v8, v2, s16
	s_delay_alu instid0(VALU_DEP_4) | instskip(NEXT) | instid1(VALU_DEP_3)
	v_dual_add_nc_u32 v4, v3, v4 :: v_dual_add_nc_u32 v5, v1, v5
	v_mad_u32 v7, v1, s21, v7
	s_delay_alu instid0(VALU_DEP_3) | instskip(NEXT) | instid1(VALU_DEP_3)
	v_mad_u32 v8, v1, s17, v8
	v_dual_lshrrev_b32 v4, s31, v4 :: v_dual_lshrrev_b32 v5, s28, v5
	s_delay_alu instid0(VALU_DEP_1) | instskip(SKIP_1) | instid1(VALU_DEP_3)
	v_mul_lo_u32 v4, v4, s2
	v_add_nc_u32_e32 v6, v2, v6
	v_mul_lo_u32 v5, v5, s29
	s_load_b64 s[2:3], s[0:1], 0x0
	v_mad_u32 v8, v3, s18, v8
	s_delay_alu instid0(VALU_DEP_3) | instskip(NEXT) | instid1(VALU_DEP_3)
	v_dual_sub_nc_u32 v4, v3, v4 :: v_dual_lshrrev_b32 v6, s25, v6
	v_sub_nc_u32_e32 v5, v1, v5
	s_delay_alu instid0(VALU_DEP_2) | instskip(NEXT) | instid1(VALU_DEP_3)
	v_mul_lo_u32 v9, v4, s38
	v_mul_lo_u32 v6, v6, s26
	v_mad_u32 v4, v3, s22, v7
	s_load_b256 s[24:31], s[0:1], 0x90
	v_mov_b32_e32 v1, 0
	s_wait_xcnt 0x0
	s_mov_b32 s1, 0
	s_mov_b32 s0, s14
	s_wait_kmcnt 0x0
	s_cmp_lg_u64 s[2:3], 0
	s_delay_alu instid0(VALU_DEP_4) | instskip(NEXT) | instid1(VALU_DEP_4)
	v_mad_u32 v7, v5, s37, v9
	v_sub_nc_u32_e32 v2, v2, v6
	v_mul_lo_u32 v6, s19, v0
	v_dual_mov_b32 v5, v1 :: v_dual_mov_b32 v9, v1
	v_mov_b32_e32 v3, v1
	s_delay_alu instid0(VALU_DEP_2) | instskip(NEXT) | instid1(VALU_DEP_3)
	v_lshl_add_u64 v[4:5], v[4:5], 1, s[2:3]
	v_lshl_add_u64 v[8:9], v[8:9], 1, s[10:11]
	s_mul_i32 s2, s9, s33
	v_mad_u32 v2, v2, s36, v7
	s_cselect_b32 s3, -1, 0
	s_mul_i32 s9, s2, s19
	s_sub_co_i32 s10, 0, s12
	s_mov_b32 s11, s1
	s_branch .LBB133_4
.LBB133_3:                              ;   in Loop: Header=BB133_4 Depth=1
	s_wait_xcnt 0x0
	v_mul_u64_e32 v[10:11], s[0:1], v[0:1]
	s_delay_alu instid0(VALU_DEP_1) | instskip(NEXT) | instid1(VALU_DEP_1)
	v_dual_add_nc_u32 v6, s9, v6 :: v_dual_add_nc_u32 v10, v0, v11
	v_dual_mov_b32 v11, v1 :: v_dual_lshrrev_b32 v10, s15, v10
	s_delay_alu instid0(VALU_DEP_1) | instskip(NEXT) | instid1(VALU_DEP_1)
	v_mad_u32 v10, s10, v10, v0
	v_mul_lo_u32 v10, v10, s23
	s_delay_alu instid0(VALU_DEP_1) | instskip(NEXT) | instid1(VALU_DEP_1)
	v_add_nc_u64_e32 v[10:11], v[10:11], v[2:3]
	v_lshlrev_b64_e32 v[10:11], 2, v[10:11]
	s_delay_alu instid0(VALU_DEP_1)
	v_add_nc_u64_e32 v[12:13], s[24:25], v[10:11]
	v_add_nc_u64_e32 v[14:15], s[26:27], v[10:11]
	global_load_b32 v16, v[12:13], off
	s_wait_xcnt 0x0
	v_add_nc_u64_e32 v[12:13], s[28:29], v[10:11]
	global_load_b32 v17, v[14:15], off
	s_wait_xcnt 0x0
	;; [unrolled: 3-line block ×3, first 2 shown]
	v_add_nc_u64_e32 v[12:13], s[4:5], v[10:11]
	global_load_b32 v14, v[14:15], off
	v_add_nc_u64_e32 v[10:11], s[6:7], v[10:11]
	global_load_b32 v15, v[12:13], off
	global_load_b32 v19, v[10:11], off
	s_wait_xcnt 0x0
	v_dual_mov_b32 v10, v0 :: v_dual_ashrrev_i32 v11, 31, v0
	v_add_nc_u32_e32 v0, s2, v0
	s_delay_alu instid0(VALU_DEP_2) | instskip(NEXT) | instid1(VALU_DEP_2)
	v_lshl_add_u64 v[10:11], v[10:11], 1, v[8:9]
	v_cmp_le_i32_e32 vcc_lo, s8, v0
	s_or_b32 s11, vcc_lo, s11
	s_wait_loadcnt 0x5
	v_mul_f32_e32 v7, v7, v16
	s_wait_loadcnt 0x4
	s_delay_alu instid0(VALU_DEP_1) | instskip(SKIP_1) | instid1(VALU_DEP_1)
	v_mul_f32_e32 v7, v7, v17
	s_wait_loadcnt 0x3
	v_mul_f32_e32 v7, v7, v18
	s_wait_loadcnt 0x2
	s_delay_alu instid0(VALU_DEP_1) | instskip(SKIP_1) | instid1(VALU_DEP_1)
	v_mul_f32_e32 v7, v7, v14
	s_wait_loadcnt 0x1
	v_mul_f32_e32 v7, v7, v15
	s_wait_loadcnt 0x0
	s_delay_alu instid0(VALU_DEP_1)
	v_fma_mixlo_f16 v7, v7, v19, 0
	global_store_b16 v[10:11], v7, off
	s_wait_xcnt 0x0
	s_and_not1_b32 exec_lo, exec_lo, s11
	s_cbranch_execz .LBB133_6
.LBB133_4:                              ; =>This Inner Loop Header: Depth=1
	v_mov_b32_e32 v7, 0
	s_and_not1_b32 vcc_lo, exec_lo, s3
	s_cbranch_vccnz .LBB133_3
; %bb.5:                                ;   in Loop: Header=BB133_4 Depth=1
	v_ashrrev_i32_e32 v7, 31, v6
	s_delay_alu instid0(VALU_DEP_1)
	v_lshl_add_u64 v[10:11], v[6:7], 1, v[4:5]
	global_load_u16 v7, v[10:11], off
	s_wait_loadcnt 0x0
	v_cvt_f32_f16_e32 v7, v7
	s_branch .LBB133_3
.LBB133_6:
	s_endpgm
	.section	.rodata,"a",@progbits
	.p2align	6, 0x0
	.amdhsa_kernel _ZL11k_bin_bcastIXadL_ZL6op_mulffEE6__halffS0_JPKfS2_S2_S2_S2_S2_EEvPKT0_PKT1_PT2_iii15HIP_vector_typeIjLj3EESC_SC_SC_SC_iiiiiiiiiiiDpT3_
		.amdhsa_group_segment_fixed_size 0
		.amdhsa_private_segment_fixed_size 0
		.amdhsa_kernarg_size 448
		.amdhsa_user_sgpr_count 2
		.amdhsa_user_sgpr_dispatch_ptr 0
		.amdhsa_user_sgpr_queue_ptr 0
		.amdhsa_user_sgpr_kernarg_segment_ptr 1
		.amdhsa_user_sgpr_dispatch_id 0
		.amdhsa_user_sgpr_kernarg_preload_length 0
		.amdhsa_user_sgpr_kernarg_preload_offset 0
		.amdhsa_user_sgpr_private_segment_size 0
		.amdhsa_wavefront_size32 1
		.amdhsa_uses_dynamic_stack 0
		.amdhsa_enable_private_segment 0
		.amdhsa_system_sgpr_workgroup_id_x 1
		.amdhsa_system_sgpr_workgroup_id_y 1
		.amdhsa_system_sgpr_workgroup_id_z 1
		.amdhsa_system_sgpr_workgroup_info 0
		.amdhsa_system_vgpr_workitem_id 2
		.amdhsa_next_free_vgpr 20
		.amdhsa_next_free_sgpr 39
		.amdhsa_named_barrier_count 0
		.amdhsa_reserve_vcc 1
		.amdhsa_float_round_mode_32 0
		.amdhsa_float_round_mode_16_64 0
		.amdhsa_float_denorm_mode_32 3
		.amdhsa_float_denorm_mode_16_64 3
		.amdhsa_fp16_overflow 0
		.amdhsa_memory_ordered 1
		.amdhsa_forward_progress 1
		.amdhsa_inst_pref_size 9
		.amdhsa_round_robin_scheduling 0
		.amdhsa_exception_fp_ieee_invalid_op 0
		.amdhsa_exception_fp_denorm_src 0
		.amdhsa_exception_fp_ieee_div_zero 0
		.amdhsa_exception_fp_ieee_overflow 0
		.amdhsa_exception_fp_ieee_underflow 0
		.amdhsa_exception_fp_ieee_inexact 0
		.amdhsa_exception_int_div_zero 0
	.end_amdhsa_kernel
	.section	.text._ZL11k_bin_bcastIXadL_ZL6op_mulffEE6__halffS0_JPKfS2_S2_S2_S2_S2_EEvPKT0_PKT1_PT2_iii15HIP_vector_typeIjLj3EESC_SC_SC_SC_iiiiiiiiiiiDpT3_,"axG",@progbits,_ZL11k_bin_bcastIXadL_ZL6op_mulffEE6__halffS0_JPKfS2_S2_S2_S2_S2_EEvPKT0_PKT1_PT2_iii15HIP_vector_typeIjLj3EESC_SC_SC_SC_iiiiiiiiiiiDpT3_,comdat
.Lfunc_end133:
	.size	_ZL11k_bin_bcastIXadL_ZL6op_mulffEE6__halffS0_JPKfS2_S2_S2_S2_S2_EEvPKT0_PKT1_PT2_iii15HIP_vector_typeIjLj3EESC_SC_SC_SC_iiiiiiiiiiiDpT3_, .Lfunc_end133-_ZL11k_bin_bcastIXadL_ZL6op_mulffEE6__halffS0_JPKfS2_S2_S2_S2_S2_EEvPKT0_PKT1_PT2_iii15HIP_vector_typeIjLj3EESC_SC_SC_SC_iiiiiiiiiiiDpT3_
                                        ; -- End function
	.set _ZL11k_bin_bcastIXadL_ZL6op_mulffEE6__halffS0_JPKfS2_S2_S2_S2_S2_EEvPKT0_PKT1_PT2_iii15HIP_vector_typeIjLj3EESC_SC_SC_SC_iiiiiiiiiiiDpT3_.num_vgpr, 20
	.set _ZL11k_bin_bcastIXadL_ZL6op_mulffEE6__halffS0_JPKfS2_S2_S2_S2_S2_EEvPKT0_PKT1_PT2_iii15HIP_vector_typeIjLj3EESC_SC_SC_SC_iiiiiiiiiiiDpT3_.num_agpr, 0
	.set _ZL11k_bin_bcastIXadL_ZL6op_mulffEE6__halffS0_JPKfS2_S2_S2_S2_S2_EEvPKT0_PKT1_PT2_iii15HIP_vector_typeIjLj3EESC_SC_SC_SC_iiiiiiiiiiiDpT3_.numbered_sgpr, 39
	.set _ZL11k_bin_bcastIXadL_ZL6op_mulffEE6__halffS0_JPKfS2_S2_S2_S2_S2_EEvPKT0_PKT1_PT2_iii15HIP_vector_typeIjLj3EESC_SC_SC_SC_iiiiiiiiiiiDpT3_.num_named_barrier, 0
	.set _ZL11k_bin_bcastIXadL_ZL6op_mulffEE6__halffS0_JPKfS2_S2_S2_S2_S2_EEvPKT0_PKT1_PT2_iii15HIP_vector_typeIjLj3EESC_SC_SC_SC_iiiiiiiiiiiDpT3_.private_seg_size, 0
	.set _ZL11k_bin_bcastIXadL_ZL6op_mulffEE6__halffS0_JPKfS2_S2_S2_S2_S2_EEvPKT0_PKT1_PT2_iii15HIP_vector_typeIjLj3EESC_SC_SC_SC_iiiiiiiiiiiDpT3_.uses_vcc, 1
	.set _ZL11k_bin_bcastIXadL_ZL6op_mulffEE6__halffS0_JPKfS2_S2_S2_S2_S2_EEvPKT0_PKT1_PT2_iii15HIP_vector_typeIjLj3EESC_SC_SC_SC_iiiiiiiiiiiDpT3_.uses_flat_scratch, 0
	.set _ZL11k_bin_bcastIXadL_ZL6op_mulffEE6__halffS0_JPKfS2_S2_S2_S2_S2_EEvPKT0_PKT1_PT2_iii15HIP_vector_typeIjLj3EESC_SC_SC_SC_iiiiiiiiiiiDpT3_.has_dyn_sized_stack, 0
	.set _ZL11k_bin_bcastIXadL_ZL6op_mulffEE6__halffS0_JPKfS2_S2_S2_S2_S2_EEvPKT0_PKT1_PT2_iii15HIP_vector_typeIjLj3EESC_SC_SC_SC_iiiiiiiiiiiDpT3_.has_recursion, 0
	.set _ZL11k_bin_bcastIXadL_ZL6op_mulffEE6__halffS0_JPKfS2_S2_S2_S2_S2_EEvPKT0_PKT1_PT2_iii15HIP_vector_typeIjLj3EESC_SC_SC_SC_iiiiiiiiiiiDpT3_.has_indirect_call, 0
	.section	.AMDGPU.csdata,"",@progbits
; Kernel info:
; codeLenInByte = 1048
; TotalNumSgprs: 41
; NumVgprs: 20
; ScratchSize: 0
; MemoryBound: 0
; FloatMode: 240
; IeeeMode: 1
; LDSByteSize: 0 bytes/workgroup (compile time only)
; SGPRBlocks: 0
; VGPRBlocks: 1
; NumSGPRsForWavesPerEU: 41
; NumVGPRsForWavesPerEU: 20
; NamedBarCnt: 0
; Occupancy: 16
; WaveLimiterHint : 1
; COMPUTE_PGM_RSRC2:SCRATCH_EN: 0
; COMPUTE_PGM_RSRC2:USER_SGPR: 2
; COMPUTE_PGM_RSRC2:TRAP_HANDLER: 0
; COMPUTE_PGM_RSRC2:TGID_X_EN: 1
; COMPUTE_PGM_RSRC2:TGID_Y_EN: 1
; COMPUTE_PGM_RSRC2:TGID_Z_EN: 1
; COMPUTE_PGM_RSRC2:TIDIG_COMP_CNT: 2
	.section	.text._ZL19k_bin_bcast_unravelIXadL_ZL6op_mulffEE6__halfffJPKfS2_S2_S2_S2_S2_EEvPKT0_PKT1_PT2_15HIP_vector_typeIjLj3EESC_SC_jSC_SC_SC_SC_SC_SC_iiiiiiiiiiiDpT3_,"axG",@progbits,_ZL19k_bin_bcast_unravelIXadL_ZL6op_mulffEE6__halfffJPKfS2_S2_S2_S2_S2_EEvPKT0_PKT1_PT2_15HIP_vector_typeIjLj3EESC_SC_jSC_SC_SC_SC_SC_SC_iiiiiiiiiiiDpT3_,comdat
	.globl	_ZL19k_bin_bcast_unravelIXadL_ZL6op_mulffEE6__halfffJPKfS2_S2_S2_S2_S2_EEvPKT0_PKT1_PT2_15HIP_vector_typeIjLj3EESC_SC_jSC_SC_SC_SC_SC_SC_iiiiiiiiiiiDpT3_ ; -- Begin function _ZL19k_bin_bcast_unravelIXadL_ZL6op_mulffEE6__halfffJPKfS2_S2_S2_S2_S2_EEvPKT0_PKT1_PT2_15HIP_vector_typeIjLj3EESC_SC_jSC_SC_SC_SC_SC_SC_iiiiiiiiiiiDpT3_
	.p2align	8
	.type	_ZL19k_bin_bcast_unravelIXadL_ZL6op_mulffEE6__halfffJPKfS2_S2_S2_S2_S2_EEvPKT0_PKT1_PT2_15HIP_vector_typeIjLj3EESC_SC_jSC_SC_SC_SC_SC_SC_iiiiiiiiiiiDpT3_,@function
_ZL19k_bin_bcast_unravelIXadL_ZL6op_mulffEE6__halfffJPKfS2_S2_S2_S2_S2_EEvPKT0_PKT1_PT2_15HIP_vector_typeIjLj3EESC_SC_jSC_SC_SC_SC_SC_SC_iiiiiiiiiiiDpT3_: ; @_ZL19k_bin_bcast_unravelIXadL_ZL6op_mulffEE6__halfffJPKfS2_S2_S2_S2_S2_EEvPKT0_PKT1_PT2_15HIP_vector_typeIjLj3EESC_SC_jSC_SC_SC_SC_SC_SC_iiiiiiiiiiiDpT3_
; %bb.0:
	s_load_b32 s2, s[0:1], 0xf4
	s_bfe_u32 s3, ttmp6, 0x4000c
	s_load_b256 s[4:11], s[0:1], 0x38
	s_add_co_i32 s3, s3, 1
	s_and_b32 s12, ttmp6, 15
	s_mul_i32 s3, ttmp9, s3
	s_getreg_b32 s13, hwreg(HW_REG_IB_STS2, 6, 4)
	s_add_co_i32 s12, s12, s3
	s_wait_kmcnt 0x0
	s_and_b32 s2, s2, 0xffff
	s_cmp_eq_u32 s13, 0
	s_cselect_b32 s3, ttmp9, s12
	s_delay_alu instid0(SALU_CYCLE_1) | instskip(SKIP_1) | instid1(VALU_DEP_1)
	v_mad_u32 v0, s3, s2, v0
	s_load_b32 s2, s[0:1], 0x2c
	v_mul_hi_u32 v1, v0, s6
	s_delay_alu instid0(VALU_DEP_1) | instskip(NEXT) | instid1(VALU_DEP_1)
	v_add_nc_u32_e32 v1, v0, v1
	v_lshrrev_b32_e32 v1, s7, v1
	s_delay_alu instid0(VALU_DEP_1) | instskip(NEXT) | instid1(VALU_DEP_1)
	v_mul_lo_u32 v2, v1, s8
	v_sub_nc_u32_e32 v0, v0, v2
	s_delay_alu instid0(VALU_DEP_1) | instskip(NEXT) | instid1(VALU_DEP_1)
	v_mul_hi_u32 v2, v0, s9
	v_add_nc_u32_e32 v2, v0, v2
	s_delay_alu instid0(VALU_DEP_1) | instskip(SKIP_1) | instid1(VALU_DEP_1)
	v_lshrrev_b32_e32 v2, s10, v2
	s_load_b96 s[8:10], s[0:1], 0x18
	v_mul_lo_u32 v3, v2, s11
	s_delay_alu instid0(VALU_DEP_1) | instskip(SKIP_3) | instid1(VALU_DEP_3)
	v_sub_nc_u32_e32 v0, v0, v3
	v_cmp_gt_u32_e64 s3, s4, v2
	v_cmp_gt_u32_e64 s4, s5, v1
	s_wait_kmcnt 0x0
	v_mul_hi_u32 v3, v0, s8
	s_delay_alu instid0(VALU_DEP_1) | instskip(NEXT) | instid1(VALU_DEP_1)
	v_add_nc_u32_e32 v3, v0, v3
	v_lshrrev_b32_e32 v4, s9, v3
	s_delay_alu instid0(VALU_DEP_1) | instskip(NEXT) | instid1(VALU_DEP_1)
	v_mul_lo_u32 v3, v4, s10
	v_sub_nc_u32_e32 v0, v0, v3
	v_cmp_gt_u32_e64 s2, s2, v4
	s_delay_alu instid0(VALU_DEP_2) | instskip(SKIP_1) | instid1(SALU_CYCLE_1)
	v_cmp_gt_u32_e32 vcc_lo, s10, v0
	s_and_b32 s2, vcc_lo, s2
	s_and_b32 s2, s2, s3
	s_delay_alu instid0(SALU_CYCLE_1) | instskip(NEXT) | instid1(SALU_CYCLE_1)
	s_and_b32 s2, s4, s2
	s_and_saveexec_b32 s3, s2
	s_cbranch_execz .LBB134_4
; %bb.1:
	s_clause 0x4
	s_load_b64 s[2:3], s[0:1], 0x0
	s_load_b96 s[24:26], s[0:1], 0xa8
	s_load_b256 s[4:11], s[0:1], 0x88
	s_load_b128 s[20:23], s[0:1], 0x78
	s_load_b256 s[12:19], s[0:1], 0x58
	v_dual_mov_b32 v3, 0 :: v_dual_mov_b32 v5, 0
	s_wait_kmcnt 0x0
	s_cmp_eq_u64 s[2:3], 0
	s_cbranch_scc1 .LBB134_3
; %bb.2:
	v_mul_lo_u32 v5, v1, s10
	v_mov_b32_e32 v7, 0
	s_delay_alu instid0(VALU_DEP_2) | instskip(NEXT) | instid1(VALU_DEP_1)
	v_mad_u32 v5, v2, s9, v5
	v_mad_u32 v6, v4, s8, v5
	s_delay_alu instid0(VALU_DEP_1) | instskip(SKIP_1) | instid1(VALU_DEP_1)
	v_lshl_add_u64 v[8:9], v[6:7], 1, s[2:3]
	v_mul_lo_u32 v6, v0, s7
	v_lshl_add_u64 v[6:7], v[6:7], 1, v[8:9]
	global_load_u16 v5, v[6:7], off
	s_wait_loadcnt 0x0
	v_cvt_f32_f16_e32 v5, v5
.LBB134_3:
	v_mul_hi_u32 v6, s21, v1
	v_mul_hi_u32 v7, s18, v2
	;; [unrolled: 1-line block ×4, first 2 shown]
	s_delay_alu instid0(VALU_DEP_3) | instskip(NEXT) | instid1(VALU_DEP_1)
	v_dual_add_nc_u32 v6, v1, v6 :: v_dual_add_nc_u32 v7, v2, v7
	v_dual_lshrrev_b32 v6, s22, v6 :: v_dual_lshrrev_b32 v7, s19, v7
	s_delay_alu instid0(VALU_DEP_1) | instskip(SKIP_1) | instid1(VALU_DEP_3)
	v_mul_lo_u32 v6, v6, s23
	v_add_nc_u32_e32 v8, v4, v8
	v_mul_lo_u32 v7, v7, s20
	s_delay_alu instid0(VALU_DEP_3) | instskip(NEXT) | instid1(VALU_DEP_3)
	v_dual_sub_nc_u32 v6, v1, v6 :: v_dual_add_nc_u32 v9, v0, v9
	v_lshrrev_b32_e32 v8, s16, v8
	v_mul_lo_u32 v1, v1, s6
	s_delay_alu instid0(VALU_DEP_4) | instskip(NEXT) | instid1(VALU_DEP_4)
	v_sub_nc_u32_e32 v7, v2, v7
	v_mul_lo_u32 v6, v6, s26
	v_lshrrev_b32_e32 v9, s13, v9
	v_mul_lo_u32 v8, v8, s17
	s_load_b128 s[16:19], s[0:1], 0xd8
	s_delay_alu instid0(VALU_DEP_2) | instskip(SKIP_2) | instid1(VALU_DEP_4)
	v_mul_lo_u32 v9, v9, s14
	v_mad_u32 v1, v2, s5, v1
	v_mad_u32 v7, v7, s25, v6
	v_sub_nc_u32_e32 v8, v4, v8
	s_delay_alu instid0(VALU_DEP_1) | instskip(NEXT) | instid1(VALU_DEP_1)
	v_mad_u32 v8, v8, s24, v7
	v_dual_sub_nc_u32 v6, v0, v9 :: v_dual_ashrrev_i32 v9, 31, v8
	s_delay_alu instid0(VALU_DEP_1) | instskip(SKIP_1) | instid1(VALU_DEP_1)
	v_mul_lo_u32 v6, v6, s11
	s_load_b256 s[8:15], s[0:1], 0xb8
	v_ashrrev_i32_e32 v7, 31, v6
	s_wait_xcnt 0x0
	s_load_b64 s[0:1], s[0:1], 0x10
	s_delay_alu instid0(VALU_DEP_1) | instskip(NEXT) | instid1(VALU_DEP_1)
	v_add_nc_u64_e32 v[6:7], v[6:7], v[8:9]
	v_lshlrev_b64_e32 v[6:7], 2, v[6:7]
	s_wait_kmcnt 0x0
	s_delay_alu instid0(VALU_DEP_1)
	v_add_nc_u64_e32 v[8:9], s[8:9], v[6:7]
	v_add_nc_u64_e32 v[10:11], s[10:11], v[6:7]
	global_load_b32 v12, v[8:9], off
	s_wait_xcnt 0x0
	v_add_nc_u64_e32 v[8:9], s[12:13], v[6:7]
	global_load_b32 v13, v[10:11], off
	s_wait_xcnt 0x0
	v_add_nc_u64_e32 v[10:11], s[14:15], v[6:7]
	global_load_b32 v14, v[8:9], off
	s_wait_xcnt 0x0
	v_add_nc_u64_e32 v[8:9], s[16:17], v[6:7]
	global_load_b32 v10, v[10:11], off
	v_add_nc_u64_e32 v[6:7], s[18:19], v[6:7]
	global_load_b32 v11, v[8:9], off
	global_load_b32 v15, v[6:7], off
	s_wait_loadcnt 0x5
	v_mul_f32_e32 v2, v5, v12
	s_wait_loadcnt 0x4
	s_delay_alu instid0(VALU_DEP_1) | instskip(SKIP_2) | instid1(VALU_DEP_2)
	v_mul_f32_e32 v5, v2, v13
	v_mad_u32 v2, v4, s4, v1
	s_wait_loadcnt 0x3
	v_mul_f32_e32 v1, v5, v14
	s_wait_loadcnt 0x2
	s_delay_alu instid0(VALU_DEP_1) | instskip(NEXT) | instid1(VALU_DEP_3)
	v_dual_mul_f32 v4, v1, v10 :: v_dual_mov_b32 v1, v3
	v_lshl_add_u64 v[2:3], v[2:3], 2, s[0:1]
	s_wait_loadcnt 0x1
	s_delay_alu instid0(VALU_DEP_2) | instskip(NEXT) | instid1(VALU_DEP_2)
	v_mul_f32_e32 v4, v4, v11
	v_lshl_add_u64 v[0:1], v[0:1], 2, v[2:3]
	s_wait_loadcnt 0x0
	s_delay_alu instid0(VALU_DEP_2)
	v_mul_f32_e32 v4, v4, v15
	global_store_b32 v[0:1], v4, off
.LBB134_4:
	s_endpgm
	.section	.rodata,"a",@progbits
	.p2align	6, 0x0
	.amdhsa_kernel _ZL19k_bin_bcast_unravelIXadL_ZL6op_mulffEE6__halfffJPKfS2_S2_S2_S2_S2_EEvPKT0_PKT1_PT2_15HIP_vector_typeIjLj3EESC_SC_jSC_SC_SC_SC_SC_SC_iiiiiiiiiiiDpT3_
		.amdhsa_group_segment_fixed_size 0
		.amdhsa_private_segment_fixed_size 0
		.amdhsa_kernarg_size 488
		.amdhsa_user_sgpr_count 2
		.amdhsa_user_sgpr_dispatch_ptr 0
		.amdhsa_user_sgpr_queue_ptr 0
		.amdhsa_user_sgpr_kernarg_segment_ptr 1
		.amdhsa_user_sgpr_dispatch_id 0
		.amdhsa_user_sgpr_kernarg_preload_length 0
		.amdhsa_user_sgpr_kernarg_preload_offset 0
		.amdhsa_user_sgpr_private_segment_size 0
		.amdhsa_wavefront_size32 1
		.amdhsa_uses_dynamic_stack 0
		.amdhsa_enable_private_segment 0
		.amdhsa_system_sgpr_workgroup_id_x 1
		.amdhsa_system_sgpr_workgroup_id_y 0
		.amdhsa_system_sgpr_workgroup_id_z 0
		.amdhsa_system_sgpr_workgroup_info 0
		.amdhsa_system_vgpr_workitem_id 0
		.amdhsa_next_free_vgpr 16
		.amdhsa_next_free_sgpr 27
		.amdhsa_named_barrier_count 0
		.amdhsa_reserve_vcc 1
		.amdhsa_float_round_mode_32 0
		.amdhsa_float_round_mode_16_64 0
		.amdhsa_float_denorm_mode_32 3
		.amdhsa_float_denorm_mode_16_64 3
		.amdhsa_fp16_overflow 0
		.amdhsa_memory_ordered 1
		.amdhsa_forward_progress 1
		.amdhsa_inst_pref_size 7
		.amdhsa_round_robin_scheduling 0
		.amdhsa_exception_fp_ieee_invalid_op 0
		.amdhsa_exception_fp_denorm_src 0
		.amdhsa_exception_fp_ieee_div_zero 0
		.amdhsa_exception_fp_ieee_overflow 0
		.amdhsa_exception_fp_ieee_underflow 0
		.amdhsa_exception_fp_ieee_inexact 0
		.amdhsa_exception_int_div_zero 0
	.end_amdhsa_kernel
	.section	.text._ZL19k_bin_bcast_unravelIXadL_ZL6op_mulffEE6__halfffJPKfS2_S2_S2_S2_S2_EEvPKT0_PKT1_PT2_15HIP_vector_typeIjLj3EESC_SC_jSC_SC_SC_SC_SC_SC_iiiiiiiiiiiDpT3_,"axG",@progbits,_ZL19k_bin_bcast_unravelIXadL_ZL6op_mulffEE6__halfffJPKfS2_S2_S2_S2_S2_EEvPKT0_PKT1_PT2_15HIP_vector_typeIjLj3EESC_SC_jSC_SC_SC_SC_SC_SC_iiiiiiiiiiiDpT3_,comdat
.Lfunc_end134:
	.size	_ZL19k_bin_bcast_unravelIXadL_ZL6op_mulffEE6__halfffJPKfS2_S2_S2_S2_S2_EEvPKT0_PKT1_PT2_15HIP_vector_typeIjLj3EESC_SC_jSC_SC_SC_SC_SC_SC_iiiiiiiiiiiDpT3_, .Lfunc_end134-_ZL19k_bin_bcast_unravelIXadL_ZL6op_mulffEE6__halfffJPKfS2_S2_S2_S2_S2_EEvPKT0_PKT1_PT2_15HIP_vector_typeIjLj3EESC_SC_jSC_SC_SC_SC_SC_SC_iiiiiiiiiiiDpT3_
                                        ; -- End function
	.set _ZL19k_bin_bcast_unravelIXadL_ZL6op_mulffEE6__halfffJPKfS2_S2_S2_S2_S2_EEvPKT0_PKT1_PT2_15HIP_vector_typeIjLj3EESC_SC_jSC_SC_SC_SC_SC_SC_iiiiiiiiiiiDpT3_.num_vgpr, 16
	.set _ZL19k_bin_bcast_unravelIXadL_ZL6op_mulffEE6__halfffJPKfS2_S2_S2_S2_S2_EEvPKT0_PKT1_PT2_15HIP_vector_typeIjLj3EESC_SC_jSC_SC_SC_SC_SC_SC_iiiiiiiiiiiDpT3_.num_agpr, 0
	.set _ZL19k_bin_bcast_unravelIXadL_ZL6op_mulffEE6__halfffJPKfS2_S2_S2_S2_S2_EEvPKT0_PKT1_PT2_15HIP_vector_typeIjLj3EESC_SC_jSC_SC_SC_SC_SC_SC_iiiiiiiiiiiDpT3_.numbered_sgpr, 27
	.set _ZL19k_bin_bcast_unravelIXadL_ZL6op_mulffEE6__halfffJPKfS2_S2_S2_S2_S2_EEvPKT0_PKT1_PT2_15HIP_vector_typeIjLj3EESC_SC_jSC_SC_SC_SC_SC_SC_iiiiiiiiiiiDpT3_.num_named_barrier, 0
	.set _ZL19k_bin_bcast_unravelIXadL_ZL6op_mulffEE6__halfffJPKfS2_S2_S2_S2_S2_EEvPKT0_PKT1_PT2_15HIP_vector_typeIjLj3EESC_SC_jSC_SC_SC_SC_SC_SC_iiiiiiiiiiiDpT3_.private_seg_size, 0
	.set _ZL19k_bin_bcast_unravelIXadL_ZL6op_mulffEE6__halfffJPKfS2_S2_S2_S2_S2_EEvPKT0_PKT1_PT2_15HIP_vector_typeIjLj3EESC_SC_jSC_SC_SC_SC_SC_SC_iiiiiiiiiiiDpT3_.uses_vcc, 1
	.set _ZL19k_bin_bcast_unravelIXadL_ZL6op_mulffEE6__halfffJPKfS2_S2_S2_S2_S2_EEvPKT0_PKT1_PT2_15HIP_vector_typeIjLj3EESC_SC_jSC_SC_SC_SC_SC_SC_iiiiiiiiiiiDpT3_.uses_flat_scratch, 0
	.set _ZL19k_bin_bcast_unravelIXadL_ZL6op_mulffEE6__halfffJPKfS2_S2_S2_S2_S2_EEvPKT0_PKT1_PT2_15HIP_vector_typeIjLj3EESC_SC_jSC_SC_SC_SC_SC_SC_iiiiiiiiiiiDpT3_.has_dyn_sized_stack, 0
	.set _ZL19k_bin_bcast_unravelIXadL_ZL6op_mulffEE6__halfffJPKfS2_S2_S2_S2_S2_EEvPKT0_PKT1_PT2_15HIP_vector_typeIjLj3EESC_SC_jSC_SC_SC_SC_SC_SC_iiiiiiiiiiiDpT3_.has_recursion, 0
	.set _ZL19k_bin_bcast_unravelIXadL_ZL6op_mulffEE6__halfffJPKfS2_S2_S2_S2_S2_EEvPKT0_PKT1_PT2_15HIP_vector_typeIjLj3EESC_SC_jSC_SC_SC_SC_SC_SC_iiiiiiiiiiiDpT3_.has_indirect_call, 0
	.section	.AMDGPU.csdata,"",@progbits
; Kernel info:
; codeLenInByte = 888
; TotalNumSgprs: 29
; NumVgprs: 16
; ScratchSize: 0
; MemoryBound: 0
; FloatMode: 240
; IeeeMode: 1
; LDSByteSize: 0 bytes/workgroup (compile time only)
; SGPRBlocks: 0
; VGPRBlocks: 0
; NumSGPRsForWavesPerEU: 29
; NumVGPRsForWavesPerEU: 16
; NamedBarCnt: 0
; Occupancy: 16
; WaveLimiterHint : 1
; COMPUTE_PGM_RSRC2:SCRATCH_EN: 0
; COMPUTE_PGM_RSRC2:USER_SGPR: 2
; COMPUTE_PGM_RSRC2:TRAP_HANDLER: 0
; COMPUTE_PGM_RSRC2:TGID_X_EN: 1
; COMPUTE_PGM_RSRC2:TGID_Y_EN: 0
; COMPUTE_PGM_RSRC2:TGID_Z_EN: 0
; COMPUTE_PGM_RSRC2:TIDIG_COMP_CNT: 0
	.section	.text._ZL11k_bin_bcastIXadL_ZL6op_mulffEE6__halfffJPKfS2_S2_S2_S2_S2_EEvPKT0_PKT1_PT2_iii15HIP_vector_typeIjLj3EESC_SC_SC_SC_iiiiiiiiiiiDpT3_,"axG",@progbits,_ZL11k_bin_bcastIXadL_ZL6op_mulffEE6__halfffJPKfS2_S2_S2_S2_S2_EEvPKT0_PKT1_PT2_iii15HIP_vector_typeIjLj3EESC_SC_SC_SC_iiiiiiiiiiiDpT3_,comdat
	.globl	_ZL11k_bin_bcastIXadL_ZL6op_mulffEE6__halfffJPKfS2_S2_S2_S2_S2_EEvPKT0_PKT1_PT2_iii15HIP_vector_typeIjLj3EESC_SC_SC_SC_iiiiiiiiiiiDpT3_ ; -- Begin function _ZL11k_bin_bcastIXadL_ZL6op_mulffEE6__halfffJPKfS2_S2_S2_S2_S2_EEvPKT0_PKT1_PT2_iii15HIP_vector_typeIjLj3EESC_SC_SC_SC_iiiiiiiiiiiDpT3_
	.p2align	8
	.type	_ZL11k_bin_bcastIXadL_ZL6op_mulffEE6__halfffJPKfS2_S2_S2_S2_S2_EEvPKT0_PKT1_PT2_iii15HIP_vector_typeIjLj3EESC_SC_SC_SC_iiiiiiiiiiiDpT3_,@function
_ZL11k_bin_bcastIXadL_ZL6op_mulffEE6__halfffJPKfS2_S2_S2_S2_S2_EEvPKT0_PKT1_PT2_iii15HIP_vector_typeIjLj3EESC_SC_SC_SC_iiiiiiiiiiiDpT3_: ; @_ZL11k_bin_bcastIXadL_ZL6op_mulffEE6__halfffJPKfS2_S2_S2_S2_S2_EEvPKT0_PKT1_PT2_iii15HIP_vector_typeIjLj3EESC_SC_SC_SC_iiiiiiiiiiiDpT3_
; %bb.0:
	s_load_b64 s[2:3], s[0:1], 0xcc
	s_bfe_u32 s5, ttmp6, 0x40014
	s_bfe_u32 s16, ttmp6, 0x40010
	;; [unrolled: 1-line block ×3, first 2 shown]
	s_lshr_b32 s4, ttmp7, 16
	s_add_co_i32 s5, s5, 1
	s_and_b32 s7, ttmp7, 0xffff
	s_load_b256 s[8:15], s[0:1], 0x18
	s_add_co_i32 s16, s16, 1
	s_add_co_i32 s19, s19, 1
	s_bfe_u32 s6, ttmp6, 0x40008
	s_mul_i32 s5, s4, s5
	s_bfe_u32 s17, ttmp6, 0x40004
	s_and_b32 s18, ttmp6, 15
	s_mul_i32 s16, s7, s16
	s_mul_i32 s19, ttmp9, s19
	s_add_co_i32 s6, s6, s5
	s_add_co_i32 s17, s17, s16
	s_add_co_i32 s18, s18, s19
	v_bfe_u32 v1, v0, 20, 10
	s_wait_kmcnt 0x0
	s_lshr_b32 s5, s2, 16
	s_and_b32 s33, s2, 0xffff
	s_getreg_b32 s2, hwreg(HW_REG_IB_STS2, 6, 4)
	s_and_b32 s3, s3, 0xffff
	s_cmp_eq_u32 s2, 0
	v_and_b32_e32 v2, 0x3ff, v0
	s_cselect_b32 s2, s4, s6
	v_bfe_u32 v4, v0, 10, 10
	v_mad_u32 v3, s2, s3, v1
	s_cselect_b32 s2, ttmp9, s18
	s_cselect_b32 s3, s7, s17
	v_mad_u32 v0, s2, s33, v2
	v_mad_u32 v2, s3, s5, v4
	s_delay_alu instid0(VALU_DEP_3) | instskip(NEXT) | instid1(VALU_DEP_3)
	v_mul_hi_u32 v1, v3, s11
	v_cmp_gt_u32_e32 vcc_lo, s8, v0
	s_delay_alu instid0(VALU_DEP_3) | instskip(SKIP_2) | instid1(VALU_DEP_1)
	v_cmp_gt_u32_e64 s2, s9, v2
	s_and_b32 s2, vcc_lo, s2
	v_add_nc_u32_e32 v1, v3, v1
	v_lshrrev_b32_e32 v1, s12, v1
	s_delay_alu instid0(VALU_DEP_1) | instskip(SKIP_3) | instid1(VALU_DEP_1)
	v_mul_lo_u32 v5, v1, s13
	v_cmp_gt_u32_e64 s3, s10, v1
	s_and_b32 s2, s2, s3
	v_sub_nc_u32_e32 v3, v3, v5
	v_cmp_gt_u32_e64 s4, s13, v3
	s_and_b32 s2, s2, s4
	s_delay_alu instid0(SALU_CYCLE_1)
	s_and_saveexec_b32 s3, s2
	s_cbranch_execz .LBB135_6
; %bb.1:
	v_cmp_gt_i32_e32 vcc_lo, s8, v0
	s_and_b32 exec_lo, exec_lo, vcc_lo
	s_cbranch_execz .LBB135_6
; %bb.2:
	s_clause 0x3
	s_load_b256 s[24:31], s[0:1], 0x3c
	s_load_b32 s2, s[0:1], 0x5c
	s_load_b256 s[16:23], s[0:1], 0x60
	s_load_b96 s[36:38], s[0:1], 0x80
	s_add_nc_u64 s[4:5], s[0:1], 0xc0
	s_load_b32 s9, s[4:5], 0x0
	s_load_b32 s12, s[0:1], 0x38
	s_wait_xcnt 0x0
	s_clause 0x1
	s_load_b128 s[4:7], s[0:1], 0xb0
	s_load_b64 s[10:11], s[0:1], 0x10
	s_wait_kmcnt 0x0
	v_mul_hi_u32 v4, s30, v3
	v_mul_hi_u32 v5, s27, v1
	;; [unrolled: 1-line block ×3, first 2 shown]
	v_mul_lo_u32 v7, v2, s20
	v_mul_lo_u32 v8, v2, s16
	s_delay_alu instid0(VALU_DEP_4) | instskip(NEXT) | instid1(VALU_DEP_3)
	v_dual_add_nc_u32 v4, v3, v4 :: v_dual_add_nc_u32 v5, v1, v5
	v_mad_u32 v7, v1, s21, v7
	s_delay_alu instid0(VALU_DEP_3) | instskip(NEXT) | instid1(VALU_DEP_3)
	v_mad_u32 v8, v1, s17, v8
	v_dual_lshrrev_b32 v4, s31, v4 :: v_dual_lshrrev_b32 v5, s28, v5
	s_delay_alu instid0(VALU_DEP_1) | instskip(SKIP_1) | instid1(VALU_DEP_3)
	v_mul_lo_u32 v4, v4, s2
	v_add_nc_u32_e32 v6, v2, v6
	v_mul_lo_u32 v5, v5, s29
	s_load_b64 s[2:3], s[0:1], 0x0
	v_mad_u32 v8, v3, s18, v8
	s_delay_alu instid0(VALU_DEP_3) | instskip(NEXT) | instid1(VALU_DEP_3)
	v_dual_sub_nc_u32 v4, v3, v4 :: v_dual_lshrrev_b32 v6, s25, v6
	v_sub_nc_u32_e32 v5, v1, v5
	s_delay_alu instid0(VALU_DEP_2) | instskip(NEXT) | instid1(VALU_DEP_3)
	v_mul_lo_u32 v9, v4, s38
	v_mul_lo_u32 v6, v6, s26
	v_mad_u32 v4, v3, s22, v7
	s_load_b256 s[24:31], s[0:1], 0x90
	v_mov_b32_e32 v1, 0
	s_wait_xcnt 0x0
	s_mov_b32 s1, 0
	s_mov_b32 s0, s14
	s_wait_kmcnt 0x0
	s_cmp_lg_u64 s[2:3], 0
	s_delay_alu instid0(VALU_DEP_4) | instskip(NEXT) | instid1(VALU_DEP_4)
	v_mad_u32 v7, v5, s37, v9
	v_sub_nc_u32_e32 v2, v2, v6
	v_mul_lo_u32 v6, s19, v0
	v_dual_mov_b32 v5, v1 :: v_dual_mov_b32 v9, v1
	v_mov_b32_e32 v3, v1
	s_delay_alu instid0(VALU_DEP_2) | instskip(NEXT) | instid1(VALU_DEP_3)
	v_lshl_add_u64 v[4:5], v[4:5], 1, s[2:3]
	v_lshl_add_u64 v[8:9], v[8:9], 2, s[10:11]
	s_mul_i32 s2, s9, s33
	v_mad_u32 v2, v2, s36, v7
	s_cselect_b32 s3, -1, 0
	s_mul_i32 s9, s2, s19
	s_sub_co_i32 s10, 0, s12
	s_mov_b32 s11, s1
	s_branch .LBB135_4
.LBB135_3:                              ;   in Loop: Header=BB135_4 Depth=1
	s_wait_xcnt 0x0
	v_mul_u64_e32 v[10:11], s[0:1], v[0:1]
	s_delay_alu instid0(VALU_DEP_1) | instskip(NEXT) | instid1(VALU_DEP_1)
	v_dual_add_nc_u32 v6, s9, v6 :: v_dual_add_nc_u32 v10, v0, v11
	v_dual_mov_b32 v11, v1 :: v_dual_lshrrev_b32 v10, s15, v10
	s_delay_alu instid0(VALU_DEP_1) | instskip(NEXT) | instid1(VALU_DEP_1)
	v_mad_u32 v10, s10, v10, v0
	v_mul_lo_u32 v10, v10, s23
	s_delay_alu instid0(VALU_DEP_1) | instskip(NEXT) | instid1(VALU_DEP_1)
	v_add_nc_u64_e32 v[10:11], v[10:11], v[2:3]
	v_lshlrev_b64_e32 v[10:11], 2, v[10:11]
	s_delay_alu instid0(VALU_DEP_1)
	v_add_nc_u64_e32 v[12:13], s[24:25], v[10:11]
	v_add_nc_u64_e32 v[14:15], s[26:27], v[10:11]
	global_load_b32 v16, v[12:13], off
	s_wait_xcnt 0x0
	v_add_nc_u64_e32 v[12:13], s[28:29], v[10:11]
	global_load_b32 v17, v[14:15], off
	s_wait_xcnt 0x0
	;; [unrolled: 3-line block ×3, first 2 shown]
	v_add_nc_u64_e32 v[12:13], s[4:5], v[10:11]
	global_load_b32 v14, v[14:15], off
	v_add_nc_u64_e32 v[10:11], s[6:7], v[10:11]
	global_load_b32 v15, v[12:13], off
	global_load_b32 v19, v[10:11], off
	s_wait_xcnt 0x0
	v_dual_mov_b32 v10, v0 :: v_dual_ashrrev_i32 v11, 31, v0
	v_add_nc_u32_e32 v0, s2, v0
	s_delay_alu instid0(VALU_DEP_2) | instskip(NEXT) | instid1(VALU_DEP_2)
	v_lshl_add_u64 v[10:11], v[10:11], 2, v[8:9]
	v_cmp_le_i32_e32 vcc_lo, s8, v0
	s_or_b32 s11, vcc_lo, s11
	s_wait_loadcnt 0x5
	v_mul_f32_e32 v7, v7, v16
	s_wait_loadcnt 0x4
	s_delay_alu instid0(VALU_DEP_1) | instskip(SKIP_1) | instid1(VALU_DEP_1)
	v_mul_f32_e32 v7, v7, v17
	s_wait_loadcnt 0x3
	v_mul_f32_e32 v7, v7, v18
	s_wait_loadcnt 0x2
	s_delay_alu instid0(VALU_DEP_1) | instskip(SKIP_1) | instid1(VALU_DEP_1)
	v_mul_f32_e32 v7, v7, v14
	s_wait_loadcnt 0x1
	v_mul_f32_e32 v7, v7, v15
	s_wait_loadcnt 0x0
	s_delay_alu instid0(VALU_DEP_1)
	v_mul_f32_e32 v7, v7, v19
	global_store_b32 v[10:11], v7, off
	s_wait_xcnt 0x0
	s_and_not1_b32 exec_lo, exec_lo, s11
	s_cbranch_execz .LBB135_6
.LBB135_4:                              ; =>This Inner Loop Header: Depth=1
	v_mov_b32_e32 v7, 0
	s_and_not1_b32 vcc_lo, exec_lo, s3
	s_cbranch_vccnz .LBB135_3
; %bb.5:                                ;   in Loop: Header=BB135_4 Depth=1
	v_ashrrev_i32_e32 v7, 31, v6
	s_delay_alu instid0(VALU_DEP_1)
	v_lshl_add_u64 v[10:11], v[6:7], 1, v[4:5]
	global_load_u16 v7, v[10:11], off
	s_wait_loadcnt 0x0
	v_cvt_f32_f16_e32 v7, v7
	s_branch .LBB135_3
.LBB135_6:
	s_endpgm
	.section	.rodata,"a",@progbits
	.p2align	6, 0x0
	.amdhsa_kernel _ZL11k_bin_bcastIXadL_ZL6op_mulffEE6__halfffJPKfS2_S2_S2_S2_S2_EEvPKT0_PKT1_PT2_iii15HIP_vector_typeIjLj3EESC_SC_SC_SC_iiiiiiiiiiiDpT3_
		.amdhsa_group_segment_fixed_size 0
		.amdhsa_private_segment_fixed_size 0
		.amdhsa_kernarg_size 448
		.amdhsa_user_sgpr_count 2
		.amdhsa_user_sgpr_dispatch_ptr 0
		.amdhsa_user_sgpr_queue_ptr 0
		.amdhsa_user_sgpr_kernarg_segment_ptr 1
		.amdhsa_user_sgpr_dispatch_id 0
		.amdhsa_user_sgpr_kernarg_preload_length 0
		.amdhsa_user_sgpr_kernarg_preload_offset 0
		.amdhsa_user_sgpr_private_segment_size 0
		.amdhsa_wavefront_size32 1
		.amdhsa_uses_dynamic_stack 0
		.amdhsa_enable_private_segment 0
		.amdhsa_system_sgpr_workgroup_id_x 1
		.amdhsa_system_sgpr_workgroup_id_y 1
		.amdhsa_system_sgpr_workgroup_id_z 1
		.amdhsa_system_sgpr_workgroup_info 0
		.amdhsa_system_vgpr_workitem_id 2
		.amdhsa_next_free_vgpr 20
		.amdhsa_next_free_sgpr 39
		.amdhsa_named_barrier_count 0
		.amdhsa_reserve_vcc 1
		.amdhsa_float_round_mode_32 0
		.amdhsa_float_round_mode_16_64 0
		.amdhsa_float_denorm_mode_32 3
		.amdhsa_float_denorm_mode_16_64 3
		.amdhsa_fp16_overflow 0
		.amdhsa_memory_ordered 1
		.amdhsa_forward_progress 1
		.amdhsa_inst_pref_size 9
		.amdhsa_round_robin_scheduling 0
		.amdhsa_exception_fp_ieee_invalid_op 0
		.amdhsa_exception_fp_denorm_src 0
		.amdhsa_exception_fp_ieee_div_zero 0
		.amdhsa_exception_fp_ieee_overflow 0
		.amdhsa_exception_fp_ieee_underflow 0
		.amdhsa_exception_fp_ieee_inexact 0
		.amdhsa_exception_int_div_zero 0
	.end_amdhsa_kernel
	.section	.text._ZL11k_bin_bcastIXadL_ZL6op_mulffEE6__halfffJPKfS2_S2_S2_S2_S2_EEvPKT0_PKT1_PT2_iii15HIP_vector_typeIjLj3EESC_SC_SC_SC_iiiiiiiiiiiDpT3_,"axG",@progbits,_ZL11k_bin_bcastIXadL_ZL6op_mulffEE6__halfffJPKfS2_S2_S2_S2_S2_EEvPKT0_PKT1_PT2_iii15HIP_vector_typeIjLj3EESC_SC_SC_SC_iiiiiiiiiiiDpT3_,comdat
.Lfunc_end135:
	.size	_ZL11k_bin_bcastIXadL_ZL6op_mulffEE6__halfffJPKfS2_S2_S2_S2_S2_EEvPKT0_PKT1_PT2_iii15HIP_vector_typeIjLj3EESC_SC_SC_SC_iiiiiiiiiiiDpT3_, .Lfunc_end135-_ZL11k_bin_bcastIXadL_ZL6op_mulffEE6__halfffJPKfS2_S2_S2_S2_S2_EEvPKT0_PKT1_PT2_iii15HIP_vector_typeIjLj3EESC_SC_SC_SC_iiiiiiiiiiiDpT3_
                                        ; -- End function
	.set _ZL11k_bin_bcastIXadL_ZL6op_mulffEE6__halfffJPKfS2_S2_S2_S2_S2_EEvPKT0_PKT1_PT2_iii15HIP_vector_typeIjLj3EESC_SC_SC_SC_iiiiiiiiiiiDpT3_.num_vgpr, 20
	.set _ZL11k_bin_bcastIXadL_ZL6op_mulffEE6__halfffJPKfS2_S2_S2_S2_S2_EEvPKT0_PKT1_PT2_iii15HIP_vector_typeIjLj3EESC_SC_SC_SC_iiiiiiiiiiiDpT3_.num_agpr, 0
	.set _ZL11k_bin_bcastIXadL_ZL6op_mulffEE6__halfffJPKfS2_S2_S2_S2_S2_EEvPKT0_PKT1_PT2_iii15HIP_vector_typeIjLj3EESC_SC_SC_SC_iiiiiiiiiiiDpT3_.numbered_sgpr, 39
	.set _ZL11k_bin_bcastIXadL_ZL6op_mulffEE6__halfffJPKfS2_S2_S2_S2_S2_EEvPKT0_PKT1_PT2_iii15HIP_vector_typeIjLj3EESC_SC_SC_SC_iiiiiiiiiiiDpT3_.num_named_barrier, 0
	.set _ZL11k_bin_bcastIXadL_ZL6op_mulffEE6__halfffJPKfS2_S2_S2_S2_S2_EEvPKT0_PKT1_PT2_iii15HIP_vector_typeIjLj3EESC_SC_SC_SC_iiiiiiiiiiiDpT3_.private_seg_size, 0
	.set _ZL11k_bin_bcastIXadL_ZL6op_mulffEE6__halfffJPKfS2_S2_S2_S2_S2_EEvPKT0_PKT1_PT2_iii15HIP_vector_typeIjLj3EESC_SC_SC_SC_iiiiiiiiiiiDpT3_.uses_vcc, 1
	.set _ZL11k_bin_bcastIXadL_ZL6op_mulffEE6__halfffJPKfS2_S2_S2_S2_S2_EEvPKT0_PKT1_PT2_iii15HIP_vector_typeIjLj3EESC_SC_SC_SC_iiiiiiiiiiiDpT3_.uses_flat_scratch, 0
	.set _ZL11k_bin_bcastIXadL_ZL6op_mulffEE6__halfffJPKfS2_S2_S2_S2_S2_EEvPKT0_PKT1_PT2_iii15HIP_vector_typeIjLj3EESC_SC_SC_SC_iiiiiiiiiiiDpT3_.has_dyn_sized_stack, 0
	.set _ZL11k_bin_bcastIXadL_ZL6op_mulffEE6__halfffJPKfS2_S2_S2_S2_S2_EEvPKT0_PKT1_PT2_iii15HIP_vector_typeIjLj3EESC_SC_SC_SC_iiiiiiiiiiiDpT3_.has_recursion, 0
	.set _ZL11k_bin_bcastIXadL_ZL6op_mulffEE6__halfffJPKfS2_S2_S2_S2_S2_EEvPKT0_PKT1_PT2_iii15HIP_vector_typeIjLj3EESC_SC_SC_SC_iiiiiiiiiiiDpT3_.has_indirect_call, 0
	.section	.AMDGPU.csdata,"",@progbits
; Kernel info:
; codeLenInByte = 1044
; TotalNumSgprs: 41
; NumVgprs: 20
; ScratchSize: 0
; MemoryBound: 0
; FloatMode: 240
; IeeeMode: 1
; LDSByteSize: 0 bytes/workgroup (compile time only)
; SGPRBlocks: 0
; VGPRBlocks: 1
; NumSGPRsForWavesPerEU: 41
; NumVGPRsForWavesPerEU: 20
; NamedBarCnt: 0
; Occupancy: 16
; WaveLimiterHint : 1
; COMPUTE_PGM_RSRC2:SCRATCH_EN: 0
; COMPUTE_PGM_RSRC2:USER_SGPR: 2
; COMPUTE_PGM_RSRC2:TRAP_HANDLER: 0
; COMPUTE_PGM_RSRC2:TGID_X_EN: 1
; COMPUTE_PGM_RSRC2:TGID_Y_EN: 1
; COMPUTE_PGM_RSRC2:TGID_Z_EN: 1
; COMPUTE_PGM_RSRC2:TIDIG_COMP_CNT: 2
	.section	.text._ZL19k_bin_bcast_unravelIXadL_ZL6op_mulffEEfffJPKfS1_S1_S1_S1_S1_S1_EEvPKT0_PKT1_PT2_15HIP_vector_typeIjLj3EESB_SB_jSB_SB_SB_SB_SB_SB_iiiiiiiiiiiDpT3_,"axG",@progbits,_ZL19k_bin_bcast_unravelIXadL_ZL6op_mulffEEfffJPKfS1_S1_S1_S1_S1_S1_EEvPKT0_PKT1_PT2_15HIP_vector_typeIjLj3EESB_SB_jSB_SB_SB_SB_SB_SB_iiiiiiiiiiiDpT3_,comdat
	.globl	_ZL19k_bin_bcast_unravelIXadL_ZL6op_mulffEEfffJPKfS1_S1_S1_S1_S1_S1_EEvPKT0_PKT1_PT2_15HIP_vector_typeIjLj3EESB_SB_jSB_SB_SB_SB_SB_SB_iiiiiiiiiiiDpT3_ ; -- Begin function _ZL19k_bin_bcast_unravelIXadL_ZL6op_mulffEEfffJPKfS1_S1_S1_S1_S1_S1_EEvPKT0_PKT1_PT2_15HIP_vector_typeIjLj3EESB_SB_jSB_SB_SB_SB_SB_SB_iiiiiiiiiiiDpT3_
	.p2align	8
	.type	_ZL19k_bin_bcast_unravelIXadL_ZL6op_mulffEEfffJPKfS1_S1_S1_S1_S1_S1_EEvPKT0_PKT1_PT2_15HIP_vector_typeIjLj3EESB_SB_jSB_SB_SB_SB_SB_SB_iiiiiiiiiiiDpT3_,@function
_ZL19k_bin_bcast_unravelIXadL_ZL6op_mulffEEfffJPKfS1_S1_S1_S1_S1_S1_EEvPKT0_PKT1_PT2_15HIP_vector_typeIjLj3EESB_SB_jSB_SB_SB_SB_SB_SB_iiiiiiiiiiiDpT3_: ; @_ZL19k_bin_bcast_unravelIXadL_ZL6op_mulffEEfffJPKfS1_S1_S1_S1_S1_S1_EEvPKT0_PKT1_PT2_15HIP_vector_typeIjLj3EESB_SB_jSB_SB_SB_SB_SB_SB_iiiiiiiiiiiDpT3_
; %bb.0:
	s_load_b32 s2, s[0:1], 0xfc
	s_bfe_u32 s3, ttmp6, 0x4000c
	s_load_b256 s[4:11], s[0:1], 0x38
	s_add_co_i32 s3, s3, 1
	s_and_b32 s12, ttmp6, 15
	s_mul_i32 s3, ttmp9, s3
	s_getreg_b32 s13, hwreg(HW_REG_IB_STS2, 6, 4)
	s_add_co_i32 s12, s12, s3
	s_wait_kmcnt 0x0
	s_and_b32 s2, s2, 0xffff
	s_cmp_eq_u32 s13, 0
	s_cselect_b32 s3, ttmp9, s12
	s_delay_alu instid0(SALU_CYCLE_1) | instskip(SKIP_1) | instid1(VALU_DEP_1)
	v_mad_u32 v0, s3, s2, v0
	s_load_b32 s2, s[0:1], 0x2c
	v_mul_hi_u32 v1, v0, s6
	s_delay_alu instid0(VALU_DEP_1) | instskip(NEXT) | instid1(VALU_DEP_1)
	v_add_nc_u32_e32 v1, v0, v1
	v_lshrrev_b32_e32 v1, s7, v1
	s_delay_alu instid0(VALU_DEP_1) | instskip(NEXT) | instid1(VALU_DEP_1)
	v_mul_lo_u32 v2, v1, s8
	v_sub_nc_u32_e32 v0, v0, v2
	s_delay_alu instid0(VALU_DEP_1) | instskip(NEXT) | instid1(VALU_DEP_1)
	v_mul_hi_u32 v2, v0, s9
	v_add_nc_u32_e32 v2, v0, v2
	s_delay_alu instid0(VALU_DEP_1) | instskip(SKIP_1) | instid1(VALU_DEP_1)
	v_lshrrev_b32_e32 v2, s10, v2
	s_load_b96 s[8:10], s[0:1], 0x18
	v_mul_lo_u32 v3, v2, s11
	s_delay_alu instid0(VALU_DEP_1) | instskip(SKIP_3) | instid1(VALU_DEP_3)
	v_sub_nc_u32_e32 v0, v0, v3
	v_cmp_gt_u32_e64 s3, s4, v2
	v_cmp_gt_u32_e64 s4, s5, v1
	s_wait_kmcnt 0x0
	v_mul_hi_u32 v3, v0, s8
	s_delay_alu instid0(VALU_DEP_1) | instskip(NEXT) | instid1(VALU_DEP_1)
	v_add_nc_u32_e32 v3, v0, v3
	v_lshrrev_b32_e32 v4, s9, v3
	s_delay_alu instid0(VALU_DEP_1) | instskip(NEXT) | instid1(VALU_DEP_1)
	v_mul_lo_u32 v3, v4, s10
	v_sub_nc_u32_e32 v0, v0, v3
	v_cmp_gt_u32_e64 s2, s2, v4
	s_delay_alu instid0(VALU_DEP_2) | instskip(SKIP_1) | instid1(SALU_CYCLE_1)
	v_cmp_gt_u32_e32 vcc_lo, s10, v0
	s_and_b32 s2, vcc_lo, s2
	s_and_b32 s2, s2, s3
	s_delay_alu instid0(SALU_CYCLE_1) | instskip(NEXT) | instid1(SALU_CYCLE_1)
	s_and_b32 s2, s4, s2
	s_and_saveexec_b32 s3, s2
	s_cbranch_execz .LBB136_4
; %bb.1:
	s_clause 0x4
	s_load_b64 s[2:3], s[0:1], 0x0
	s_load_b96 s[24:26], s[0:1], 0xa8
	s_load_b256 s[4:11], s[0:1], 0x88
	s_load_b128 s[20:23], s[0:1], 0x78
	s_load_b256 s[12:19], s[0:1], 0x58
	v_dual_mov_b32 v3, 0 :: v_dual_mov_b32 v5, 0
	s_wait_kmcnt 0x0
	s_cmp_eq_u64 s[2:3], 0
	s_cbranch_scc1 .LBB136_3
; %bb.2:
	v_mul_lo_u32 v5, v1, s10
	v_mov_b32_e32 v7, 0
	s_delay_alu instid0(VALU_DEP_2) | instskip(NEXT) | instid1(VALU_DEP_1)
	v_mad_u32 v5, v2, s9, v5
	v_mad_u32 v6, v4, s8, v5
	s_delay_alu instid0(VALU_DEP_1) | instskip(SKIP_1) | instid1(VALU_DEP_1)
	v_lshl_add_u64 v[8:9], v[6:7], 2, s[2:3]
	v_mul_lo_u32 v6, v0, s7
	v_lshl_add_u64 v[6:7], v[6:7], 2, v[8:9]
	global_load_b32 v5, v[6:7], off
.LBB136_3:
	s_wait_xcnt 0x0
	v_mul_hi_u32 v6, s21, v1
	v_mul_hi_u32 v7, s18, v2
	;; [unrolled: 1-line block ×4, first 2 shown]
	s_load_b64 s[2:3], s[0:1], 0xe8
	s_delay_alu instid0(VALU_DEP_3) | instskip(NEXT) | instid1(VALU_DEP_1)
	v_dual_add_nc_u32 v6, v1, v6 :: v_dual_add_nc_u32 v7, v2, v7
	v_dual_lshrrev_b32 v6, s22, v6 :: v_dual_lshrrev_b32 v7, s19, v7
	s_delay_alu instid0(VALU_DEP_1) | instskip(SKIP_1) | instid1(VALU_DEP_3)
	v_mul_lo_u32 v6, v6, s23
	v_add_nc_u32_e32 v8, v4, v8
	v_mul_lo_u32 v7, v7, s20
	s_delay_alu instid0(VALU_DEP_3) | instskip(NEXT) | instid1(VALU_DEP_2)
	v_dual_sub_nc_u32 v6, v1, v6 :: v_dual_add_nc_u32 v9, v0, v9
	v_dual_lshrrev_b32 v8, s16, v8 :: v_dual_sub_nc_u32 v7, v2, v7
	v_mul_lo_u32 v1, v1, s6
	s_delay_alu instid0(VALU_DEP_3) | instskip(NEXT) | instid1(VALU_DEP_4)
	v_mul_lo_u32 v6, v6, s26
	v_lshrrev_b32_e32 v9, s13, v9
	s_delay_alu instid0(VALU_DEP_4) | instskip(SKIP_1) | instid1(VALU_DEP_2)
	v_mul_lo_u32 v8, v8, s17
	s_load_b128 s[16:19], s[0:1], 0xd8
	v_mul_lo_u32 v9, v9, s14
	v_mad_u32 v1, v2, s5, v1
	v_mad_u32 v7, v7, s25, v6
	s_delay_alu instid0(VALU_DEP_4) | instskip(NEXT) | instid1(VALU_DEP_1)
	v_sub_nc_u32_e32 v8, v4, v8
	v_mad_u32 v8, v8, s24, v7
	s_delay_alu instid0(VALU_DEP_1) | instskip(NEXT) | instid1(VALU_DEP_1)
	v_dual_sub_nc_u32 v6, v0, v9 :: v_dual_ashrrev_i32 v9, 31, v8
	v_mul_lo_u32 v6, v6, s11
	s_load_b256 s[8:15], s[0:1], 0xb8
	s_delay_alu instid0(VALU_DEP_1) | instskip(SKIP_2) | instid1(VALU_DEP_1)
	v_ashrrev_i32_e32 v7, 31, v6
	s_wait_xcnt 0x0
	s_load_b64 s[0:1], s[0:1], 0x10
	v_add_nc_u64_e32 v[6:7], v[6:7], v[8:9]
	s_delay_alu instid0(VALU_DEP_1) | instskip(SKIP_1) | instid1(VALU_DEP_1)
	v_lshlrev_b64_e32 v[6:7], 2, v[6:7]
	s_wait_kmcnt 0x0
	v_add_nc_u64_e32 v[8:9], s[8:9], v[6:7]
	v_add_nc_u64_e32 v[10:11], s[10:11], v[6:7]
	global_load_b32 v12, v[8:9], off
	s_wait_xcnt 0x0
	v_add_nc_u64_e32 v[8:9], s[12:13], v[6:7]
	global_load_b32 v13, v[10:11], off
	s_wait_xcnt 0x0
	;; [unrolled: 3-line block ×4, first 2 shown]
	v_add_nc_u64_e32 v[10:11], s[18:19], v[6:7]
	v_add_nc_u64_e32 v[6:7], s[2:3], v[6:7]
	global_load_b32 v8, v[8:9], off
	global_load_b32 v9, v[10:11], off
	;; [unrolled: 1-line block ×3, first 2 shown]
	s_wait_loadcnt 0x6
	v_mul_f32_e32 v5, v5, v12
	s_wait_loadcnt 0x5
	s_delay_alu instid0(VALU_DEP_1) | instskip(SKIP_1) | instid1(VALU_DEP_1)
	v_mul_f32_e32 v2, v5, v13
	s_wait_loadcnt 0x4
	v_mul_f32_e32 v5, v2, v14
	v_mad_u32 v2, v4, s4, v1
	s_wait_loadcnt 0x3
	s_delay_alu instid0(VALU_DEP_2) | instskip(SKIP_1) | instid1(VALU_DEP_1)
	v_mul_f32_e32 v1, v5, v15
	s_wait_loadcnt 0x2
	v_dual_mul_f32 v4, v1, v8 :: v_dual_mov_b32 v1, v3
	s_delay_alu instid0(VALU_DEP_3) | instskip(SKIP_1) | instid1(VALU_DEP_2)
	v_lshl_add_u64 v[2:3], v[2:3], 2, s[0:1]
	s_wait_loadcnt 0x1
	v_mul_f32_e32 v4, v4, v9
	s_delay_alu instid0(VALU_DEP_2) | instskip(SKIP_1) | instid1(VALU_DEP_2)
	v_lshl_add_u64 v[0:1], v[0:1], 2, v[2:3]
	s_wait_loadcnt 0x0
	v_mul_f32_e32 v4, v4, v16
	global_store_b32 v[0:1], v4, off
.LBB136_4:
	s_endpgm
	.section	.rodata,"a",@progbits
	.p2align	6, 0x0
	.amdhsa_kernel _ZL19k_bin_bcast_unravelIXadL_ZL6op_mulffEEfffJPKfS1_S1_S1_S1_S1_S1_EEvPKT0_PKT1_PT2_15HIP_vector_typeIjLj3EESB_SB_jSB_SB_SB_SB_SB_SB_iiiiiiiiiiiDpT3_
		.amdhsa_group_segment_fixed_size 0
		.amdhsa_private_segment_fixed_size 0
		.amdhsa_kernarg_size 496
		.amdhsa_user_sgpr_count 2
		.amdhsa_user_sgpr_dispatch_ptr 0
		.amdhsa_user_sgpr_queue_ptr 0
		.amdhsa_user_sgpr_kernarg_segment_ptr 1
		.amdhsa_user_sgpr_dispatch_id 0
		.amdhsa_user_sgpr_kernarg_preload_length 0
		.amdhsa_user_sgpr_kernarg_preload_offset 0
		.amdhsa_user_sgpr_private_segment_size 0
		.amdhsa_wavefront_size32 1
		.amdhsa_uses_dynamic_stack 0
		.amdhsa_enable_private_segment 0
		.amdhsa_system_sgpr_workgroup_id_x 1
		.amdhsa_system_sgpr_workgroup_id_y 0
		.amdhsa_system_sgpr_workgroup_id_z 0
		.amdhsa_system_sgpr_workgroup_info 0
		.amdhsa_system_vgpr_workitem_id 0
		.amdhsa_next_free_vgpr 17
		.amdhsa_next_free_sgpr 27
		.amdhsa_named_barrier_count 0
		.amdhsa_reserve_vcc 1
		.amdhsa_float_round_mode_32 0
		.amdhsa_float_round_mode_16_64 0
		.amdhsa_float_denorm_mode_32 3
		.amdhsa_float_denorm_mode_16_64 3
		.amdhsa_fp16_overflow 0
		.amdhsa_memory_ordered 1
		.amdhsa_forward_progress 1
		.amdhsa_inst_pref_size 8
		.amdhsa_round_robin_scheduling 0
		.amdhsa_exception_fp_ieee_invalid_op 0
		.amdhsa_exception_fp_denorm_src 0
		.amdhsa_exception_fp_ieee_div_zero 0
		.amdhsa_exception_fp_ieee_overflow 0
		.amdhsa_exception_fp_ieee_underflow 0
		.amdhsa_exception_fp_ieee_inexact 0
		.amdhsa_exception_int_div_zero 0
	.end_amdhsa_kernel
	.section	.text._ZL19k_bin_bcast_unravelIXadL_ZL6op_mulffEEfffJPKfS1_S1_S1_S1_S1_S1_EEvPKT0_PKT1_PT2_15HIP_vector_typeIjLj3EESB_SB_jSB_SB_SB_SB_SB_SB_iiiiiiiiiiiDpT3_,"axG",@progbits,_ZL19k_bin_bcast_unravelIXadL_ZL6op_mulffEEfffJPKfS1_S1_S1_S1_S1_S1_EEvPKT0_PKT1_PT2_15HIP_vector_typeIjLj3EESB_SB_jSB_SB_SB_SB_SB_SB_iiiiiiiiiiiDpT3_,comdat
.Lfunc_end136:
	.size	_ZL19k_bin_bcast_unravelIXadL_ZL6op_mulffEEfffJPKfS1_S1_S1_S1_S1_S1_EEvPKT0_PKT1_PT2_15HIP_vector_typeIjLj3EESB_SB_jSB_SB_SB_SB_SB_SB_iiiiiiiiiiiDpT3_, .Lfunc_end136-_ZL19k_bin_bcast_unravelIXadL_ZL6op_mulffEEfffJPKfS1_S1_S1_S1_S1_S1_EEvPKT0_PKT1_PT2_15HIP_vector_typeIjLj3EESB_SB_jSB_SB_SB_SB_SB_SB_iiiiiiiiiiiDpT3_
                                        ; -- End function
	.set _ZL19k_bin_bcast_unravelIXadL_ZL6op_mulffEEfffJPKfS1_S1_S1_S1_S1_S1_EEvPKT0_PKT1_PT2_15HIP_vector_typeIjLj3EESB_SB_jSB_SB_SB_SB_SB_SB_iiiiiiiiiiiDpT3_.num_vgpr, 17
	.set _ZL19k_bin_bcast_unravelIXadL_ZL6op_mulffEEfffJPKfS1_S1_S1_S1_S1_S1_EEvPKT0_PKT1_PT2_15HIP_vector_typeIjLj3EESB_SB_jSB_SB_SB_SB_SB_SB_iiiiiiiiiiiDpT3_.num_agpr, 0
	.set _ZL19k_bin_bcast_unravelIXadL_ZL6op_mulffEEfffJPKfS1_S1_S1_S1_S1_S1_EEvPKT0_PKT1_PT2_15HIP_vector_typeIjLj3EESB_SB_jSB_SB_SB_SB_SB_SB_iiiiiiiiiiiDpT3_.numbered_sgpr, 27
	.set _ZL19k_bin_bcast_unravelIXadL_ZL6op_mulffEEfffJPKfS1_S1_S1_S1_S1_S1_EEvPKT0_PKT1_PT2_15HIP_vector_typeIjLj3EESB_SB_jSB_SB_SB_SB_SB_SB_iiiiiiiiiiiDpT3_.num_named_barrier, 0
	.set _ZL19k_bin_bcast_unravelIXadL_ZL6op_mulffEEfffJPKfS1_S1_S1_S1_S1_S1_EEvPKT0_PKT1_PT2_15HIP_vector_typeIjLj3EESB_SB_jSB_SB_SB_SB_SB_SB_iiiiiiiiiiiDpT3_.private_seg_size, 0
	.set _ZL19k_bin_bcast_unravelIXadL_ZL6op_mulffEEfffJPKfS1_S1_S1_S1_S1_S1_EEvPKT0_PKT1_PT2_15HIP_vector_typeIjLj3EESB_SB_jSB_SB_SB_SB_SB_SB_iiiiiiiiiiiDpT3_.uses_vcc, 1
	.set _ZL19k_bin_bcast_unravelIXadL_ZL6op_mulffEEfffJPKfS1_S1_S1_S1_S1_S1_EEvPKT0_PKT1_PT2_15HIP_vector_typeIjLj3EESB_SB_jSB_SB_SB_SB_SB_SB_iiiiiiiiiiiDpT3_.uses_flat_scratch, 0
	.set _ZL19k_bin_bcast_unravelIXadL_ZL6op_mulffEEfffJPKfS1_S1_S1_S1_S1_S1_EEvPKT0_PKT1_PT2_15HIP_vector_typeIjLj3EESB_SB_jSB_SB_SB_SB_SB_SB_iiiiiiiiiiiDpT3_.has_dyn_sized_stack, 0
	.set _ZL19k_bin_bcast_unravelIXadL_ZL6op_mulffEEfffJPKfS1_S1_S1_S1_S1_S1_EEvPKT0_PKT1_PT2_15HIP_vector_typeIjLj3EESB_SB_jSB_SB_SB_SB_SB_SB_iiiiiiiiiiiDpT3_.has_recursion, 0
	.set _ZL19k_bin_bcast_unravelIXadL_ZL6op_mulffEEfffJPKfS1_S1_S1_S1_S1_S1_EEvPKT0_PKT1_PT2_15HIP_vector_typeIjLj3EESB_SB_jSB_SB_SB_SB_SB_SB_iiiiiiiiiiiDpT3_.has_indirect_call, 0
	.section	.AMDGPU.csdata,"",@progbits
; Kernel info:
; codeLenInByte = 924
; TotalNumSgprs: 29
; NumVgprs: 17
; ScratchSize: 0
; MemoryBound: 0
; FloatMode: 240
; IeeeMode: 1
; LDSByteSize: 0 bytes/workgroup (compile time only)
; SGPRBlocks: 0
; VGPRBlocks: 1
; NumSGPRsForWavesPerEU: 29
; NumVGPRsForWavesPerEU: 17
; NamedBarCnt: 0
; Occupancy: 16
; WaveLimiterHint : 1
; COMPUTE_PGM_RSRC2:SCRATCH_EN: 0
; COMPUTE_PGM_RSRC2:USER_SGPR: 2
; COMPUTE_PGM_RSRC2:TRAP_HANDLER: 0
; COMPUTE_PGM_RSRC2:TGID_X_EN: 1
; COMPUTE_PGM_RSRC2:TGID_Y_EN: 0
; COMPUTE_PGM_RSRC2:TGID_Z_EN: 0
; COMPUTE_PGM_RSRC2:TIDIG_COMP_CNT: 0
	.section	.text._ZL11k_bin_bcastIXadL_ZL6op_mulffEEfffJPKfS1_S1_S1_S1_S1_S1_EEvPKT0_PKT1_PT2_iii15HIP_vector_typeIjLj3EESB_SB_SB_SB_iiiiiiiiiiiDpT3_,"axG",@progbits,_ZL11k_bin_bcastIXadL_ZL6op_mulffEEfffJPKfS1_S1_S1_S1_S1_S1_EEvPKT0_PKT1_PT2_iii15HIP_vector_typeIjLj3EESB_SB_SB_SB_iiiiiiiiiiiDpT3_,comdat
	.globl	_ZL11k_bin_bcastIXadL_ZL6op_mulffEEfffJPKfS1_S1_S1_S1_S1_S1_EEvPKT0_PKT1_PT2_iii15HIP_vector_typeIjLj3EESB_SB_SB_SB_iiiiiiiiiiiDpT3_ ; -- Begin function _ZL11k_bin_bcastIXadL_ZL6op_mulffEEfffJPKfS1_S1_S1_S1_S1_S1_EEvPKT0_PKT1_PT2_iii15HIP_vector_typeIjLj3EESB_SB_SB_SB_iiiiiiiiiiiDpT3_
	.p2align	8
	.type	_ZL11k_bin_bcastIXadL_ZL6op_mulffEEfffJPKfS1_S1_S1_S1_S1_S1_EEvPKT0_PKT1_PT2_iii15HIP_vector_typeIjLj3EESB_SB_SB_SB_iiiiiiiiiiiDpT3_,@function
_ZL11k_bin_bcastIXadL_ZL6op_mulffEEfffJPKfS1_S1_S1_S1_S1_S1_EEvPKT0_PKT1_PT2_iii15HIP_vector_typeIjLj3EESB_SB_SB_SB_iiiiiiiiiiiDpT3_: ; @_ZL11k_bin_bcastIXadL_ZL6op_mulffEEfffJPKfS1_S1_S1_S1_S1_S1_EEvPKT0_PKT1_PT2_iii15HIP_vector_typeIjLj3EESB_SB_SB_SB_iiiiiiiiiiiDpT3_
; %bb.0:
	s_load_b64 s[2:3], s[0:1], 0xd4
	s_bfe_u32 s5, ttmp6, 0x40014
	s_bfe_u32 s7, ttmp6, 0x40010
	;; [unrolled: 1-line block ×3, first 2 shown]
	s_lshr_b32 s4, ttmp7, 16
	s_and_b32 s16, ttmp7, 0xffff
	s_add_co_i32 s5, s5, 1
	s_add_co_i32 s7, s7, 1
	s_load_b256 s[8:15], s[0:1], 0x18
	s_add_co_i32 s19, s19, 1
	s_bfe_u32 s6, ttmp6, 0x40008
	s_bfe_u32 s17, ttmp6, 0x40004
	s_mul_i32 s5, s4, s5
	s_mul_i32 s7, s16, s7
	s_and_b32 s18, ttmp6, 15
	s_mul_i32 s19, ttmp9, s19
	s_add_co_i32 s6, s6, s5
	s_add_co_i32 s17, s17, s7
	;; [unrolled: 1-line block ×3, first 2 shown]
	v_bfe_u32 v1, v0, 20, 10
	s_wait_kmcnt 0x0
	s_lshr_b32 s5, s2, 16
	s_and_b32 s7, s2, 0xffff
	s_getreg_b32 s2, hwreg(HW_REG_IB_STS2, 6, 4)
	s_and_b32 s3, s3, 0xffff
	s_cmp_eq_u32 s2, 0
	v_and_b32_e32 v2, 0x3ff, v0
	s_cselect_b32 s2, s4, s6
	v_bfe_u32 v4, v0, 10, 10
	v_mad_u32 v3, s2, s3, v1
	s_cselect_b32 s2, ttmp9, s18
	s_cselect_b32 s3, s16, s17
	v_mad_u32 v0, s2, s7, v2
	v_mad_u32 v2, s3, s5, v4
	s_delay_alu instid0(VALU_DEP_3) | instskip(NEXT) | instid1(VALU_DEP_3)
	v_mul_hi_u32 v1, v3, s11
	v_cmp_gt_u32_e32 vcc_lo, s8, v0
	s_delay_alu instid0(VALU_DEP_3) | instskip(SKIP_2) | instid1(VALU_DEP_1)
	v_cmp_gt_u32_e64 s2, s9, v2
	s_and_b32 s2, vcc_lo, s2
	v_add_nc_u32_e32 v1, v3, v1
	v_lshrrev_b32_e32 v1, s12, v1
	s_delay_alu instid0(VALU_DEP_1) | instskip(SKIP_3) | instid1(VALU_DEP_1)
	v_mul_lo_u32 v5, v1, s13
	v_cmp_gt_u32_e64 s3, s10, v1
	s_and_b32 s2, s2, s3
	v_sub_nc_u32_e32 v3, v3, v5
	v_cmp_gt_u32_e64 s4, s13, v3
	s_and_b32 s2, s2, s4
	s_delay_alu instid0(SALU_CYCLE_1)
	s_and_saveexec_b32 s3, s2
	s_cbranch_execz .LBB137_6
; %bb.1:
	v_cmp_gt_i32_e32 vcc_lo, s8, v0
	s_and_b32 exec_lo, exec_lo, vcc_lo
	s_cbranch_execz .LBB137_6
; %bb.2:
	s_clause 0x3
	s_load_b256 s[24:31], s[0:1], 0x3c
	s_load_b32 s2, s[0:1], 0x5c
	s_load_b256 s[16:23], s[0:1], 0x60
	s_load_b96 s[4:6], s[0:1], 0x80
	s_add_nc_u64 s[10:11], s[0:1], 0xc8
	s_clause 0x1
	s_load_b256 s[36:43], s[0:1], 0x90
	s_load_b64 s[12:13], s[0:1], 0x10
	s_wait_kmcnt 0x0
	v_mul_hi_u32 v4, s30, v3
	v_mul_hi_u32 v5, s27, v1
	;; [unrolled: 1-line block ×3, first 2 shown]
	v_mul_lo_u32 v7, v2, s20
	v_mul_lo_u32 v8, v2, s16
	s_delay_alu instid0(VALU_DEP_4) | instskip(NEXT) | instid1(VALU_DEP_3)
	v_dual_add_nc_u32 v4, v3, v4 :: v_dual_add_nc_u32 v5, v1, v5
	v_mad_u32 v7, v1, s21, v7
	s_delay_alu instid0(VALU_DEP_3) | instskip(NEXT) | instid1(VALU_DEP_3)
	v_mad_u32 v8, v1, s17, v8
	v_dual_lshrrev_b32 v4, s31, v4 :: v_dual_lshrrev_b32 v5, s28, v5
	s_delay_alu instid0(VALU_DEP_1) | instskip(SKIP_1) | instid1(VALU_DEP_3)
	v_mul_lo_u32 v4, v4, s2
	v_add_nc_u32_e32 v6, v2, v6
	v_mul_lo_u32 v5, v5, s29
	s_load_b64 s[2:3], s[0:1], 0x0
	v_mad_u32 v8, v3, s18, v8
	s_delay_alu instid0(VALU_DEP_3) | instskip(NEXT) | instid1(VALU_DEP_3)
	v_dual_sub_nc_u32 v4, v3, v4 :: v_dual_lshrrev_b32 v6, s25, v6
	v_sub_nc_u32_e32 v5, v1, v5
	s_delay_alu instid0(VALU_DEP_2) | instskip(NEXT) | instid1(VALU_DEP_3)
	v_mul_lo_u32 v9, v4, s6
	v_mul_lo_u32 v6, v6, s26
	s_load_b32 s6, s[10:11], 0x0
	s_load_b32 s9, s[0:1], 0x38
	v_mad_u32 v4, v3, s22, v7
	s_load_b256 s[24:31], s[0:1], 0xb0
	v_mov_b32_e32 v1, 0
	s_wait_xcnt 0x0
	s_mov_b32 s1, 0
	s_wait_kmcnt 0x0
	s_cmp_lg_u64 s[2:3], 0
	s_mov_b32 s0, s14
	v_mad_u32 v7, v5, s5, v9
	v_sub_nc_u32_e32 v2, v2, v6
	v_mul_lo_u32 v6, s19, v0
	v_dual_mov_b32 v5, v1 :: v_dual_mov_b32 v9, v1
	v_mov_b32_e32 v3, v1
	s_delay_alu instid0(VALU_DEP_2) | instskip(NEXT) | instid1(VALU_DEP_3)
	v_lshl_add_u64 v[4:5], v[4:5], 2, s[2:3]
	v_lshl_add_u64 v[8:9], v[8:9], 2, s[12:13]
	s_mul_i32 s2, s6, s7
	v_mad_u32 v2, v2, s4, v7
	s_cselect_b32 s3, -1, 0
	s_mul_i32 s4, s2, s19
	s_sub_co_i32 s5, 0, s9
	s_mov_b32 s6, s1
	s_branch .LBB137_4
.LBB137_3:                              ;   in Loop: Header=BB137_4 Depth=1
	s_wait_xcnt 0x0
	v_mul_u64_e32 v[10:11], s[0:1], v[0:1]
	s_delay_alu instid0(VALU_DEP_1) | instskip(NEXT) | instid1(VALU_DEP_1)
	v_dual_add_nc_u32 v6, s4, v6 :: v_dual_add_nc_u32 v10, v0, v11
	v_dual_mov_b32 v11, v1 :: v_dual_lshrrev_b32 v10, s15, v10
	s_delay_alu instid0(VALU_DEP_1) | instskip(NEXT) | instid1(VALU_DEP_1)
	v_mad_u32 v10, s5, v10, v0
	v_mul_lo_u32 v10, v10, s23
	s_delay_alu instid0(VALU_DEP_1) | instskip(NEXT) | instid1(VALU_DEP_1)
	v_add_nc_u64_e32 v[10:11], v[10:11], v[2:3]
	v_lshlrev_b64_e32 v[10:11], 2, v[10:11]
	s_delay_alu instid0(VALU_DEP_1)
	v_add_nc_u64_e32 v[12:13], s[36:37], v[10:11]
	v_add_nc_u64_e32 v[14:15], s[38:39], v[10:11]
	global_load_b32 v16, v[12:13], off
	s_wait_xcnt 0x0
	v_add_nc_u64_e32 v[12:13], s[40:41], v[10:11]
	global_load_b32 v17, v[14:15], off
	s_wait_xcnt 0x0
	;; [unrolled: 3-line block ×4, first 2 shown]
	v_add_nc_u64_e32 v[14:15], s[26:27], v[10:11]
	v_add_nc_u64_e32 v[10:11], s[28:29], v[10:11]
	global_load_b32 v12, v[12:13], off
	global_load_b32 v13, v[14:15], off
	;; [unrolled: 1-line block ×3, first 2 shown]
	s_wait_xcnt 0x0
	v_dual_mov_b32 v10, v0 :: v_dual_ashrrev_i32 v11, 31, v0
	v_add_nc_u32_e32 v0, s2, v0
	s_delay_alu instid0(VALU_DEP_2) | instskip(NEXT) | instid1(VALU_DEP_2)
	v_lshl_add_u64 v[10:11], v[10:11], 2, v[8:9]
	v_cmp_le_i32_e32 vcc_lo, s8, v0
	s_or_b32 s6, vcc_lo, s6
	s_wait_loadcnt 0x6
	v_mul_f32_e32 v7, v7, v16
	s_wait_loadcnt 0x5
	s_delay_alu instid0(VALU_DEP_1) | instskip(SKIP_1) | instid1(VALU_DEP_1)
	v_mul_f32_e32 v7, v7, v17
	s_wait_loadcnt 0x4
	v_mul_f32_e32 v7, v7, v18
	s_wait_loadcnt 0x3
	s_delay_alu instid0(VALU_DEP_1) | instskip(SKIP_1) | instid1(VALU_DEP_1)
	v_mul_f32_e32 v7, v7, v19
	s_wait_loadcnt 0x2
	v_mul_f32_e32 v7, v7, v12
	s_wait_loadcnt 0x1
	s_delay_alu instid0(VALU_DEP_1) | instskip(SKIP_1) | instid1(VALU_DEP_1)
	v_mul_f32_e32 v7, v7, v13
	s_wait_loadcnt 0x0
	v_mul_f32_e32 v7, v7, v20
	global_store_b32 v[10:11], v7, off
	s_wait_xcnt 0x0
	s_and_not1_b32 exec_lo, exec_lo, s6
	s_cbranch_execz .LBB137_6
.LBB137_4:                              ; =>This Inner Loop Header: Depth=1
	v_mov_b32_e32 v7, 0
	s_and_not1_b32 vcc_lo, exec_lo, s3
	s_cbranch_vccnz .LBB137_3
; %bb.5:                                ;   in Loop: Header=BB137_4 Depth=1
	v_ashrrev_i32_e32 v7, 31, v6
	s_delay_alu instid0(VALU_DEP_1)
	v_lshl_add_u64 v[10:11], v[6:7], 2, v[4:5]
	global_load_b32 v7, v[10:11], off
	s_branch .LBB137_3
.LBB137_6:
	s_endpgm
	.section	.rodata,"a",@progbits
	.p2align	6, 0x0
	.amdhsa_kernel _ZL11k_bin_bcastIXadL_ZL6op_mulffEEfffJPKfS1_S1_S1_S1_S1_S1_EEvPKT0_PKT1_PT2_iii15HIP_vector_typeIjLj3EESB_SB_SB_SB_iiiiiiiiiiiDpT3_
		.amdhsa_group_segment_fixed_size 0
		.amdhsa_private_segment_fixed_size 0
		.amdhsa_kernarg_size 456
		.amdhsa_user_sgpr_count 2
		.amdhsa_user_sgpr_dispatch_ptr 0
		.amdhsa_user_sgpr_queue_ptr 0
		.amdhsa_user_sgpr_kernarg_segment_ptr 1
		.amdhsa_user_sgpr_dispatch_id 0
		.amdhsa_user_sgpr_kernarg_preload_length 0
		.amdhsa_user_sgpr_kernarg_preload_offset 0
		.amdhsa_user_sgpr_private_segment_size 0
		.amdhsa_wavefront_size32 1
		.amdhsa_uses_dynamic_stack 0
		.amdhsa_enable_private_segment 0
		.amdhsa_system_sgpr_workgroup_id_x 1
		.amdhsa_system_sgpr_workgroup_id_y 1
		.amdhsa_system_sgpr_workgroup_id_z 1
		.amdhsa_system_sgpr_workgroup_info 0
		.amdhsa_system_vgpr_workitem_id 2
		.amdhsa_next_free_vgpr 21
		.amdhsa_next_free_sgpr 44
		.amdhsa_named_barrier_count 0
		.amdhsa_reserve_vcc 1
		.amdhsa_float_round_mode_32 0
		.amdhsa_float_round_mode_16_64 0
		.amdhsa_float_denorm_mode_32 3
		.amdhsa_float_denorm_mode_16_64 3
		.amdhsa_fp16_overflow 0
		.amdhsa_memory_ordered 1
		.amdhsa_forward_progress 1
		.amdhsa_inst_pref_size 9
		.amdhsa_round_robin_scheduling 0
		.amdhsa_exception_fp_ieee_invalid_op 0
		.amdhsa_exception_fp_denorm_src 0
		.amdhsa_exception_fp_ieee_div_zero 0
		.amdhsa_exception_fp_ieee_overflow 0
		.amdhsa_exception_fp_ieee_underflow 0
		.amdhsa_exception_fp_ieee_inexact 0
		.amdhsa_exception_int_div_zero 0
	.end_amdhsa_kernel
	.section	.text._ZL11k_bin_bcastIXadL_ZL6op_mulffEEfffJPKfS1_S1_S1_S1_S1_S1_EEvPKT0_PKT1_PT2_iii15HIP_vector_typeIjLj3EESB_SB_SB_SB_iiiiiiiiiiiDpT3_,"axG",@progbits,_ZL11k_bin_bcastIXadL_ZL6op_mulffEEfffJPKfS1_S1_S1_S1_S1_S1_EEvPKT0_PKT1_PT2_iii15HIP_vector_typeIjLj3EESB_SB_SB_SB_iiiiiiiiiiiDpT3_,comdat
.Lfunc_end137:
	.size	_ZL11k_bin_bcastIXadL_ZL6op_mulffEEfffJPKfS1_S1_S1_S1_S1_S1_EEvPKT0_PKT1_PT2_iii15HIP_vector_typeIjLj3EESB_SB_SB_SB_iiiiiiiiiiiDpT3_, .Lfunc_end137-_ZL11k_bin_bcastIXadL_ZL6op_mulffEEfffJPKfS1_S1_S1_S1_S1_S1_EEvPKT0_PKT1_PT2_iii15HIP_vector_typeIjLj3EESB_SB_SB_SB_iiiiiiiiiiiDpT3_
                                        ; -- End function
	.set _ZL11k_bin_bcastIXadL_ZL6op_mulffEEfffJPKfS1_S1_S1_S1_S1_S1_EEvPKT0_PKT1_PT2_iii15HIP_vector_typeIjLj3EESB_SB_SB_SB_iiiiiiiiiiiDpT3_.num_vgpr, 21
	.set _ZL11k_bin_bcastIXadL_ZL6op_mulffEEfffJPKfS1_S1_S1_S1_S1_S1_EEvPKT0_PKT1_PT2_iii15HIP_vector_typeIjLj3EESB_SB_SB_SB_iiiiiiiiiiiDpT3_.num_agpr, 0
	.set _ZL11k_bin_bcastIXadL_ZL6op_mulffEEfffJPKfS1_S1_S1_S1_S1_S1_EEvPKT0_PKT1_PT2_iii15HIP_vector_typeIjLj3EESB_SB_SB_SB_iiiiiiiiiiiDpT3_.numbered_sgpr, 44
	.set _ZL11k_bin_bcastIXadL_ZL6op_mulffEEfffJPKfS1_S1_S1_S1_S1_S1_EEvPKT0_PKT1_PT2_iii15HIP_vector_typeIjLj3EESB_SB_SB_SB_iiiiiiiiiiiDpT3_.num_named_barrier, 0
	.set _ZL11k_bin_bcastIXadL_ZL6op_mulffEEfffJPKfS1_S1_S1_S1_S1_S1_EEvPKT0_PKT1_PT2_iii15HIP_vector_typeIjLj3EESB_SB_SB_SB_iiiiiiiiiiiDpT3_.private_seg_size, 0
	.set _ZL11k_bin_bcastIXadL_ZL6op_mulffEEfffJPKfS1_S1_S1_S1_S1_S1_EEvPKT0_PKT1_PT2_iii15HIP_vector_typeIjLj3EESB_SB_SB_SB_iiiiiiiiiiiDpT3_.uses_vcc, 1
	.set _ZL11k_bin_bcastIXadL_ZL6op_mulffEEfffJPKfS1_S1_S1_S1_S1_S1_EEvPKT0_PKT1_PT2_iii15HIP_vector_typeIjLj3EESB_SB_SB_SB_iiiiiiiiiiiDpT3_.uses_flat_scratch, 0
	.set _ZL11k_bin_bcastIXadL_ZL6op_mulffEEfffJPKfS1_S1_S1_S1_S1_S1_EEvPKT0_PKT1_PT2_iii15HIP_vector_typeIjLj3EESB_SB_SB_SB_iiiiiiiiiiiDpT3_.has_dyn_sized_stack, 0
	.set _ZL11k_bin_bcastIXadL_ZL6op_mulffEEfffJPKfS1_S1_S1_S1_S1_S1_EEvPKT0_PKT1_PT2_iii15HIP_vector_typeIjLj3EESB_SB_SB_SB_iiiiiiiiiiiDpT3_.has_recursion, 0
	.set _ZL11k_bin_bcastIXadL_ZL6op_mulffEEfffJPKfS1_S1_S1_S1_S1_S1_EEvPKT0_PKT1_PT2_iii15HIP_vector_typeIjLj3EESB_SB_SB_SB_iiiiiiiiiiiDpT3_.has_indirect_call, 0
	.section	.AMDGPU.csdata,"",@progbits
; Kernel info:
; codeLenInByte = 1056
; TotalNumSgprs: 46
; NumVgprs: 21
; ScratchSize: 0
; MemoryBound: 0
; FloatMode: 240
; IeeeMode: 1
; LDSByteSize: 0 bytes/workgroup (compile time only)
; SGPRBlocks: 0
; VGPRBlocks: 1
; NumSGPRsForWavesPerEU: 46
; NumVGPRsForWavesPerEU: 21
; NamedBarCnt: 0
; Occupancy: 16
; WaveLimiterHint : 1
; COMPUTE_PGM_RSRC2:SCRATCH_EN: 0
; COMPUTE_PGM_RSRC2:USER_SGPR: 2
; COMPUTE_PGM_RSRC2:TRAP_HANDLER: 0
; COMPUTE_PGM_RSRC2:TGID_X_EN: 1
; COMPUTE_PGM_RSRC2:TGID_Y_EN: 1
; COMPUTE_PGM_RSRC2:TGID_Z_EN: 1
; COMPUTE_PGM_RSRC2:TIDIG_COMP_CNT: 2
	.section	.text._ZL19k_bin_bcast_unravelIXadL_ZL6op_mulffEE6__halfS0_S0_JPKS0_S2_S2_S2_S2_S2_S2_EEvPKT0_PKT1_PT2_15HIP_vector_typeIjLj3EESC_SC_jSC_SC_SC_SC_SC_SC_iiiiiiiiiiiDpT3_,"axG",@progbits,_ZL19k_bin_bcast_unravelIXadL_ZL6op_mulffEE6__halfS0_S0_JPKS0_S2_S2_S2_S2_S2_S2_EEvPKT0_PKT1_PT2_15HIP_vector_typeIjLj3EESC_SC_jSC_SC_SC_SC_SC_SC_iiiiiiiiiiiDpT3_,comdat
	.globl	_ZL19k_bin_bcast_unravelIXadL_ZL6op_mulffEE6__halfS0_S0_JPKS0_S2_S2_S2_S2_S2_S2_EEvPKT0_PKT1_PT2_15HIP_vector_typeIjLj3EESC_SC_jSC_SC_SC_SC_SC_SC_iiiiiiiiiiiDpT3_ ; -- Begin function _ZL19k_bin_bcast_unravelIXadL_ZL6op_mulffEE6__halfS0_S0_JPKS0_S2_S2_S2_S2_S2_S2_EEvPKT0_PKT1_PT2_15HIP_vector_typeIjLj3EESC_SC_jSC_SC_SC_SC_SC_SC_iiiiiiiiiiiDpT3_
	.p2align	8
	.type	_ZL19k_bin_bcast_unravelIXadL_ZL6op_mulffEE6__halfS0_S0_JPKS0_S2_S2_S2_S2_S2_S2_EEvPKT0_PKT1_PT2_15HIP_vector_typeIjLj3EESC_SC_jSC_SC_SC_SC_SC_SC_iiiiiiiiiiiDpT3_,@function
_ZL19k_bin_bcast_unravelIXadL_ZL6op_mulffEE6__halfS0_S0_JPKS0_S2_S2_S2_S2_S2_S2_EEvPKT0_PKT1_PT2_15HIP_vector_typeIjLj3EESC_SC_jSC_SC_SC_SC_SC_SC_iiiiiiiiiiiDpT3_: ; @_ZL19k_bin_bcast_unravelIXadL_ZL6op_mulffEE6__halfS0_S0_JPKS0_S2_S2_S2_S2_S2_S2_EEvPKT0_PKT1_PT2_15HIP_vector_typeIjLj3EESC_SC_jSC_SC_SC_SC_SC_SC_iiiiiiiiiiiDpT3_
; %bb.0:
	s_load_b32 s2, s[0:1], 0xfc
	s_bfe_u32 s3, ttmp6, 0x4000c
	s_load_b256 s[4:11], s[0:1], 0x38
	s_add_co_i32 s3, s3, 1
	s_and_b32 s12, ttmp6, 15
	s_mul_i32 s3, ttmp9, s3
	s_getreg_b32 s13, hwreg(HW_REG_IB_STS2, 6, 4)
	s_add_co_i32 s12, s12, s3
	s_wait_kmcnt 0x0
	s_and_b32 s2, s2, 0xffff
	s_cmp_eq_u32 s13, 0
	s_cselect_b32 s3, ttmp9, s12
	s_delay_alu instid0(SALU_CYCLE_1) | instskip(SKIP_1) | instid1(VALU_DEP_1)
	v_mad_u32 v0, s3, s2, v0
	s_load_b32 s2, s[0:1], 0x2c
	v_mul_hi_u32 v1, v0, s6
	s_delay_alu instid0(VALU_DEP_1) | instskip(NEXT) | instid1(VALU_DEP_1)
	v_add_nc_u32_e32 v1, v0, v1
	v_lshrrev_b32_e32 v1, s7, v1
	s_delay_alu instid0(VALU_DEP_1) | instskip(NEXT) | instid1(VALU_DEP_1)
	v_mul_lo_u32 v2, v1, s8
	v_sub_nc_u32_e32 v0, v0, v2
	s_delay_alu instid0(VALU_DEP_1) | instskip(NEXT) | instid1(VALU_DEP_1)
	v_mul_hi_u32 v2, v0, s9
	v_add_nc_u32_e32 v2, v0, v2
	s_delay_alu instid0(VALU_DEP_1) | instskip(SKIP_1) | instid1(VALU_DEP_1)
	v_lshrrev_b32_e32 v2, s10, v2
	s_load_b96 s[8:10], s[0:1], 0x18
	v_mul_lo_u32 v3, v2, s11
	s_delay_alu instid0(VALU_DEP_1) | instskip(SKIP_3) | instid1(VALU_DEP_3)
	v_sub_nc_u32_e32 v0, v0, v3
	v_cmp_gt_u32_e64 s3, s4, v2
	v_cmp_gt_u32_e64 s4, s5, v1
	s_wait_kmcnt 0x0
	v_mul_hi_u32 v3, v0, s8
	s_delay_alu instid0(VALU_DEP_1) | instskip(NEXT) | instid1(VALU_DEP_1)
	v_add_nc_u32_e32 v3, v0, v3
	v_lshrrev_b32_e32 v4, s9, v3
	s_delay_alu instid0(VALU_DEP_1) | instskip(NEXT) | instid1(VALU_DEP_1)
	v_mul_lo_u32 v3, v4, s10
	v_sub_nc_u32_e32 v0, v0, v3
	v_cmp_gt_u32_e64 s2, s2, v4
	s_delay_alu instid0(VALU_DEP_2) | instskip(SKIP_1) | instid1(SALU_CYCLE_1)
	v_cmp_gt_u32_e32 vcc_lo, s10, v0
	s_and_b32 s2, vcc_lo, s2
	s_and_b32 s2, s2, s3
	s_delay_alu instid0(SALU_CYCLE_1) | instskip(NEXT) | instid1(SALU_CYCLE_1)
	s_and_b32 s2, s4, s2
	s_and_saveexec_b32 s3, s2
	s_cbranch_execz .LBB138_4
; %bb.1:
	s_clause 0x4
	s_load_b64 s[2:3], s[0:1], 0x0
	s_load_b96 s[24:26], s[0:1], 0xa8
	s_load_b256 s[4:11], s[0:1], 0x88
	s_load_b128 s[20:23], s[0:1], 0x78
	s_load_b256 s[12:19], s[0:1], 0x58
	v_dual_mov_b32 v3, 0 :: v_dual_mov_b32 v5, 0
	s_wait_kmcnt 0x0
	s_cmp_eq_u64 s[2:3], 0
	s_cbranch_scc1 .LBB138_3
; %bb.2:
	v_mul_lo_u32 v5, v1, s10
	v_mov_b32_e32 v7, 0
	s_delay_alu instid0(VALU_DEP_2) | instskip(NEXT) | instid1(VALU_DEP_1)
	v_mad_u32 v5, v2, s9, v5
	v_mad_u32 v6, v4, s8, v5
	s_delay_alu instid0(VALU_DEP_1) | instskip(SKIP_1) | instid1(VALU_DEP_1)
	v_lshl_add_u64 v[8:9], v[6:7], 1, s[2:3]
	v_mul_lo_u32 v6, v0, s7
	v_lshl_add_u64 v[6:7], v[6:7], 1, v[8:9]
	global_load_u16 v5, v[6:7], off
	s_wait_loadcnt 0x0
	v_cvt_f32_f16_e32 v5, v5
.LBB138_3:
	v_mul_hi_u32 v6, s21, v1
	v_mul_hi_u32 v7, s18, v2
	;; [unrolled: 1-line block ×4, first 2 shown]
	s_load_b64 s[2:3], s[0:1], 0xe8
	s_delay_alu instid0(VALU_DEP_3) | instskip(NEXT) | instid1(VALU_DEP_1)
	v_dual_add_nc_u32 v6, v1, v6 :: v_dual_add_nc_u32 v7, v2, v7
	v_dual_lshrrev_b32 v6, s22, v6 :: v_dual_lshrrev_b32 v7, s19, v7
	s_delay_alu instid0(VALU_DEP_1) | instskip(SKIP_1) | instid1(VALU_DEP_3)
	v_mul_lo_u32 v6, v6, s23
	v_add_nc_u32_e32 v8, v4, v8
	v_mul_lo_u32 v7, v7, s20
	s_delay_alu instid0(VALU_DEP_3) | instskip(NEXT) | instid1(VALU_DEP_2)
	v_dual_sub_nc_u32 v6, v1, v6 :: v_dual_add_nc_u32 v9, v0, v9
	v_dual_lshrrev_b32 v8, s16, v8 :: v_dual_sub_nc_u32 v7, v2, v7
	v_mul_lo_u32 v1, v1, s6
	s_delay_alu instid0(VALU_DEP_3) | instskip(NEXT) | instid1(VALU_DEP_4)
	v_mul_lo_u32 v6, v6, s26
	v_lshrrev_b32_e32 v9, s13, v9
	s_delay_alu instid0(VALU_DEP_4) | instskip(SKIP_1) | instid1(VALU_DEP_2)
	v_mul_lo_u32 v8, v8, s17
	s_load_b128 s[16:19], s[0:1], 0xd8
	v_mul_lo_u32 v9, v9, s14
	v_mad_u32 v1, v2, s5, v1
	v_mad_u32 v7, v7, s25, v6
	s_delay_alu instid0(VALU_DEP_4) | instskip(NEXT) | instid1(VALU_DEP_1)
	v_sub_nc_u32_e32 v8, v4, v8
	v_mad_u32 v8, v8, s24, v7
	s_delay_alu instid0(VALU_DEP_1) | instskip(NEXT) | instid1(VALU_DEP_1)
	v_dual_sub_nc_u32 v6, v0, v9 :: v_dual_ashrrev_i32 v9, 31, v8
	v_mul_lo_u32 v6, v6, s11
	s_load_b256 s[8:15], s[0:1], 0xb8
	s_delay_alu instid0(VALU_DEP_1) | instskip(SKIP_2) | instid1(VALU_DEP_1)
	v_ashrrev_i32_e32 v7, 31, v6
	s_wait_xcnt 0x0
	s_load_b64 s[0:1], s[0:1], 0x10
	v_add_nc_u64_e32 v[6:7], v[6:7], v[8:9]
	s_delay_alu instid0(VALU_DEP_1) | instskip(SKIP_1) | instid1(VALU_DEP_1)
	v_lshlrev_b64_e32 v[6:7], 1, v[6:7]
	s_wait_kmcnt 0x0
	v_add_nc_u64_e32 v[8:9], s[8:9], v[6:7]
	v_add_nc_u64_e32 v[10:11], s[10:11], v[6:7]
	global_load_u16 v12, v[8:9], off
	s_wait_xcnt 0x0
	v_add_nc_u64_e32 v[8:9], s[12:13], v[6:7]
	global_load_u16 v13, v[10:11], off
	s_wait_xcnt 0x0
	;; [unrolled: 3-line block ×4, first 2 shown]
	v_add_nc_u64_e32 v[10:11], s[18:19], v[6:7]
	v_add_nc_u64_e32 v[6:7], s[2:3], v[6:7]
	global_load_u16 v16, v[8:9], off
	global_load_u16 v17, v[10:11], off
	;; [unrolled: 1-line block ×3, first 2 shown]
	s_wait_loadcnt 0x6
	s_wait_xcnt 0x0
	v_cvt_f32_f16_e32 v7, v12
	s_wait_loadcnt 0x5
	v_cvt_f32_f16_e32 v8, v13
	s_delay_alu instid0(VALU_DEP_2) | instskip(SKIP_2) | instid1(VALU_DEP_2)
	v_mul_f32_e32 v5, v5, v7
	s_wait_loadcnt 0x4
	v_cvt_f32_f16_e32 v2, v14
	v_mul_f32_e32 v5, v5, v8
	s_wait_loadcnt 0x3
	v_cvt_f32_f16_e32 v7, v15
	s_delay_alu instid0(VALU_DEP_2) | instskip(SKIP_3) | instid1(VALU_DEP_3)
	v_mul_f32_e32 v5, v5, v2
	v_mad_u32 v2, v4, s4, v1
	s_wait_loadcnt 0x2
	v_cvt_f32_f16_e32 v1, v16
	v_mul_f32_e32 v4, v5, v7
	s_wait_loadcnt 0x1
	v_cvt_f32_f16_e32 v5, v17
	s_delay_alu instid0(VALU_DEP_2) | instskip(SKIP_1) | instid1(VALU_DEP_2)
	v_dual_mul_f32 v4, v4, v1 :: v_dual_mov_b32 v1, v3
	v_lshl_add_u64 v[2:3], v[2:3], 1, s[0:1]
	v_mul_f32_e32 v4, v4, v5
	s_delay_alu instid0(VALU_DEP_2) | instskip(SKIP_1) | instid1(VALU_DEP_2)
	v_lshl_add_u64 v[0:1], v[0:1], 1, v[2:3]
	s_wait_loadcnt 0x0
	v_fma_mixlo_f16 v4, v4, v6, 0 op_sel_hi:[0,1,0]
	global_store_b16 v[0:1], v4, off
.LBB138_4:
	s_endpgm
	.section	.rodata,"a",@progbits
	.p2align	6, 0x0
	.amdhsa_kernel _ZL19k_bin_bcast_unravelIXadL_ZL6op_mulffEE6__halfS0_S0_JPKS0_S2_S2_S2_S2_S2_S2_EEvPKT0_PKT1_PT2_15HIP_vector_typeIjLj3EESC_SC_jSC_SC_SC_SC_SC_SC_iiiiiiiiiiiDpT3_
		.amdhsa_group_segment_fixed_size 0
		.amdhsa_private_segment_fixed_size 0
		.amdhsa_kernarg_size 496
		.amdhsa_user_sgpr_count 2
		.amdhsa_user_sgpr_dispatch_ptr 0
		.amdhsa_user_sgpr_queue_ptr 0
		.amdhsa_user_sgpr_kernarg_segment_ptr 1
		.amdhsa_user_sgpr_dispatch_id 0
		.amdhsa_user_sgpr_kernarg_preload_length 0
		.amdhsa_user_sgpr_kernarg_preload_offset 0
		.amdhsa_user_sgpr_private_segment_size 0
		.amdhsa_wavefront_size32 1
		.amdhsa_uses_dynamic_stack 0
		.amdhsa_enable_private_segment 0
		.amdhsa_system_sgpr_workgroup_id_x 1
		.amdhsa_system_sgpr_workgroup_id_y 0
		.amdhsa_system_sgpr_workgroup_id_z 0
		.amdhsa_system_sgpr_workgroup_info 0
		.amdhsa_system_vgpr_workitem_id 0
		.amdhsa_next_free_vgpr 18
		.amdhsa_next_free_sgpr 27
		.amdhsa_named_barrier_count 0
		.amdhsa_reserve_vcc 1
		.amdhsa_float_round_mode_32 0
		.amdhsa_float_round_mode_16_64 0
		.amdhsa_float_denorm_mode_32 3
		.amdhsa_float_denorm_mode_16_64 3
		.amdhsa_fp16_overflow 0
		.amdhsa_memory_ordered 1
		.amdhsa_forward_progress 1
		.amdhsa_inst_pref_size 8
		.amdhsa_round_robin_scheduling 0
		.amdhsa_exception_fp_ieee_invalid_op 0
		.amdhsa_exception_fp_denorm_src 0
		.amdhsa_exception_fp_ieee_div_zero 0
		.amdhsa_exception_fp_ieee_overflow 0
		.amdhsa_exception_fp_ieee_underflow 0
		.amdhsa_exception_fp_ieee_inexact 0
		.amdhsa_exception_int_div_zero 0
	.end_amdhsa_kernel
	.section	.text._ZL19k_bin_bcast_unravelIXadL_ZL6op_mulffEE6__halfS0_S0_JPKS0_S2_S2_S2_S2_S2_S2_EEvPKT0_PKT1_PT2_15HIP_vector_typeIjLj3EESC_SC_jSC_SC_SC_SC_SC_SC_iiiiiiiiiiiDpT3_,"axG",@progbits,_ZL19k_bin_bcast_unravelIXadL_ZL6op_mulffEE6__halfS0_S0_JPKS0_S2_S2_S2_S2_S2_S2_EEvPKT0_PKT1_PT2_15HIP_vector_typeIjLj3EESC_SC_jSC_SC_SC_SC_SC_SC_iiiiiiiiiiiDpT3_,comdat
.Lfunc_end138:
	.size	_ZL19k_bin_bcast_unravelIXadL_ZL6op_mulffEE6__halfS0_S0_JPKS0_S2_S2_S2_S2_S2_S2_EEvPKT0_PKT1_PT2_15HIP_vector_typeIjLj3EESC_SC_jSC_SC_SC_SC_SC_SC_iiiiiiiiiiiDpT3_, .Lfunc_end138-_ZL19k_bin_bcast_unravelIXadL_ZL6op_mulffEE6__halfS0_S0_JPKS0_S2_S2_S2_S2_S2_S2_EEvPKT0_PKT1_PT2_15HIP_vector_typeIjLj3EESC_SC_jSC_SC_SC_SC_SC_SC_iiiiiiiiiiiDpT3_
                                        ; -- End function
	.set _ZL19k_bin_bcast_unravelIXadL_ZL6op_mulffEE6__halfS0_S0_JPKS0_S2_S2_S2_S2_S2_S2_EEvPKT0_PKT1_PT2_15HIP_vector_typeIjLj3EESC_SC_jSC_SC_SC_SC_SC_SC_iiiiiiiiiiiDpT3_.num_vgpr, 18
	.set _ZL19k_bin_bcast_unravelIXadL_ZL6op_mulffEE6__halfS0_S0_JPKS0_S2_S2_S2_S2_S2_S2_EEvPKT0_PKT1_PT2_15HIP_vector_typeIjLj3EESC_SC_jSC_SC_SC_SC_SC_SC_iiiiiiiiiiiDpT3_.num_agpr, 0
	.set _ZL19k_bin_bcast_unravelIXadL_ZL6op_mulffEE6__halfS0_S0_JPKS0_S2_S2_S2_S2_S2_S2_EEvPKT0_PKT1_PT2_15HIP_vector_typeIjLj3EESC_SC_jSC_SC_SC_SC_SC_SC_iiiiiiiiiiiDpT3_.numbered_sgpr, 27
	.set _ZL19k_bin_bcast_unravelIXadL_ZL6op_mulffEE6__halfS0_S0_JPKS0_S2_S2_S2_S2_S2_S2_EEvPKT0_PKT1_PT2_15HIP_vector_typeIjLj3EESC_SC_jSC_SC_SC_SC_SC_SC_iiiiiiiiiiiDpT3_.num_named_barrier, 0
	.set _ZL19k_bin_bcast_unravelIXadL_ZL6op_mulffEE6__halfS0_S0_JPKS0_S2_S2_S2_S2_S2_S2_EEvPKT0_PKT1_PT2_15HIP_vector_typeIjLj3EESC_SC_jSC_SC_SC_SC_SC_SC_iiiiiiiiiiiDpT3_.private_seg_size, 0
	.set _ZL19k_bin_bcast_unravelIXadL_ZL6op_mulffEE6__halfS0_S0_JPKS0_S2_S2_S2_S2_S2_S2_EEvPKT0_PKT1_PT2_15HIP_vector_typeIjLj3EESC_SC_jSC_SC_SC_SC_SC_SC_iiiiiiiiiiiDpT3_.uses_vcc, 1
	.set _ZL19k_bin_bcast_unravelIXadL_ZL6op_mulffEE6__halfS0_S0_JPKS0_S2_S2_S2_S2_S2_S2_EEvPKT0_PKT1_PT2_15HIP_vector_typeIjLj3EESC_SC_jSC_SC_SC_SC_SC_SC_iiiiiiiiiiiDpT3_.uses_flat_scratch, 0
	.set _ZL19k_bin_bcast_unravelIXadL_ZL6op_mulffEE6__halfS0_S0_JPKS0_S2_S2_S2_S2_S2_S2_EEvPKT0_PKT1_PT2_15HIP_vector_typeIjLj3EESC_SC_jSC_SC_SC_SC_SC_SC_iiiiiiiiiiiDpT3_.has_dyn_sized_stack, 0
	.set _ZL19k_bin_bcast_unravelIXadL_ZL6op_mulffEE6__halfS0_S0_JPKS0_S2_S2_S2_S2_S2_S2_EEvPKT0_PKT1_PT2_15HIP_vector_typeIjLj3EESC_SC_jSC_SC_SC_SC_SC_SC_iiiiiiiiiiiDpT3_.has_recursion, 0
	.set _ZL19k_bin_bcast_unravelIXadL_ZL6op_mulffEE6__halfS0_S0_JPKS0_S2_S2_S2_S2_S2_S2_EEvPKT0_PKT1_PT2_15HIP_vector_typeIjLj3EESC_SC_jSC_SC_SC_SC_SC_SC_iiiiiiiiiiiDpT3_.has_indirect_call, 0
	.section	.AMDGPU.csdata,"",@progbits
; Kernel info:
; codeLenInByte = 960
; TotalNumSgprs: 29
; NumVgprs: 18
; ScratchSize: 0
; MemoryBound: 0
; FloatMode: 240
; IeeeMode: 1
; LDSByteSize: 0 bytes/workgroup (compile time only)
; SGPRBlocks: 0
; VGPRBlocks: 1
; NumSGPRsForWavesPerEU: 29
; NumVGPRsForWavesPerEU: 18
; NamedBarCnt: 0
; Occupancy: 16
; WaveLimiterHint : 1
; COMPUTE_PGM_RSRC2:SCRATCH_EN: 0
; COMPUTE_PGM_RSRC2:USER_SGPR: 2
; COMPUTE_PGM_RSRC2:TRAP_HANDLER: 0
; COMPUTE_PGM_RSRC2:TGID_X_EN: 1
; COMPUTE_PGM_RSRC2:TGID_Y_EN: 0
; COMPUTE_PGM_RSRC2:TGID_Z_EN: 0
; COMPUTE_PGM_RSRC2:TIDIG_COMP_CNT: 0
	.section	.text._ZL11k_bin_bcastIXadL_ZL6op_mulffEE6__halfS0_S0_JPKS0_S2_S2_S2_S2_S2_S2_EEvPKT0_PKT1_PT2_iii15HIP_vector_typeIjLj3EESC_SC_SC_SC_iiiiiiiiiiiDpT3_,"axG",@progbits,_ZL11k_bin_bcastIXadL_ZL6op_mulffEE6__halfS0_S0_JPKS0_S2_S2_S2_S2_S2_S2_EEvPKT0_PKT1_PT2_iii15HIP_vector_typeIjLj3EESC_SC_SC_SC_iiiiiiiiiiiDpT3_,comdat
	.globl	_ZL11k_bin_bcastIXadL_ZL6op_mulffEE6__halfS0_S0_JPKS0_S2_S2_S2_S2_S2_S2_EEvPKT0_PKT1_PT2_iii15HIP_vector_typeIjLj3EESC_SC_SC_SC_iiiiiiiiiiiDpT3_ ; -- Begin function _ZL11k_bin_bcastIXadL_ZL6op_mulffEE6__halfS0_S0_JPKS0_S2_S2_S2_S2_S2_S2_EEvPKT0_PKT1_PT2_iii15HIP_vector_typeIjLj3EESC_SC_SC_SC_iiiiiiiiiiiDpT3_
	.p2align	8
	.type	_ZL11k_bin_bcastIXadL_ZL6op_mulffEE6__halfS0_S0_JPKS0_S2_S2_S2_S2_S2_S2_EEvPKT0_PKT1_PT2_iii15HIP_vector_typeIjLj3EESC_SC_SC_SC_iiiiiiiiiiiDpT3_,@function
_ZL11k_bin_bcastIXadL_ZL6op_mulffEE6__halfS0_S0_JPKS0_S2_S2_S2_S2_S2_S2_EEvPKT0_PKT1_PT2_iii15HIP_vector_typeIjLj3EESC_SC_SC_SC_iiiiiiiiiiiDpT3_: ; @_ZL11k_bin_bcastIXadL_ZL6op_mulffEE6__halfS0_S0_JPKS0_S2_S2_S2_S2_S2_S2_EEvPKT0_PKT1_PT2_iii15HIP_vector_typeIjLj3EESC_SC_SC_SC_iiiiiiiiiiiDpT3_
; %bb.0:
	s_load_b64 s[2:3], s[0:1], 0xd4
	s_bfe_u32 s5, ttmp6, 0x40014
	s_bfe_u32 s7, ttmp6, 0x40010
	;; [unrolled: 1-line block ×3, first 2 shown]
	s_lshr_b32 s4, ttmp7, 16
	s_and_b32 s16, ttmp7, 0xffff
	s_add_co_i32 s5, s5, 1
	s_add_co_i32 s7, s7, 1
	s_load_b256 s[8:15], s[0:1], 0x18
	s_add_co_i32 s19, s19, 1
	s_bfe_u32 s6, ttmp6, 0x40008
	s_bfe_u32 s17, ttmp6, 0x40004
	s_mul_i32 s5, s4, s5
	s_mul_i32 s7, s16, s7
	s_and_b32 s18, ttmp6, 15
	s_mul_i32 s19, ttmp9, s19
	s_add_co_i32 s6, s6, s5
	s_add_co_i32 s17, s17, s7
	;; [unrolled: 1-line block ×3, first 2 shown]
	v_bfe_u32 v1, v0, 20, 10
	s_wait_kmcnt 0x0
	s_lshr_b32 s5, s2, 16
	s_and_b32 s7, s2, 0xffff
	s_getreg_b32 s2, hwreg(HW_REG_IB_STS2, 6, 4)
	s_and_b32 s3, s3, 0xffff
	s_cmp_eq_u32 s2, 0
	v_and_b32_e32 v2, 0x3ff, v0
	s_cselect_b32 s2, s4, s6
	v_bfe_u32 v4, v0, 10, 10
	v_mad_u32 v3, s2, s3, v1
	s_cselect_b32 s2, ttmp9, s18
	s_cselect_b32 s3, s16, s17
	v_mad_u32 v0, s2, s7, v2
	v_mad_u32 v2, s3, s5, v4
	s_delay_alu instid0(VALU_DEP_3) | instskip(NEXT) | instid1(VALU_DEP_3)
	v_mul_hi_u32 v1, v3, s11
	v_cmp_gt_u32_e32 vcc_lo, s8, v0
	s_delay_alu instid0(VALU_DEP_3) | instskip(SKIP_2) | instid1(VALU_DEP_1)
	v_cmp_gt_u32_e64 s2, s9, v2
	s_and_b32 s2, vcc_lo, s2
	v_add_nc_u32_e32 v1, v3, v1
	v_lshrrev_b32_e32 v1, s12, v1
	s_delay_alu instid0(VALU_DEP_1) | instskip(SKIP_3) | instid1(VALU_DEP_1)
	v_mul_lo_u32 v5, v1, s13
	v_cmp_gt_u32_e64 s3, s10, v1
	s_and_b32 s2, s2, s3
	v_sub_nc_u32_e32 v3, v3, v5
	v_cmp_gt_u32_e64 s4, s13, v3
	s_and_b32 s2, s2, s4
	s_delay_alu instid0(SALU_CYCLE_1)
	s_and_saveexec_b32 s3, s2
	s_cbranch_execz .LBB139_6
; %bb.1:
	v_cmp_gt_i32_e32 vcc_lo, s8, v0
	s_and_b32 exec_lo, exec_lo, vcc_lo
	s_cbranch_execz .LBB139_6
; %bb.2:
	s_clause 0x3
	s_load_b256 s[24:31], s[0:1], 0x3c
	s_load_b32 s2, s[0:1], 0x5c
	s_load_b256 s[16:23], s[0:1], 0x60
	s_load_b96 s[4:6], s[0:1], 0x80
	s_add_nc_u64 s[10:11], s[0:1], 0xc8
	s_clause 0x1
	s_load_b256 s[36:43], s[0:1], 0x90
	s_load_b64 s[12:13], s[0:1], 0x10
	s_wait_kmcnt 0x0
	v_mul_hi_u32 v4, s30, v3
	v_mul_hi_u32 v5, s27, v1
	;; [unrolled: 1-line block ×3, first 2 shown]
	v_mul_lo_u32 v7, v2, s20
	v_mul_lo_u32 v8, v2, s16
	s_delay_alu instid0(VALU_DEP_4) | instskip(NEXT) | instid1(VALU_DEP_3)
	v_dual_add_nc_u32 v4, v3, v4 :: v_dual_add_nc_u32 v5, v1, v5
	v_mad_u32 v7, v1, s21, v7
	s_delay_alu instid0(VALU_DEP_3) | instskip(NEXT) | instid1(VALU_DEP_3)
	v_mad_u32 v8, v1, s17, v8
	v_dual_lshrrev_b32 v4, s31, v4 :: v_dual_lshrrev_b32 v5, s28, v5
	s_delay_alu instid0(VALU_DEP_1) | instskip(SKIP_1) | instid1(VALU_DEP_3)
	v_mul_lo_u32 v4, v4, s2
	v_add_nc_u32_e32 v6, v2, v6
	v_mul_lo_u32 v5, v5, s29
	s_load_b64 s[2:3], s[0:1], 0x0
	v_mad_u32 v8, v3, s18, v8
	s_delay_alu instid0(VALU_DEP_3) | instskip(NEXT) | instid1(VALU_DEP_3)
	v_dual_sub_nc_u32 v4, v3, v4 :: v_dual_lshrrev_b32 v6, s25, v6
	v_sub_nc_u32_e32 v5, v1, v5
	s_delay_alu instid0(VALU_DEP_2) | instskip(NEXT) | instid1(VALU_DEP_3)
	v_mul_lo_u32 v9, v4, s6
	v_mul_lo_u32 v6, v6, s26
	s_load_b32 s6, s[10:11], 0x0
	s_load_b32 s9, s[0:1], 0x38
	v_mad_u32 v4, v3, s22, v7
	s_load_b256 s[24:31], s[0:1], 0xb0
	v_mov_b32_e32 v1, 0
	s_wait_xcnt 0x0
	s_mov_b32 s1, 0
	s_wait_kmcnt 0x0
	s_cmp_lg_u64 s[2:3], 0
	s_mov_b32 s0, s14
	v_mad_u32 v7, v5, s5, v9
	v_sub_nc_u32_e32 v2, v2, v6
	v_mul_lo_u32 v6, s19, v0
	v_dual_mov_b32 v5, v1 :: v_dual_mov_b32 v9, v1
	v_mov_b32_e32 v3, v1
	s_delay_alu instid0(VALU_DEP_2) | instskip(NEXT) | instid1(VALU_DEP_3)
	v_lshl_add_u64 v[4:5], v[4:5], 1, s[2:3]
	v_lshl_add_u64 v[8:9], v[8:9], 1, s[12:13]
	s_mul_i32 s2, s6, s7
	v_mad_u32 v2, v2, s4, v7
	s_cselect_b32 s3, -1, 0
	s_mul_i32 s4, s2, s19
	s_sub_co_i32 s5, 0, s9
	s_mov_b32 s6, s1
	s_branch .LBB139_4
.LBB139_3:                              ;   in Loop: Header=BB139_4 Depth=1
	s_wait_xcnt 0x0
	v_mul_u64_e32 v[10:11], s[0:1], v[0:1]
	s_delay_alu instid0(VALU_DEP_1) | instskip(NEXT) | instid1(VALU_DEP_1)
	v_dual_add_nc_u32 v6, s4, v6 :: v_dual_add_nc_u32 v10, v0, v11
	v_dual_mov_b32 v11, v1 :: v_dual_lshrrev_b32 v10, s15, v10
	s_delay_alu instid0(VALU_DEP_1) | instskip(NEXT) | instid1(VALU_DEP_1)
	v_mad_u32 v10, s5, v10, v0
	v_mul_lo_u32 v10, v10, s23
	s_delay_alu instid0(VALU_DEP_1) | instskip(NEXT) | instid1(VALU_DEP_1)
	v_add_nc_u64_e32 v[10:11], v[10:11], v[2:3]
	v_lshlrev_b64_e32 v[10:11], 1, v[10:11]
	s_delay_alu instid0(VALU_DEP_1)
	v_add_nc_u64_e32 v[12:13], s[36:37], v[10:11]
	v_add_nc_u64_e32 v[14:15], s[38:39], v[10:11]
	global_load_u16 v16, v[12:13], off
	s_wait_xcnt 0x0
	v_add_nc_u64_e32 v[12:13], s[40:41], v[10:11]
	global_load_u16 v17, v[14:15], off
	s_wait_xcnt 0x0
	;; [unrolled: 3-line block ×4, first 2 shown]
	v_add_nc_u64_e32 v[14:15], s[26:27], v[10:11]
	global_load_u16 v20, v[12:13], off
	global_load_u16 v21, v[14:15], off
	v_add_nc_u64_e32 v[10:11], s[28:29], v[10:11]
	global_load_u16 v12, v[10:11], off
	s_wait_loadcnt 0x6
	s_wait_xcnt 0x0
	v_cvt_f32_f16_e32 v10, v16
	s_wait_loadcnt 0x5
	v_cvt_f32_f16_e32 v11, v17
	s_delay_alu instid0(VALU_DEP_2) | instskip(SKIP_2) | instid1(VALU_DEP_2)
	v_mul_f32_e32 v7, v7, v10
	s_wait_loadcnt 0x4
	v_cvt_f32_f16_e32 v10, v18
	v_mul_f32_e32 v7, v7, v11
	s_wait_loadcnt 0x3
	v_cvt_f32_f16_e32 v11, v19
	s_delay_alu instid0(VALU_DEP_2)
	v_mul_f32_e32 v7, v7, v10
	s_wait_loadcnt 0x2
	v_cvt_f32_f16_e32 v10, v20
	s_wait_loadcnt 0x1
	v_cvt_f32_f16_e32 v13, v21
	v_dual_mul_f32 v7, v7, v11 :: v_dual_ashrrev_i32 v11, 31, v0
	s_delay_alu instid0(VALU_DEP_1) | instskip(NEXT) | instid1(VALU_DEP_1)
	v_dual_mul_f32 v7, v7, v10 :: v_dual_mov_b32 v10, v0
	v_dual_mul_f32 v7, v7, v13 :: v_dual_add_nc_u32 v0, s2, v0
	s_delay_alu instid0(VALU_DEP_2) | instskip(NEXT) | instid1(VALU_DEP_2)
	v_lshl_add_u64 v[10:11], v[10:11], 1, v[8:9]
	v_cmp_le_i32_e32 vcc_lo, s8, v0
	s_wait_loadcnt 0x0
	s_delay_alu instid0(VALU_DEP_3)
	v_fma_mixlo_f16 v7, v7, v12, 0 op_sel_hi:[0,1,0]
	s_or_b32 s6, vcc_lo, s6
	global_store_b16 v[10:11], v7, off
	s_wait_xcnt 0x0
	s_and_not1_b32 exec_lo, exec_lo, s6
	s_cbranch_execz .LBB139_6
.LBB139_4:                              ; =>This Inner Loop Header: Depth=1
	v_mov_b32_e32 v7, 0
	s_and_not1_b32 vcc_lo, exec_lo, s3
	s_cbranch_vccnz .LBB139_3
; %bb.5:                                ;   in Loop: Header=BB139_4 Depth=1
	v_ashrrev_i32_e32 v7, 31, v6
	s_delay_alu instid0(VALU_DEP_1)
	v_lshl_add_u64 v[10:11], v[6:7], 1, v[4:5]
	global_load_u16 v7, v[10:11], off
	s_wait_loadcnt 0x0
	v_cvt_f32_f16_e32 v7, v7
	s_branch .LBB139_3
.LBB139_6:
	s_endpgm
	.section	.rodata,"a",@progbits
	.p2align	6, 0x0
	.amdhsa_kernel _ZL11k_bin_bcastIXadL_ZL6op_mulffEE6__halfS0_S0_JPKS0_S2_S2_S2_S2_S2_S2_EEvPKT0_PKT1_PT2_iii15HIP_vector_typeIjLj3EESC_SC_SC_SC_iiiiiiiiiiiDpT3_
		.amdhsa_group_segment_fixed_size 0
		.amdhsa_private_segment_fixed_size 0
		.amdhsa_kernarg_size 456
		.amdhsa_user_sgpr_count 2
		.amdhsa_user_sgpr_dispatch_ptr 0
		.amdhsa_user_sgpr_queue_ptr 0
		.amdhsa_user_sgpr_kernarg_segment_ptr 1
		.amdhsa_user_sgpr_dispatch_id 0
		.amdhsa_user_sgpr_kernarg_preload_length 0
		.amdhsa_user_sgpr_kernarg_preload_offset 0
		.amdhsa_user_sgpr_private_segment_size 0
		.amdhsa_wavefront_size32 1
		.amdhsa_uses_dynamic_stack 0
		.amdhsa_enable_private_segment 0
		.amdhsa_system_sgpr_workgroup_id_x 1
		.amdhsa_system_sgpr_workgroup_id_y 1
		.amdhsa_system_sgpr_workgroup_id_z 1
		.amdhsa_system_sgpr_workgroup_info 0
		.amdhsa_system_vgpr_workitem_id 2
		.amdhsa_next_free_vgpr 22
		.amdhsa_next_free_sgpr 44
		.amdhsa_named_barrier_count 0
		.amdhsa_reserve_vcc 1
		.amdhsa_float_round_mode_32 0
		.amdhsa_float_round_mode_16_64 0
		.amdhsa_float_denorm_mode_32 3
		.amdhsa_float_denorm_mode_16_64 3
		.amdhsa_fp16_overflow 0
		.amdhsa_memory_ordered 1
		.amdhsa_forward_progress 1
		.amdhsa_inst_pref_size 9
		.amdhsa_round_robin_scheduling 0
		.amdhsa_exception_fp_ieee_invalid_op 0
		.amdhsa_exception_fp_denorm_src 0
		.amdhsa_exception_fp_ieee_div_zero 0
		.amdhsa_exception_fp_ieee_overflow 0
		.amdhsa_exception_fp_ieee_underflow 0
		.amdhsa_exception_fp_ieee_inexact 0
		.amdhsa_exception_int_div_zero 0
	.end_amdhsa_kernel
	.section	.text._ZL11k_bin_bcastIXadL_ZL6op_mulffEE6__halfS0_S0_JPKS0_S2_S2_S2_S2_S2_S2_EEvPKT0_PKT1_PT2_iii15HIP_vector_typeIjLj3EESC_SC_SC_SC_iiiiiiiiiiiDpT3_,"axG",@progbits,_ZL11k_bin_bcastIXadL_ZL6op_mulffEE6__halfS0_S0_JPKS0_S2_S2_S2_S2_S2_S2_EEvPKT0_PKT1_PT2_iii15HIP_vector_typeIjLj3EESC_SC_SC_SC_iiiiiiiiiiiDpT3_,comdat
.Lfunc_end139:
	.size	_ZL11k_bin_bcastIXadL_ZL6op_mulffEE6__halfS0_S0_JPKS0_S2_S2_S2_S2_S2_S2_EEvPKT0_PKT1_PT2_iii15HIP_vector_typeIjLj3EESC_SC_SC_SC_iiiiiiiiiiiDpT3_, .Lfunc_end139-_ZL11k_bin_bcastIXadL_ZL6op_mulffEE6__halfS0_S0_JPKS0_S2_S2_S2_S2_S2_S2_EEvPKT0_PKT1_PT2_iii15HIP_vector_typeIjLj3EESC_SC_SC_SC_iiiiiiiiiiiDpT3_
                                        ; -- End function
	.set _ZL11k_bin_bcastIXadL_ZL6op_mulffEE6__halfS0_S0_JPKS0_S2_S2_S2_S2_S2_S2_EEvPKT0_PKT1_PT2_iii15HIP_vector_typeIjLj3EESC_SC_SC_SC_iiiiiiiiiiiDpT3_.num_vgpr, 22
	.set _ZL11k_bin_bcastIXadL_ZL6op_mulffEE6__halfS0_S0_JPKS0_S2_S2_S2_S2_S2_S2_EEvPKT0_PKT1_PT2_iii15HIP_vector_typeIjLj3EESC_SC_SC_SC_iiiiiiiiiiiDpT3_.num_agpr, 0
	.set _ZL11k_bin_bcastIXadL_ZL6op_mulffEE6__halfS0_S0_JPKS0_S2_S2_S2_S2_S2_S2_EEvPKT0_PKT1_PT2_iii15HIP_vector_typeIjLj3EESC_SC_SC_SC_iiiiiiiiiiiDpT3_.numbered_sgpr, 44
	.set _ZL11k_bin_bcastIXadL_ZL6op_mulffEE6__halfS0_S0_JPKS0_S2_S2_S2_S2_S2_S2_EEvPKT0_PKT1_PT2_iii15HIP_vector_typeIjLj3EESC_SC_SC_SC_iiiiiiiiiiiDpT3_.num_named_barrier, 0
	.set _ZL11k_bin_bcastIXadL_ZL6op_mulffEE6__halfS0_S0_JPKS0_S2_S2_S2_S2_S2_S2_EEvPKT0_PKT1_PT2_iii15HIP_vector_typeIjLj3EESC_SC_SC_SC_iiiiiiiiiiiDpT3_.private_seg_size, 0
	.set _ZL11k_bin_bcastIXadL_ZL6op_mulffEE6__halfS0_S0_JPKS0_S2_S2_S2_S2_S2_S2_EEvPKT0_PKT1_PT2_iii15HIP_vector_typeIjLj3EESC_SC_SC_SC_iiiiiiiiiiiDpT3_.uses_vcc, 1
	.set _ZL11k_bin_bcastIXadL_ZL6op_mulffEE6__halfS0_S0_JPKS0_S2_S2_S2_S2_S2_S2_EEvPKT0_PKT1_PT2_iii15HIP_vector_typeIjLj3EESC_SC_SC_SC_iiiiiiiiiiiDpT3_.uses_flat_scratch, 0
	.set _ZL11k_bin_bcastIXadL_ZL6op_mulffEE6__halfS0_S0_JPKS0_S2_S2_S2_S2_S2_S2_EEvPKT0_PKT1_PT2_iii15HIP_vector_typeIjLj3EESC_SC_SC_SC_iiiiiiiiiiiDpT3_.has_dyn_sized_stack, 0
	.set _ZL11k_bin_bcastIXadL_ZL6op_mulffEE6__halfS0_S0_JPKS0_S2_S2_S2_S2_S2_S2_EEvPKT0_PKT1_PT2_iii15HIP_vector_typeIjLj3EESC_SC_SC_SC_iiiiiiiiiiiDpT3_.has_recursion, 0
	.set _ZL11k_bin_bcastIXadL_ZL6op_mulffEE6__halfS0_S0_JPKS0_S2_S2_S2_S2_S2_S2_EEvPKT0_PKT1_PT2_iii15HIP_vector_typeIjLj3EESC_SC_SC_SC_iiiiiiiiiiiDpT3_.has_indirect_call, 0
	.section	.AMDGPU.csdata,"",@progbits
; Kernel info:
; codeLenInByte = 1100
; TotalNumSgprs: 46
; NumVgprs: 22
; ScratchSize: 0
; MemoryBound: 0
; FloatMode: 240
; IeeeMode: 1
; LDSByteSize: 0 bytes/workgroup (compile time only)
; SGPRBlocks: 0
; VGPRBlocks: 1
; NumSGPRsForWavesPerEU: 46
; NumVGPRsForWavesPerEU: 22
; NamedBarCnt: 0
; Occupancy: 16
; WaveLimiterHint : 1
; COMPUTE_PGM_RSRC2:SCRATCH_EN: 0
; COMPUTE_PGM_RSRC2:USER_SGPR: 2
; COMPUTE_PGM_RSRC2:TRAP_HANDLER: 0
; COMPUTE_PGM_RSRC2:TGID_X_EN: 1
; COMPUTE_PGM_RSRC2:TGID_Y_EN: 1
; COMPUTE_PGM_RSRC2:TGID_Z_EN: 1
; COMPUTE_PGM_RSRC2:TIDIG_COMP_CNT: 2
	.section	.text._ZL19k_bin_bcast_unravelIXadL_ZL6op_mulffEE6__halffS0_JPKfS2_S2_S2_S2_S2_S2_EEvPKT0_PKT1_PT2_15HIP_vector_typeIjLj3EESC_SC_jSC_SC_SC_SC_SC_SC_iiiiiiiiiiiDpT3_,"axG",@progbits,_ZL19k_bin_bcast_unravelIXadL_ZL6op_mulffEE6__halffS0_JPKfS2_S2_S2_S2_S2_S2_EEvPKT0_PKT1_PT2_15HIP_vector_typeIjLj3EESC_SC_jSC_SC_SC_SC_SC_SC_iiiiiiiiiiiDpT3_,comdat
	.globl	_ZL19k_bin_bcast_unravelIXadL_ZL6op_mulffEE6__halffS0_JPKfS2_S2_S2_S2_S2_S2_EEvPKT0_PKT1_PT2_15HIP_vector_typeIjLj3EESC_SC_jSC_SC_SC_SC_SC_SC_iiiiiiiiiiiDpT3_ ; -- Begin function _ZL19k_bin_bcast_unravelIXadL_ZL6op_mulffEE6__halffS0_JPKfS2_S2_S2_S2_S2_S2_EEvPKT0_PKT1_PT2_15HIP_vector_typeIjLj3EESC_SC_jSC_SC_SC_SC_SC_SC_iiiiiiiiiiiDpT3_
	.p2align	8
	.type	_ZL19k_bin_bcast_unravelIXadL_ZL6op_mulffEE6__halffS0_JPKfS2_S2_S2_S2_S2_S2_EEvPKT0_PKT1_PT2_15HIP_vector_typeIjLj3EESC_SC_jSC_SC_SC_SC_SC_SC_iiiiiiiiiiiDpT3_,@function
_ZL19k_bin_bcast_unravelIXadL_ZL6op_mulffEE6__halffS0_JPKfS2_S2_S2_S2_S2_S2_EEvPKT0_PKT1_PT2_15HIP_vector_typeIjLj3EESC_SC_jSC_SC_SC_SC_SC_SC_iiiiiiiiiiiDpT3_: ; @_ZL19k_bin_bcast_unravelIXadL_ZL6op_mulffEE6__halffS0_JPKfS2_S2_S2_S2_S2_S2_EEvPKT0_PKT1_PT2_15HIP_vector_typeIjLj3EESC_SC_jSC_SC_SC_SC_SC_SC_iiiiiiiiiiiDpT3_
; %bb.0:
	s_load_b32 s2, s[0:1], 0xfc
	s_bfe_u32 s3, ttmp6, 0x4000c
	s_load_b256 s[4:11], s[0:1], 0x38
	s_add_co_i32 s3, s3, 1
	s_and_b32 s12, ttmp6, 15
	s_mul_i32 s3, ttmp9, s3
	s_getreg_b32 s13, hwreg(HW_REG_IB_STS2, 6, 4)
	s_add_co_i32 s12, s12, s3
	s_wait_kmcnt 0x0
	s_and_b32 s2, s2, 0xffff
	s_cmp_eq_u32 s13, 0
	s_cselect_b32 s3, ttmp9, s12
	s_delay_alu instid0(SALU_CYCLE_1) | instskip(SKIP_1) | instid1(VALU_DEP_1)
	v_mad_u32 v0, s3, s2, v0
	s_load_b32 s2, s[0:1], 0x2c
	v_mul_hi_u32 v1, v0, s6
	s_delay_alu instid0(VALU_DEP_1) | instskip(NEXT) | instid1(VALU_DEP_1)
	v_add_nc_u32_e32 v1, v0, v1
	v_lshrrev_b32_e32 v1, s7, v1
	s_delay_alu instid0(VALU_DEP_1) | instskip(NEXT) | instid1(VALU_DEP_1)
	v_mul_lo_u32 v2, v1, s8
	v_sub_nc_u32_e32 v0, v0, v2
	s_delay_alu instid0(VALU_DEP_1) | instskip(NEXT) | instid1(VALU_DEP_1)
	v_mul_hi_u32 v2, v0, s9
	v_add_nc_u32_e32 v2, v0, v2
	s_delay_alu instid0(VALU_DEP_1) | instskip(SKIP_1) | instid1(VALU_DEP_1)
	v_lshrrev_b32_e32 v2, s10, v2
	s_load_b96 s[8:10], s[0:1], 0x18
	v_mul_lo_u32 v3, v2, s11
	s_delay_alu instid0(VALU_DEP_1) | instskip(SKIP_3) | instid1(VALU_DEP_3)
	v_sub_nc_u32_e32 v0, v0, v3
	v_cmp_gt_u32_e64 s3, s4, v2
	v_cmp_gt_u32_e64 s4, s5, v1
	s_wait_kmcnt 0x0
	v_mul_hi_u32 v3, v0, s8
	s_delay_alu instid0(VALU_DEP_1) | instskip(NEXT) | instid1(VALU_DEP_1)
	v_add_nc_u32_e32 v3, v0, v3
	v_lshrrev_b32_e32 v4, s9, v3
	s_delay_alu instid0(VALU_DEP_1) | instskip(NEXT) | instid1(VALU_DEP_1)
	v_mul_lo_u32 v3, v4, s10
	v_sub_nc_u32_e32 v0, v0, v3
	v_cmp_gt_u32_e64 s2, s2, v4
	s_delay_alu instid0(VALU_DEP_2) | instskip(SKIP_1) | instid1(SALU_CYCLE_1)
	v_cmp_gt_u32_e32 vcc_lo, s10, v0
	s_and_b32 s2, vcc_lo, s2
	s_and_b32 s2, s2, s3
	s_delay_alu instid0(SALU_CYCLE_1) | instskip(NEXT) | instid1(SALU_CYCLE_1)
	s_and_b32 s2, s4, s2
	s_and_saveexec_b32 s3, s2
	s_cbranch_execz .LBB140_4
; %bb.1:
	s_clause 0x4
	s_load_b64 s[2:3], s[0:1], 0x0
	s_load_b96 s[24:26], s[0:1], 0xa8
	s_load_b256 s[4:11], s[0:1], 0x88
	s_load_b128 s[20:23], s[0:1], 0x78
	s_load_b256 s[12:19], s[0:1], 0x58
	v_dual_mov_b32 v3, 0 :: v_dual_mov_b32 v5, 0
	s_wait_kmcnt 0x0
	s_cmp_eq_u64 s[2:3], 0
	s_cbranch_scc1 .LBB140_3
; %bb.2:
	v_mul_lo_u32 v5, v1, s10
	v_mov_b32_e32 v7, 0
	s_delay_alu instid0(VALU_DEP_2) | instskip(NEXT) | instid1(VALU_DEP_1)
	v_mad_u32 v5, v2, s9, v5
	v_mad_u32 v6, v4, s8, v5
	s_delay_alu instid0(VALU_DEP_1) | instskip(SKIP_1) | instid1(VALU_DEP_1)
	v_lshl_add_u64 v[8:9], v[6:7], 1, s[2:3]
	v_mul_lo_u32 v6, v0, s7
	v_lshl_add_u64 v[6:7], v[6:7], 1, v[8:9]
	global_load_u16 v5, v[6:7], off
	s_wait_loadcnt 0x0
	v_cvt_f32_f16_e32 v5, v5
.LBB140_3:
	v_mul_hi_u32 v6, s21, v1
	v_mul_hi_u32 v7, s18, v2
	;; [unrolled: 1-line block ×4, first 2 shown]
	s_load_b64 s[2:3], s[0:1], 0xe8
	s_delay_alu instid0(VALU_DEP_3) | instskip(NEXT) | instid1(VALU_DEP_1)
	v_dual_add_nc_u32 v6, v1, v6 :: v_dual_add_nc_u32 v7, v2, v7
	v_dual_lshrrev_b32 v6, s22, v6 :: v_dual_lshrrev_b32 v7, s19, v7
	s_delay_alu instid0(VALU_DEP_1) | instskip(SKIP_1) | instid1(VALU_DEP_3)
	v_mul_lo_u32 v6, v6, s23
	v_add_nc_u32_e32 v8, v4, v8
	v_mul_lo_u32 v7, v7, s20
	s_delay_alu instid0(VALU_DEP_3) | instskip(NEXT) | instid1(VALU_DEP_2)
	v_dual_sub_nc_u32 v6, v1, v6 :: v_dual_add_nc_u32 v9, v0, v9
	v_dual_lshrrev_b32 v8, s16, v8 :: v_dual_sub_nc_u32 v7, v2, v7
	v_mul_lo_u32 v1, v1, s6
	s_delay_alu instid0(VALU_DEP_3) | instskip(NEXT) | instid1(VALU_DEP_4)
	v_mul_lo_u32 v6, v6, s26
	v_lshrrev_b32_e32 v9, s13, v9
	s_delay_alu instid0(VALU_DEP_4) | instskip(SKIP_1) | instid1(VALU_DEP_2)
	v_mul_lo_u32 v8, v8, s17
	s_load_b128 s[16:19], s[0:1], 0xd8
	v_mul_lo_u32 v9, v9, s14
	v_mad_u32 v1, v2, s5, v1
	v_mad_u32 v7, v7, s25, v6
	s_delay_alu instid0(VALU_DEP_4) | instskip(NEXT) | instid1(VALU_DEP_1)
	v_sub_nc_u32_e32 v8, v4, v8
	v_mad_u32 v8, v8, s24, v7
	s_delay_alu instid0(VALU_DEP_1) | instskip(NEXT) | instid1(VALU_DEP_1)
	v_dual_sub_nc_u32 v6, v0, v9 :: v_dual_ashrrev_i32 v9, 31, v8
	v_mul_lo_u32 v6, v6, s11
	s_load_b256 s[8:15], s[0:1], 0xb8
	s_delay_alu instid0(VALU_DEP_1) | instskip(SKIP_2) | instid1(VALU_DEP_1)
	v_ashrrev_i32_e32 v7, 31, v6
	s_wait_xcnt 0x0
	s_load_b64 s[0:1], s[0:1], 0x10
	v_add_nc_u64_e32 v[6:7], v[6:7], v[8:9]
	s_delay_alu instid0(VALU_DEP_1) | instskip(SKIP_1) | instid1(VALU_DEP_1)
	v_lshlrev_b64_e32 v[6:7], 2, v[6:7]
	s_wait_kmcnt 0x0
	v_add_nc_u64_e32 v[8:9], s[8:9], v[6:7]
	v_add_nc_u64_e32 v[10:11], s[10:11], v[6:7]
	global_load_b32 v12, v[8:9], off
	s_wait_xcnt 0x0
	v_add_nc_u64_e32 v[8:9], s[12:13], v[6:7]
	global_load_b32 v13, v[10:11], off
	s_wait_xcnt 0x0
	;; [unrolled: 3-line block ×4, first 2 shown]
	v_add_nc_u64_e32 v[10:11], s[18:19], v[6:7]
	v_add_nc_u64_e32 v[6:7], s[2:3], v[6:7]
	global_load_b32 v8, v[8:9], off
	global_load_b32 v9, v[10:11], off
	global_load_b32 v16, v[6:7], off
	s_wait_loadcnt 0x6
	v_mul_f32_e32 v5, v5, v12
	s_wait_loadcnt 0x5
	s_delay_alu instid0(VALU_DEP_1) | instskip(SKIP_1) | instid1(VALU_DEP_1)
	v_mul_f32_e32 v2, v5, v13
	s_wait_loadcnt 0x4
	v_mul_f32_e32 v5, v2, v14
	v_mad_u32 v2, v4, s4, v1
	s_wait_loadcnt 0x3
	s_delay_alu instid0(VALU_DEP_2) | instskip(SKIP_1) | instid1(VALU_DEP_1)
	v_mul_f32_e32 v1, v5, v15
	s_wait_loadcnt 0x2
	v_dual_mul_f32 v4, v1, v8 :: v_dual_mov_b32 v1, v3
	s_delay_alu instid0(VALU_DEP_3) | instskip(SKIP_1) | instid1(VALU_DEP_2)
	v_lshl_add_u64 v[2:3], v[2:3], 1, s[0:1]
	s_wait_loadcnt 0x1
	v_mul_f32_e32 v4, v4, v9
	s_delay_alu instid0(VALU_DEP_2) | instskip(SKIP_1) | instid1(VALU_DEP_2)
	v_lshl_add_u64 v[0:1], v[0:1], 1, v[2:3]
	s_wait_loadcnt 0x0
	v_fma_mixlo_f16 v4, v4, v16, 0
	global_store_b16 v[0:1], v4, off
.LBB140_4:
	s_endpgm
	.section	.rodata,"a",@progbits
	.p2align	6, 0x0
	.amdhsa_kernel _ZL19k_bin_bcast_unravelIXadL_ZL6op_mulffEE6__halffS0_JPKfS2_S2_S2_S2_S2_S2_EEvPKT0_PKT1_PT2_15HIP_vector_typeIjLj3EESC_SC_jSC_SC_SC_SC_SC_SC_iiiiiiiiiiiDpT3_
		.amdhsa_group_segment_fixed_size 0
		.amdhsa_private_segment_fixed_size 0
		.amdhsa_kernarg_size 496
		.amdhsa_user_sgpr_count 2
		.amdhsa_user_sgpr_dispatch_ptr 0
		.amdhsa_user_sgpr_queue_ptr 0
		.amdhsa_user_sgpr_kernarg_segment_ptr 1
		.amdhsa_user_sgpr_dispatch_id 0
		.amdhsa_user_sgpr_kernarg_preload_length 0
		.amdhsa_user_sgpr_kernarg_preload_offset 0
		.amdhsa_user_sgpr_private_segment_size 0
		.amdhsa_wavefront_size32 1
		.amdhsa_uses_dynamic_stack 0
		.amdhsa_enable_private_segment 0
		.amdhsa_system_sgpr_workgroup_id_x 1
		.amdhsa_system_sgpr_workgroup_id_y 0
		.amdhsa_system_sgpr_workgroup_id_z 0
		.amdhsa_system_sgpr_workgroup_info 0
		.amdhsa_system_vgpr_workitem_id 0
		.amdhsa_next_free_vgpr 17
		.amdhsa_next_free_sgpr 27
		.amdhsa_named_barrier_count 0
		.amdhsa_reserve_vcc 1
		.amdhsa_float_round_mode_32 0
		.amdhsa_float_round_mode_16_64 0
		.amdhsa_float_denorm_mode_32 3
		.amdhsa_float_denorm_mode_16_64 3
		.amdhsa_fp16_overflow 0
		.amdhsa_memory_ordered 1
		.amdhsa_forward_progress 1
		.amdhsa_inst_pref_size 8
		.amdhsa_round_robin_scheduling 0
		.amdhsa_exception_fp_ieee_invalid_op 0
		.amdhsa_exception_fp_denorm_src 0
		.amdhsa_exception_fp_ieee_div_zero 0
		.amdhsa_exception_fp_ieee_overflow 0
		.amdhsa_exception_fp_ieee_underflow 0
		.amdhsa_exception_fp_ieee_inexact 0
		.amdhsa_exception_int_div_zero 0
	.end_amdhsa_kernel
	.section	.text._ZL19k_bin_bcast_unravelIXadL_ZL6op_mulffEE6__halffS0_JPKfS2_S2_S2_S2_S2_S2_EEvPKT0_PKT1_PT2_15HIP_vector_typeIjLj3EESC_SC_jSC_SC_SC_SC_SC_SC_iiiiiiiiiiiDpT3_,"axG",@progbits,_ZL19k_bin_bcast_unravelIXadL_ZL6op_mulffEE6__halffS0_JPKfS2_S2_S2_S2_S2_S2_EEvPKT0_PKT1_PT2_15HIP_vector_typeIjLj3EESC_SC_jSC_SC_SC_SC_SC_SC_iiiiiiiiiiiDpT3_,comdat
.Lfunc_end140:
	.size	_ZL19k_bin_bcast_unravelIXadL_ZL6op_mulffEE6__halffS0_JPKfS2_S2_S2_S2_S2_S2_EEvPKT0_PKT1_PT2_15HIP_vector_typeIjLj3EESC_SC_jSC_SC_SC_SC_SC_SC_iiiiiiiiiiiDpT3_, .Lfunc_end140-_ZL19k_bin_bcast_unravelIXadL_ZL6op_mulffEE6__halffS0_JPKfS2_S2_S2_S2_S2_S2_EEvPKT0_PKT1_PT2_15HIP_vector_typeIjLj3EESC_SC_jSC_SC_SC_SC_SC_SC_iiiiiiiiiiiDpT3_
                                        ; -- End function
	.set _ZL19k_bin_bcast_unravelIXadL_ZL6op_mulffEE6__halffS0_JPKfS2_S2_S2_S2_S2_S2_EEvPKT0_PKT1_PT2_15HIP_vector_typeIjLj3EESC_SC_jSC_SC_SC_SC_SC_SC_iiiiiiiiiiiDpT3_.num_vgpr, 17
	.set _ZL19k_bin_bcast_unravelIXadL_ZL6op_mulffEE6__halffS0_JPKfS2_S2_S2_S2_S2_S2_EEvPKT0_PKT1_PT2_15HIP_vector_typeIjLj3EESC_SC_jSC_SC_SC_SC_SC_SC_iiiiiiiiiiiDpT3_.num_agpr, 0
	.set _ZL19k_bin_bcast_unravelIXadL_ZL6op_mulffEE6__halffS0_JPKfS2_S2_S2_S2_S2_S2_EEvPKT0_PKT1_PT2_15HIP_vector_typeIjLj3EESC_SC_jSC_SC_SC_SC_SC_SC_iiiiiiiiiiiDpT3_.numbered_sgpr, 27
	.set _ZL19k_bin_bcast_unravelIXadL_ZL6op_mulffEE6__halffS0_JPKfS2_S2_S2_S2_S2_S2_EEvPKT0_PKT1_PT2_15HIP_vector_typeIjLj3EESC_SC_jSC_SC_SC_SC_SC_SC_iiiiiiiiiiiDpT3_.num_named_barrier, 0
	.set _ZL19k_bin_bcast_unravelIXadL_ZL6op_mulffEE6__halffS0_JPKfS2_S2_S2_S2_S2_S2_EEvPKT0_PKT1_PT2_15HIP_vector_typeIjLj3EESC_SC_jSC_SC_SC_SC_SC_SC_iiiiiiiiiiiDpT3_.private_seg_size, 0
	.set _ZL19k_bin_bcast_unravelIXadL_ZL6op_mulffEE6__halffS0_JPKfS2_S2_S2_S2_S2_S2_EEvPKT0_PKT1_PT2_15HIP_vector_typeIjLj3EESC_SC_jSC_SC_SC_SC_SC_SC_iiiiiiiiiiiDpT3_.uses_vcc, 1
	.set _ZL19k_bin_bcast_unravelIXadL_ZL6op_mulffEE6__halffS0_JPKfS2_S2_S2_S2_S2_S2_EEvPKT0_PKT1_PT2_15HIP_vector_typeIjLj3EESC_SC_jSC_SC_SC_SC_SC_SC_iiiiiiiiiiiDpT3_.uses_flat_scratch, 0
	.set _ZL19k_bin_bcast_unravelIXadL_ZL6op_mulffEE6__halffS0_JPKfS2_S2_S2_S2_S2_S2_EEvPKT0_PKT1_PT2_15HIP_vector_typeIjLj3EESC_SC_jSC_SC_SC_SC_SC_SC_iiiiiiiiiiiDpT3_.has_dyn_sized_stack, 0
	.set _ZL19k_bin_bcast_unravelIXadL_ZL6op_mulffEE6__halffS0_JPKfS2_S2_S2_S2_S2_S2_EEvPKT0_PKT1_PT2_15HIP_vector_typeIjLj3EESC_SC_jSC_SC_SC_SC_SC_SC_iiiiiiiiiiiDpT3_.has_recursion, 0
	.set _ZL19k_bin_bcast_unravelIXadL_ZL6op_mulffEE6__halffS0_JPKfS2_S2_S2_S2_S2_S2_EEvPKT0_PKT1_PT2_15HIP_vector_typeIjLj3EESC_SC_jSC_SC_SC_SC_SC_SC_iiiiiiiiiiiDpT3_.has_indirect_call, 0
	.section	.AMDGPU.csdata,"",@progbits
; Kernel info:
; codeLenInByte = 932
; TotalNumSgprs: 29
; NumVgprs: 17
; ScratchSize: 0
; MemoryBound: 0
; FloatMode: 240
; IeeeMode: 1
; LDSByteSize: 0 bytes/workgroup (compile time only)
; SGPRBlocks: 0
; VGPRBlocks: 1
; NumSGPRsForWavesPerEU: 29
; NumVGPRsForWavesPerEU: 17
; NamedBarCnt: 0
; Occupancy: 16
; WaveLimiterHint : 1
; COMPUTE_PGM_RSRC2:SCRATCH_EN: 0
; COMPUTE_PGM_RSRC2:USER_SGPR: 2
; COMPUTE_PGM_RSRC2:TRAP_HANDLER: 0
; COMPUTE_PGM_RSRC2:TGID_X_EN: 1
; COMPUTE_PGM_RSRC2:TGID_Y_EN: 0
; COMPUTE_PGM_RSRC2:TGID_Z_EN: 0
; COMPUTE_PGM_RSRC2:TIDIG_COMP_CNT: 0
	.section	.text._ZL11k_bin_bcastIXadL_ZL6op_mulffEE6__halffS0_JPKfS2_S2_S2_S2_S2_S2_EEvPKT0_PKT1_PT2_iii15HIP_vector_typeIjLj3EESC_SC_SC_SC_iiiiiiiiiiiDpT3_,"axG",@progbits,_ZL11k_bin_bcastIXadL_ZL6op_mulffEE6__halffS0_JPKfS2_S2_S2_S2_S2_S2_EEvPKT0_PKT1_PT2_iii15HIP_vector_typeIjLj3EESC_SC_SC_SC_iiiiiiiiiiiDpT3_,comdat
	.globl	_ZL11k_bin_bcastIXadL_ZL6op_mulffEE6__halffS0_JPKfS2_S2_S2_S2_S2_S2_EEvPKT0_PKT1_PT2_iii15HIP_vector_typeIjLj3EESC_SC_SC_SC_iiiiiiiiiiiDpT3_ ; -- Begin function _ZL11k_bin_bcastIXadL_ZL6op_mulffEE6__halffS0_JPKfS2_S2_S2_S2_S2_S2_EEvPKT0_PKT1_PT2_iii15HIP_vector_typeIjLj3EESC_SC_SC_SC_iiiiiiiiiiiDpT3_
	.p2align	8
	.type	_ZL11k_bin_bcastIXadL_ZL6op_mulffEE6__halffS0_JPKfS2_S2_S2_S2_S2_S2_EEvPKT0_PKT1_PT2_iii15HIP_vector_typeIjLj3EESC_SC_SC_SC_iiiiiiiiiiiDpT3_,@function
_ZL11k_bin_bcastIXadL_ZL6op_mulffEE6__halffS0_JPKfS2_S2_S2_S2_S2_S2_EEvPKT0_PKT1_PT2_iii15HIP_vector_typeIjLj3EESC_SC_SC_SC_iiiiiiiiiiiDpT3_: ; @_ZL11k_bin_bcastIXadL_ZL6op_mulffEE6__halffS0_JPKfS2_S2_S2_S2_S2_S2_EEvPKT0_PKT1_PT2_iii15HIP_vector_typeIjLj3EESC_SC_SC_SC_iiiiiiiiiiiDpT3_
; %bb.0:
	s_load_b64 s[2:3], s[0:1], 0xd4
	s_bfe_u32 s5, ttmp6, 0x40014
	s_bfe_u32 s7, ttmp6, 0x40010
	;; [unrolled: 1-line block ×3, first 2 shown]
	s_lshr_b32 s4, ttmp7, 16
	s_and_b32 s16, ttmp7, 0xffff
	s_add_co_i32 s5, s5, 1
	s_add_co_i32 s7, s7, 1
	s_load_b256 s[8:15], s[0:1], 0x18
	s_add_co_i32 s19, s19, 1
	s_bfe_u32 s6, ttmp6, 0x40008
	s_bfe_u32 s17, ttmp6, 0x40004
	s_mul_i32 s5, s4, s5
	s_mul_i32 s7, s16, s7
	s_and_b32 s18, ttmp6, 15
	s_mul_i32 s19, ttmp9, s19
	s_add_co_i32 s6, s6, s5
	s_add_co_i32 s17, s17, s7
	;; [unrolled: 1-line block ×3, first 2 shown]
	v_bfe_u32 v1, v0, 20, 10
	s_wait_kmcnt 0x0
	s_lshr_b32 s5, s2, 16
	s_and_b32 s7, s2, 0xffff
	s_getreg_b32 s2, hwreg(HW_REG_IB_STS2, 6, 4)
	s_and_b32 s3, s3, 0xffff
	s_cmp_eq_u32 s2, 0
	v_and_b32_e32 v2, 0x3ff, v0
	s_cselect_b32 s2, s4, s6
	v_bfe_u32 v4, v0, 10, 10
	v_mad_u32 v3, s2, s3, v1
	s_cselect_b32 s2, ttmp9, s18
	s_cselect_b32 s3, s16, s17
	v_mad_u32 v0, s2, s7, v2
	v_mad_u32 v2, s3, s5, v4
	s_delay_alu instid0(VALU_DEP_3) | instskip(NEXT) | instid1(VALU_DEP_3)
	v_mul_hi_u32 v1, v3, s11
	v_cmp_gt_u32_e32 vcc_lo, s8, v0
	s_delay_alu instid0(VALU_DEP_3) | instskip(SKIP_2) | instid1(VALU_DEP_1)
	v_cmp_gt_u32_e64 s2, s9, v2
	s_and_b32 s2, vcc_lo, s2
	v_add_nc_u32_e32 v1, v3, v1
	v_lshrrev_b32_e32 v1, s12, v1
	s_delay_alu instid0(VALU_DEP_1) | instskip(SKIP_3) | instid1(VALU_DEP_1)
	v_mul_lo_u32 v5, v1, s13
	v_cmp_gt_u32_e64 s3, s10, v1
	s_and_b32 s2, s2, s3
	v_sub_nc_u32_e32 v3, v3, v5
	v_cmp_gt_u32_e64 s4, s13, v3
	s_and_b32 s2, s2, s4
	s_delay_alu instid0(SALU_CYCLE_1)
	s_and_saveexec_b32 s3, s2
	s_cbranch_execz .LBB141_6
; %bb.1:
	v_cmp_gt_i32_e32 vcc_lo, s8, v0
	s_and_b32 exec_lo, exec_lo, vcc_lo
	s_cbranch_execz .LBB141_6
; %bb.2:
	s_clause 0x3
	s_load_b256 s[24:31], s[0:1], 0x3c
	s_load_b32 s2, s[0:1], 0x5c
	s_load_b256 s[16:23], s[0:1], 0x60
	s_load_b96 s[4:6], s[0:1], 0x80
	s_add_nc_u64 s[10:11], s[0:1], 0xc8
	s_clause 0x1
	s_load_b256 s[36:43], s[0:1], 0x90
	s_load_b64 s[12:13], s[0:1], 0x10
	s_wait_kmcnt 0x0
	v_mul_hi_u32 v4, s30, v3
	v_mul_hi_u32 v5, s27, v1
	;; [unrolled: 1-line block ×3, first 2 shown]
	v_mul_lo_u32 v7, v2, s20
	v_mul_lo_u32 v8, v2, s16
	s_delay_alu instid0(VALU_DEP_4) | instskip(NEXT) | instid1(VALU_DEP_3)
	v_dual_add_nc_u32 v4, v3, v4 :: v_dual_add_nc_u32 v5, v1, v5
	v_mad_u32 v7, v1, s21, v7
	s_delay_alu instid0(VALU_DEP_3) | instskip(NEXT) | instid1(VALU_DEP_3)
	v_mad_u32 v8, v1, s17, v8
	v_dual_lshrrev_b32 v4, s31, v4 :: v_dual_lshrrev_b32 v5, s28, v5
	s_delay_alu instid0(VALU_DEP_1) | instskip(SKIP_1) | instid1(VALU_DEP_3)
	v_mul_lo_u32 v4, v4, s2
	v_add_nc_u32_e32 v6, v2, v6
	v_mul_lo_u32 v5, v5, s29
	s_load_b64 s[2:3], s[0:1], 0x0
	v_mad_u32 v8, v3, s18, v8
	s_delay_alu instid0(VALU_DEP_3) | instskip(NEXT) | instid1(VALU_DEP_3)
	v_dual_sub_nc_u32 v4, v3, v4 :: v_dual_lshrrev_b32 v6, s25, v6
	v_sub_nc_u32_e32 v5, v1, v5
	s_delay_alu instid0(VALU_DEP_2) | instskip(NEXT) | instid1(VALU_DEP_3)
	v_mul_lo_u32 v9, v4, s6
	v_mul_lo_u32 v6, v6, s26
	s_load_b32 s6, s[10:11], 0x0
	s_load_b32 s9, s[0:1], 0x38
	v_mad_u32 v4, v3, s22, v7
	s_load_b256 s[24:31], s[0:1], 0xb0
	v_mov_b32_e32 v1, 0
	s_wait_xcnt 0x0
	s_mov_b32 s1, 0
	s_wait_kmcnt 0x0
	s_cmp_lg_u64 s[2:3], 0
	s_mov_b32 s0, s14
	v_mad_u32 v7, v5, s5, v9
	v_sub_nc_u32_e32 v2, v2, v6
	v_mul_lo_u32 v6, s19, v0
	v_dual_mov_b32 v5, v1 :: v_dual_mov_b32 v9, v1
	v_mov_b32_e32 v3, v1
	s_delay_alu instid0(VALU_DEP_2) | instskip(NEXT) | instid1(VALU_DEP_3)
	v_lshl_add_u64 v[4:5], v[4:5], 1, s[2:3]
	v_lshl_add_u64 v[8:9], v[8:9], 1, s[12:13]
	s_mul_i32 s2, s6, s7
	v_mad_u32 v2, v2, s4, v7
	s_cselect_b32 s3, -1, 0
	s_mul_i32 s4, s2, s19
	s_sub_co_i32 s5, 0, s9
	s_mov_b32 s6, s1
	s_branch .LBB141_4
.LBB141_3:                              ;   in Loop: Header=BB141_4 Depth=1
	s_wait_xcnt 0x0
	v_mul_u64_e32 v[10:11], s[0:1], v[0:1]
	s_delay_alu instid0(VALU_DEP_1) | instskip(NEXT) | instid1(VALU_DEP_1)
	v_dual_add_nc_u32 v6, s4, v6 :: v_dual_add_nc_u32 v10, v0, v11
	v_dual_mov_b32 v11, v1 :: v_dual_lshrrev_b32 v10, s15, v10
	s_delay_alu instid0(VALU_DEP_1) | instskip(NEXT) | instid1(VALU_DEP_1)
	v_mad_u32 v10, s5, v10, v0
	v_mul_lo_u32 v10, v10, s23
	s_delay_alu instid0(VALU_DEP_1) | instskip(NEXT) | instid1(VALU_DEP_1)
	v_add_nc_u64_e32 v[10:11], v[10:11], v[2:3]
	v_lshlrev_b64_e32 v[10:11], 2, v[10:11]
	s_delay_alu instid0(VALU_DEP_1)
	v_add_nc_u64_e32 v[12:13], s[36:37], v[10:11]
	v_add_nc_u64_e32 v[14:15], s[38:39], v[10:11]
	global_load_b32 v16, v[12:13], off
	s_wait_xcnt 0x0
	v_add_nc_u64_e32 v[12:13], s[40:41], v[10:11]
	global_load_b32 v17, v[14:15], off
	s_wait_xcnt 0x0
	;; [unrolled: 3-line block ×4, first 2 shown]
	v_add_nc_u64_e32 v[14:15], s[26:27], v[10:11]
	v_add_nc_u64_e32 v[10:11], s[28:29], v[10:11]
	global_load_b32 v12, v[12:13], off
	global_load_b32 v13, v[14:15], off
	;; [unrolled: 1-line block ×3, first 2 shown]
	s_wait_xcnt 0x0
	v_dual_mov_b32 v10, v0 :: v_dual_ashrrev_i32 v11, 31, v0
	v_add_nc_u32_e32 v0, s2, v0
	s_delay_alu instid0(VALU_DEP_2) | instskip(NEXT) | instid1(VALU_DEP_2)
	v_lshl_add_u64 v[10:11], v[10:11], 1, v[8:9]
	v_cmp_le_i32_e32 vcc_lo, s8, v0
	s_or_b32 s6, vcc_lo, s6
	s_wait_loadcnt 0x6
	v_mul_f32_e32 v7, v7, v16
	s_wait_loadcnt 0x5
	s_delay_alu instid0(VALU_DEP_1) | instskip(SKIP_1) | instid1(VALU_DEP_1)
	v_mul_f32_e32 v7, v7, v17
	s_wait_loadcnt 0x4
	v_mul_f32_e32 v7, v7, v18
	s_wait_loadcnt 0x3
	s_delay_alu instid0(VALU_DEP_1) | instskip(SKIP_1) | instid1(VALU_DEP_1)
	v_mul_f32_e32 v7, v7, v19
	;; [unrolled: 5-line block ×3, first 2 shown]
	s_wait_loadcnt 0x0
	v_fma_mixlo_f16 v7, v7, v20, 0
	global_store_b16 v[10:11], v7, off
	s_wait_xcnt 0x0
	s_and_not1_b32 exec_lo, exec_lo, s6
	s_cbranch_execz .LBB141_6
.LBB141_4:                              ; =>This Inner Loop Header: Depth=1
	v_mov_b32_e32 v7, 0
	s_and_not1_b32 vcc_lo, exec_lo, s3
	s_cbranch_vccnz .LBB141_3
; %bb.5:                                ;   in Loop: Header=BB141_4 Depth=1
	v_ashrrev_i32_e32 v7, 31, v6
	s_delay_alu instid0(VALU_DEP_1)
	v_lshl_add_u64 v[10:11], v[6:7], 1, v[4:5]
	global_load_u16 v7, v[10:11], off
	s_wait_loadcnt 0x0
	v_cvt_f32_f16_e32 v7, v7
	s_branch .LBB141_3
.LBB141_6:
	s_endpgm
	.section	.rodata,"a",@progbits
	.p2align	6, 0x0
	.amdhsa_kernel _ZL11k_bin_bcastIXadL_ZL6op_mulffEE6__halffS0_JPKfS2_S2_S2_S2_S2_S2_EEvPKT0_PKT1_PT2_iii15HIP_vector_typeIjLj3EESC_SC_SC_SC_iiiiiiiiiiiDpT3_
		.amdhsa_group_segment_fixed_size 0
		.amdhsa_private_segment_fixed_size 0
		.amdhsa_kernarg_size 456
		.amdhsa_user_sgpr_count 2
		.amdhsa_user_sgpr_dispatch_ptr 0
		.amdhsa_user_sgpr_queue_ptr 0
		.amdhsa_user_sgpr_kernarg_segment_ptr 1
		.amdhsa_user_sgpr_dispatch_id 0
		.amdhsa_user_sgpr_kernarg_preload_length 0
		.amdhsa_user_sgpr_kernarg_preload_offset 0
		.amdhsa_user_sgpr_private_segment_size 0
		.amdhsa_wavefront_size32 1
		.amdhsa_uses_dynamic_stack 0
		.amdhsa_enable_private_segment 0
		.amdhsa_system_sgpr_workgroup_id_x 1
		.amdhsa_system_sgpr_workgroup_id_y 1
		.amdhsa_system_sgpr_workgroup_id_z 1
		.amdhsa_system_sgpr_workgroup_info 0
		.amdhsa_system_vgpr_workitem_id 2
		.amdhsa_next_free_vgpr 21
		.amdhsa_next_free_sgpr 44
		.amdhsa_named_barrier_count 0
		.amdhsa_reserve_vcc 1
		.amdhsa_float_round_mode_32 0
		.amdhsa_float_round_mode_16_64 0
		.amdhsa_float_denorm_mode_32 3
		.amdhsa_float_denorm_mode_16_64 3
		.amdhsa_fp16_overflow 0
		.amdhsa_memory_ordered 1
		.amdhsa_forward_progress 1
		.amdhsa_inst_pref_size 9
		.amdhsa_round_robin_scheduling 0
		.amdhsa_exception_fp_ieee_invalid_op 0
		.amdhsa_exception_fp_denorm_src 0
		.amdhsa_exception_fp_ieee_div_zero 0
		.amdhsa_exception_fp_ieee_overflow 0
		.amdhsa_exception_fp_ieee_underflow 0
		.amdhsa_exception_fp_ieee_inexact 0
		.amdhsa_exception_int_div_zero 0
	.end_amdhsa_kernel
	.section	.text._ZL11k_bin_bcastIXadL_ZL6op_mulffEE6__halffS0_JPKfS2_S2_S2_S2_S2_S2_EEvPKT0_PKT1_PT2_iii15HIP_vector_typeIjLj3EESC_SC_SC_SC_iiiiiiiiiiiDpT3_,"axG",@progbits,_ZL11k_bin_bcastIXadL_ZL6op_mulffEE6__halffS0_JPKfS2_S2_S2_S2_S2_S2_EEvPKT0_PKT1_PT2_iii15HIP_vector_typeIjLj3EESC_SC_SC_SC_iiiiiiiiiiiDpT3_,comdat
.Lfunc_end141:
	.size	_ZL11k_bin_bcastIXadL_ZL6op_mulffEE6__halffS0_JPKfS2_S2_S2_S2_S2_S2_EEvPKT0_PKT1_PT2_iii15HIP_vector_typeIjLj3EESC_SC_SC_SC_iiiiiiiiiiiDpT3_, .Lfunc_end141-_ZL11k_bin_bcastIXadL_ZL6op_mulffEE6__halffS0_JPKfS2_S2_S2_S2_S2_S2_EEvPKT0_PKT1_PT2_iii15HIP_vector_typeIjLj3EESC_SC_SC_SC_iiiiiiiiiiiDpT3_
                                        ; -- End function
	.set _ZL11k_bin_bcastIXadL_ZL6op_mulffEE6__halffS0_JPKfS2_S2_S2_S2_S2_S2_EEvPKT0_PKT1_PT2_iii15HIP_vector_typeIjLj3EESC_SC_SC_SC_iiiiiiiiiiiDpT3_.num_vgpr, 21
	.set _ZL11k_bin_bcastIXadL_ZL6op_mulffEE6__halffS0_JPKfS2_S2_S2_S2_S2_S2_EEvPKT0_PKT1_PT2_iii15HIP_vector_typeIjLj3EESC_SC_SC_SC_iiiiiiiiiiiDpT3_.num_agpr, 0
	.set _ZL11k_bin_bcastIXadL_ZL6op_mulffEE6__halffS0_JPKfS2_S2_S2_S2_S2_S2_EEvPKT0_PKT1_PT2_iii15HIP_vector_typeIjLj3EESC_SC_SC_SC_iiiiiiiiiiiDpT3_.numbered_sgpr, 44
	.set _ZL11k_bin_bcastIXadL_ZL6op_mulffEE6__halffS0_JPKfS2_S2_S2_S2_S2_S2_EEvPKT0_PKT1_PT2_iii15HIP_vector_typeIjLj3EESC_SC_SC_SC_iiiiiiiiiiiDpT3_.num_named_barrier, 0
	.set _ZL11k_bin_bcastIXadL_ZL6op_mulffEE6__halffS0_JPKfS2_S2_S2_S2_S2_S2_EEvPKT0_PKT1_PT2_iii15HIP_vector_typeIjLj3EESC_SC_SC_SC_iiiiiiiiiiiDpT3_.private_seg_size, 0
	.set _ZL11k_bin_bcastIXadL_ZL6op_mulffEE6__halffS0_JPKfS2_S2_S2_S2_S2_S2_EEvPKT0_PKT1_PT2_iii15HIP_vector_typeIjLj3EESC_SC_SC_SC_iiiiiiiiiiiDpT3_.uses_vcc, 1
	.set _ZL11k_bin_bcastIXadL_ZL6op_mulffEE6__halffS0_JPKfS2_S2_S2_S2_S2_S2_EEvPKT0_PKT1_PT2_iii15HIP_vector_typeIjLj3EESC_SC_SC_SC_iiiiiiiiiiiDpT3_.uses_flat_scratch, 0
	.set _ZL11k_bin_bcastIXadL_ZL6op_mulffEE6__halffS0_JPKfS2_S2_S2_S2_S2_S2_EEvPKT0_PKT1_PT2_iii15HIP_vector_typeIjLj3EESC_SC_SC_SC_iiiiiiiiiiiDpT3_.has_dyn_sized_stack, 0
	.set _ZL11k_bin_bcastIXadL_ZL6op_mulffEE6__halffS0_JPKfS2_S2_S2_S2_S2_S2_EEvPKT0_PKT1_PT2_iii15HIP_vector_typeIjLj3EESC_SC_SC_SC_iiiiiiiiiiiDpT3_.has_recursion, 0
	.set _ZL11k_bin_bcastIXadL_ZL6op_mulffEE6__halffS0_JPKfS2_S2_S2_S2_S2_S2_EEvPKT0_PKT1_PT2_iii15HIP_vector_typeIjLj3EESC_SC_SC_SC_iiiiiiiiiiiDpT3_.has_indirect_call, 0
	.section	.AMDGPU.csdata,"",@progbits
; Kernel info:
; codeLenInByte = 1068
; TotalNumSgprs: 46
; NumVgprs: 21
; ScratchSize: 0
; MemoryBound: 0
; FloatMode: 240
; IeeeMode: 1
; LDSByteSize: 0 bytes/workgroup (compile time only)
; SGPRBlocks: 0
; VGPRBlocks: 1
; NumSGPRsForWavesPerEU: 46
; NumVGPRsForWavesPerEU: 21
; NamedBarCnt: 0
; Occupancy: 16
; WaveLimiterHint : 1
; COMPUTE_PGM_RSRC2:SCRATCH_EN: 0
; COMPUTE_PGM_RSRC2:USER_SGPR: 2
; COMPUTE_PGM_RSRC2:TRAP_HANDLER: 0
; COMPUTE_PGM_RSRC2:TGID_X_EN: 1
; COMPUTE_PGM_RSRC2:TGID_Y_EN: 1
; COMPUTE_PGM_RSRC2:TGID_Z_EN: 1
; COMPUTE_PGM_RSRC2:TIDIG_COMP_CNT: 2
	.section	.text._ZL19k_bin_bcast_unravelIXadL_ZL6op_mulffEE6__halfffJPKfS2_S2_S2_S2_S2_S2_EEvPKT0_PKT1_PT2_15HIP_vector_typeIjLj3EESC_SC_jSC_SC_SC_SC_SC_SC_iiiiiiiiiiiDpT3_,"axG",@progbits,_ZL19k_bin_bcast_unravelIXadL_ZL6op_mulffEE6__halfffJPKfS2_S2_S2_S2_S2_S2_EEvPKT0_PKT1_PT2_15HIP_vector_typeIjLj3EESC_SC_jSC_SC_SC_SC_SC_SC_iiiiiiiiiiiDpT3_,comdat
	.globl	_ZL19k_bin_bcast_unravelIXadL_ZL6op_mulffEE6__halfffJPKfS2_S2_S2_S2_S2_S2_EEvPKT0_PKT1_PT2_15HIP_vector_typeIjLj3EESC_SC_jSC_SC_SC_SC_SC_SC_iiiiiiiiiiiDpT3_ ; -- Begin function _ZL19k_bin_bcast_unravelIXadL_ZL6op_mulffEE6__halfffJPKfS2_S2_S2_S2_S2_S2_EEvPKT0_PKT1_PT2_15HIP_vector_typeIjLj3EESC_SC_jSC_SC_SC_SC_SC_SC_iiiiiiiiiiiDpT3_
	.p2align	8
	.type	_ZL19k_bin_bcast_unravelIXadL_ZL6op_mulffEE6__halfffJPKfS2_S2_S2_S2_S2_S2_EEvPKT0_PKT1_PT2_15HIP_vector_typeIjLj3EESC_SC_jSC_SC_SC_SC_SC_SC_iiiiiiiiiiiDpT3_,@function
_ZL19k_bin_bcast_unravelIXadL_ZL6op_mulffEE6__halfffJPKfS2_S2_S2_S2_S2_S2_EEvPKT0_PKT1_PT2_15HIP_vector_typeIjLj3EESC_SC_jSC_SC_SC_SC_SC_SC_iiiiiiiiiiiDpT3_: ; @_ZL19k_bin_bcast_unravelIXadL_ZL6op_mulffEE6__halfffJPKfS2_S2_S2_S2_S2_S2_EEvPKT0_PKT1_PT2_15HIP_vector_typeIjLj3EESC_SC_jSC_SC_SC_SC_SC_SC_iiiiiiiiiiiDpT3_
; %bb.0:
	s_load_b32 s2, s[0:1], 0xfc
	s_bfe_u32 s3, ttmp6, 0x4000c
	s_load_b256 s[4:11], s[0:1], 0x38
	s_add_co_i32 s3, s3, 1
	s_and_b32 s12, ttmp6, 15
	s_mul_i32 s3, ttmp9, s3
	s_getreg_b32 s13, hwreg(HW_REG_IB_STS2, 6, 4)
	s_add_co_i32 s12, s12, s3
	s_wait_kmcnt 0x0
	s_and_b32 s2, s2, 0xffff
	s_cmp_eq_u32 s13, 0
	s_cselect_b32 s3, ttmp9, s12
	s_delay_alu instid0(SALU_CYCLE_1) | instskip(SKIP_1) | instid1(VALU_DEP_1)
	v_mad_u32 v0, s3, s2, v0
	s_load_b32 s2, s[0:1], 0x2c
	v_mul_hi_u32 v1, v0, s6
	s_delay_alu instid0(VALU_DEP_1) | instskip(NEXT) | instid1(VALU_DEP_1)
	v_add_nc_u32_e32 v1, v0, v1
	v_lshrrev_b32_e32 v1, s7, v1
	s_delay_alu instid0(VALU_DEP_1) | instskip(NEXT) | instid1(VALU_DEP_1)
	v_mul_lo_u32 v2, v1, s8
	v_sub_nc_u32_e32 v0, v0, v2
	s_delay_alu instid0(VALU_DEP_1) | instskip(NEXT) | instid1(VALU_DEP_1)
	v_mul_hi_u32 v2, v0, s9
	v_add_nc_u32_e32 v2, v0, v2
	s_delay_alu instid0(VALU_DEP_1) | instskip(SKIP_1) | instid1(VALU_DEP_1)
	v_lshrrev_b32_e32 v2, s10, v2
	s_load_b96 s[8:10], s[0:1], 0x18
	v_mul_lo_u32 v3, v2, s11
	s_delay_alu instid0(VALU_DEP_1) | instskip(SKIP_3) | instid1(VALU_DEP_3)
	v_sub_nc_u32_e32 v0, v0, v3
	v_cmp_gt_u32_e64 s3, s4, v2
	v_cmp_gt_u32_e64 s4, s5, v1
	s_wait_kmcnt 0x0
	v_mul_hi_u32 v3, v0, s8
	s_delay_alu instid0(VALU_DEP_1) | instskip(NEXT) | instid1(VALU_DEP_1)
	v_add_nc_u32_e32 v3, v0, v3
	v_lshrrev_b32_e32 v4, s9, v3
	s_delay_alu instid0(VALU_DEP_1) | instskip(NEXT) | instid1(VALU_DEP_1)
	v_mul_lo_u32 v3, v4, s10
	v_sub_nc_u32_e32 v0, v0, v3
	v_cmp_gt_u32_e64 s2, s2, v4
	s_delay_alu instid0(VALU_DEP_2) | instskip(SKIP_1) | instid1(SALU_CYCLE_1)
	v_cmp_gt_u32_e32 vcc_lo, s10, v0
	s_and_b32 s2, vcc_lo, s2
	s_and_b32 s2, s2, s3
	s_delay_alu instid0(SALU_CYCLE_1) | instskip(NEXT) | instid1(SALU_CYCLE_1)
	s_and_b32 s2, s4, s2
	s_and_saveexec_b32 s3, s2
	s_cbranch_execz .LBB142_4
; %bb.1:
	s_clause 0x4
	s_load_b64 s[2:3], s[0:1], 0x0
	s_load_b96 s[24:26], s[0:1], 0xa8
	s_load_b256 s[4:11], s[0:1], 0x88
	s_load_b128 s[20:23], s[0:1], 0x78
	s_load_b256 s[12:19], s[0:1], 0x58
	v_dual_mov_b32 v3, 0 :: v_dual_mov_b32 v5, 0
	s_wait_kmcnt 0x0
	s_cmp_eq_u64 s[2:3], 0
	s_cbranch_scc1 .LBB142_3
; %bb.2:
	v_mul_lo_u32 v5, v1, s10
	v_mov_b32_e32 v7, 0
	s_delay_alu instid0(VALU_DEP_2) | instskip(NEXT) | instid1(VALU_DEP_1)
	v_mad_u32 v5, v2, s9, v5
	v_mad_u32 v6, v4, s8, v5
	s_delay_alu instid0(VALU_DEP_1) | instskip(SKIP_1) | instid1(VALU_DEP_1)
	v_lshl_add_u64 v[8:9], v[6:7], 1, s[2:3]
	v_mul_lo_u32 v6, v0, s7
	v_lshl_add_u64 v[6:7], v[6:7], 1, v[8:9]
	global_load_u16 v5, v[6:7], off
	s_wait_loadcnt 0x0
	v_cvt_f32_f16_e32 v5, v5
.LBB142_3:
	v_mul_hi_u32 v6, s21, v1
	v_mul_hi_u32 v7, s18, v2
	;; [unrolled: 1-line block ×4, first 2 shown]
	s_load_b64 s[2:3], s[0:1], 0xe8
	s_delay_alu instid0(VALU_DEP_3) | instskip(NEXT) | instid1(VALU_DEP_1)
	v_dual_add_nc_u32 v6, v1, v6 :: v_dual_add_nc_u32 v7, v2, v7
	v_dual_lshrrev_b32 v6, s22, v6 :: v_dual_lshrrev_b32 v7, s19, v7
	s_delay_alu instid0(VALU_DEP_1) | instskip(SKIP_1) | instid1(VALU_DEP_3)
	v_mul_lo_u32 v6, v6, s23
	v_add_nc_u32_e32 v8, v4, v8
	v_mul_lo_u32 v7, v7, s20
	s_delay_alu instid0(VALU_DEP_3) | instskip(NEXT) | instid1(VALU_DEP_2)
	v_dual_sub_nc_u32 v6, v1, v6 :: v_dual_add_nc_u32 v9, v0, v9
	v_dual_lshrrev_b32 v8, s16, v8 :: v_dual_sub_nc_u32 v7, v2, v7
	v_mul_lo_u32 v1, v1, s6
	s_delay_alu instid0(VALU_DEP_3) | instskip(NEXT) | instid1(VALU_DEP_4)
	v_mul_lo_u32 v6, v6, s26
	v_lshrrev_b32_e32 v9, s13, v9
	s_delay_alu instid0(VALU_DEP_4) | instskip(SKIP_1) | instid1(VALU_DEP_2)
	v_mul_lo_u32 v8, v8, s17
	s_load_b128 s[16:19], s[0:1], 0xd8
	v_mul_lo_u32 v9, v9, s14
	v_mad_u32 v1, v2, s5, v1
	v_mad_u32 v7, v7, s25, v6
	s_delay_alu instid0(VALU_DEP_4) | instskip(NEXT) | instid1(VALU_DEP_1)
	v_sub_nc_u32_e32 v8, v4, v8
	v_mad_u32 v8, v8, s24, v7
	s_delay_alu instid0(VALU_DEP_1) | instskip(NEXT) | instid1(VALU_DEP_1)
	v_dual_sub_nc_u32 v6, v0, v9 :: v_dual_ashrrev_i32 v9, 31, v8
	v_mul_lo_u32 v6, v6, s11
	s_load_b256 s[8:15], s[0:1], 0xb8
	s_delay_alu instid0(VALU_DEP_1) | instskip(SKIP_2) | instid1(VALU_DEP_1)
	v_ashrrev_i32_e32 v7, 31, v6
	s_wait_xcnt 0x0
	s_load_b64 s[0:1], s[0:1], 0x10
	v_add_nc_u64_e32 v[6:7], v[6:7], v[8:9]
	s_delay_alu instid0(VALU_DEP_1) | instskip(SKIP_1) | instid1(VALU_DEP_1)
	v_lshlrev_b64_e32 v[6:7], 2, v[6:7]
	s_wait_kmcnt 0x0
	v_add_nc_u64_e32 v[8:9], s[8:9], v[6:7]
	v_add_nc_u64_e32 v[10:11], s[10:11], v[6:7]
	global_load_b32 v12, v[8:9], off
	s_wait_xcnt 0x0
	v_add_nc_u64_e32 v[8:9], s[12:13], v[6:7]
	global_load_b32 v13, v[10:11], off
	s_wait_xcnt 0x0
	;; [unrolled: 3-line block ×4, first 2 shown]
	v_add_nc_u64_e32 v[10:11], s[18:19], v[6:7]
	v_add_nc_u64_e32 v[6:7], s[2:3], v[6:7]
	global_load_b32 v8, v[8:9], off
	global_load_b32 v9, v[10:11], off
	;; [unrolled: 1-line block ×3, first 2 shown]
	s_wait_loadcnt 0x6
	v_mul_f32_e32 v5, v5, v12
	s_wait_loadcnt 0x5
	s_delay_alu instid0(VALU_DEP_1) | instskip(SKIP_1) | instid1(VALU_DEP_1)
	v_mul_f32_e32 v2, v5, v13
	s_wait_loadcnt 0x4
	v_mul_f32_e32 v5, v2, v14
	v_mad_u32 v2, v4, s4, v1
	s_wait_loadcnt 0x3
	s_delay_alu instid0(VALU_DEP_2) | instskip(SKIP_1) | instid1(VALU_DEP_1)
	v_mul_f32_e32 v1, v5, v15
	s_wait_loadcnt 0x2
	v_dual_mul_f32 v4, v1, v8 :: v_dual_mov_b32 v1, v3
	s_delay_alu instid0(VALU_DEP_3) | instskip(SKIP_1) | instid1(VALU_DEP_2)
	v_lshl_add_u64 v[2:3], v[2:3], 2, s[0:1]
	s_wait_loadcnt 0x1
	v_mul_f32_e32 v4, v4, v9
	s_delay_alu instid0(VALU_DEP_2) | instskip(SKIP_1) | instid1(VALU_DEP_2)
	v_lshl_add_u64 v[0:1], v[0:1], 2, v[2:3]
	s_wait_loadcnt 0x0
	v_mul_f32_e32 v4, v4, v16
	global_store_b32 v[0:1], v4, off
.LBB142_4:
	s_endpgm
	.section	.rodata,"a",@progbits
	.p2align	6, 0x0
	.amdhsa_kernel _ZL19k_bin_bcast_unravelIXadL_ZL6op_mulffEE6__halfffJPKfS2_S2_S2_S2_S2_S2_EEvPKT0_PKT1_PT2_15HIP_vector_typeIjLj3EESC_SC_jSC_SC_SC_SC_SC_SC_iiiiiiiiiiiDpT3_
		.amdhsa_group_segment_fixed_size 0
		.amdhsa_private_segment_fixed_size 0
		.amdhsa_kernarg_size 496
		.amdhsa_user_sgpr_count 2
		.amdhsa_user_sgpr_dispatch_ptr 0
		.amdhsa_user_sgpr_queue_ptr 0
		.amdhsa_user_sgpr_kernarg_segment_ptr 1
		.amdhsa_user_sgpr_dispatch_id 0
		.amdhsa_user_sgpr_kernarg_preload_length 0
		.amdhsa_user_sgpr_kernarg_preload_offset 0
		.amdhsa_user_sgpr_private_segment_size 0
		.amdhsa_wavefront_size32 1
		.amdhsa_uses_dynamic_stack 0
		.amdhsa_enable_private_segment 0
		.amdhsa_system_sgpr_workgroup_id_x 1
		.amdhsa_system_sgpr_workgroup_id_y 0
		.amdhsa_system_sgpr_workgroup_id_z 0
		.amdhsa_system_sgpr_workgroup_info 0
		.amdhsa_system_vgpr_workitem_id 0
		.amdhsa_next_free_vgpr 17
		.amdhsa_next_free_sgpr 27
		.amdhsa_named_barrier_count 0
		.amdhsa_reserve_vcc 1
		.amdhsa_float_round_mode_32 0
		.amdhsa_float_round_mode_16_64 0
		.amdhsa_float_denorm_mode_32 3
		.amdhsa_float_denorm_mode_16_64 3
		.amdhsa_fp16_overflow 0
		.amdhsa_memory_ordered 1
		.amdhsa_forward_progress 1
		.amdhsa_inst_pref_size 8
		.amdhsa_round_robin_scheduling 0
		.amdhsa_exception_fp_ieee_invalid_op 0
		.amdhsa_exception_fp_denorm_src 0
		.amdhsa_exception_fp_ieee_div_zero 0
		.amdhsa_exception_fp_ieee_overflow 0
		.amdhsa_exception_fp_ieee_underflow 0
		.amdhsa_exception_fp_ieee_inexact 0
		.amdhsa_exception_int_div_zero 0
	.end_amdhsa_kernel
	.section	.text._ZL19k_bin_bcast_unravelIXadL_ZL6op_mulffEE6__halfffJPKfS2_S2_S2_S2_S2_S2_EEvPKT0_PKT1_PT2_15HIP_vector_typeIjLj3EESC_SC_jSC_SC_SC_SC_SC_SC_iiiiiiiiiiiDpT3_,"axG",@progbits,_ZL19k_bin_bcast_unravelIXadL_ZL6op_mulffEE6__halfffJPKfS2_S2_S2_S2_S2_S2_EEvPKT0_PKT1_PT2_15HIP_vector_typeIjLj3EESC_SC_jSC_SC_SC_SC_SC_SC_iiiiiiiiiiiDpT3_,comdat
.Lfunc_end142:
	.size	_ZL19k_bin_bcast_unravelIXadL_ZL6op_mulffEE6__halfffJPKfS2_S2_S2_S2_S2_S2_EEvPKT0_PKT1_PT2_15HIP_vector_typeIjLj3EESC_SC_jSC_SC_SC_SC_SC_SC_iiiiiiiiiiiDpT3_, .Lfunc_end142-_ZL19k_bin_bcast_unravelIXadL_ZL6op_mulffEE6__halfffJPKfS2_S2_S2_S2_S2_S2_EEvPKT0_PKT1_PT2_15HIP_vector_typeIjLj3EESC_SC_jSC_SC_SC_SC_SC_SC_iiiiiiiiiiiDpT3_
                                        ; -- End function
	.set _ZL19k_bin_bcast_unravelIXadL_ZL6op_mulffEE6__halfffJPKfS2_S2_S2_S2_S2_S2_EEvPKT0_PKT1_PT2_15HIP_vector_typeIjLj3EESC_SC_jSC_SC_SC_SC_SC_SC_iiiiiiiiiiiDpT3_.num_vgpr, 17
	.set _ZL19k_bin_bcast_unravelIXadL_ZL6op_mulffEE6__halfffJPKfS2_S2_S2_S2_S2_S2_EEvPKT0_PKT1_PT2_15HIP_vector_typeIjLj3EESC_SC_jSC_SC_SC_SC_SC_SC_iiiiiiiiiiiDpT3_.num_agpr, 0
	.set _ZL19k_bin_bcast_unravelIXadL_ZL6op_mulffEE6__halfffJPKfS2_S2_S2_S2_S2_S2_EEvPKT0_PKT1_PT2_15HIP_vector_typeIjLj3EESC_SC_jSC_SC_SC_SC_SC_SC_iiiiiiiiiiiDpT3_.numbered_sgpr, 27
	.set _ZL19k_bin_bcast_unravelIXadL_ZL6op_mulffEE6__halfffJPKfS2_S2_S2_S2_S2_S2_EEvPKT0_PKT1_PT2_15HIP_vector_typeIjLj3EESC_SC_jSC_SC_SC_SC_SC_SC_iiiiiiiiiiiDpT3_.num_named_barrier, 0
	.set _ZL19k_bin_bcast_unravelIXadL_ZL6op_mulffEE6__halfffJPKfS2_S2_S2_S2_S2_S2_EEvPKT0_PKT1_PT2_15HIP_vector_typeIjLj3EESC_SC_jSC_SC_SC_SC_SC_SC_iiiiiiiiiiiDpT3_.private_seg_size, 0
	.set _ZL19k_bin_bcast_unravelIXadL_ZL6op_mulffEE6__halfffJPKfS2_S2_S2_S2_S2_S2_EEvPKT0_PKT1_PT2_15HIP_vector_typeIjLj3EESC_SC_jSC_SC_SC_SC_SC_SC_iiiiiiiiiiiDpT3_.uses_vcc, 1
	.set _ZL19k_bin_bcast_unravelIXadL_ZL6op_mulffEE6__halfffJPKfS2_S2_S2_S2_S2_S2_EEvPKT0_PKT1_PT2_15HIP_vector_typeIjLj3EESC_SC_jSC_SC_SC_SC_SC_SC_iiiiiiiiiiiDpT3_.uses_flat_scratch, 0
	.set _ZL19k_bin_bcast_unravelIXadL_ZL6op_mulffEE6__halfffJPKfS2_S2_S2_S2_S2_S2_EEvPKT0_PKT1_PT2_15HIP_vector_typeIjLj3EESC_SC_jSC_SC_SC_SC_SC_SC_iiiiiiiiiiiDpT3_.has_dyn_sized_stack, 0
	.set _ZL19k_bin_bcast_unravelIXadL_ZL6op_mulffEE6__halfffJPKfS2_S2_S2_S2_S2_S2_EEvPKT0_PKT1_PT2_15HIP_vector_typeIjLj3EESC_SC_jSC_SC_SC_SC_SC_SC_iiiiiiiiiiiDpT3_.has_recursion, 0
	.set _ZL19k_bin_bcast_unravelIXadL_ZL6op_mulffEE6__halfffJPKfS2_S2_S2_S2_S2_S2_EEvPKT0_PKT1_PT2_15HIP_vector_typeIjLj3EESC_SC_jSC_SC_SC_SC_SC_SC_iiiiiiiiiiiDpT3_.has_indirect_call, 0
	.section	.AMDGPU.csdata,"",@progbits
; Kernel info:
; codeLenInByte = 928
; TotalNumSgprs: 29
; NumVgprs: 17
; ScratchSize: 0
; MemoryBound: 0
; FloatMode: 240
; IeeeMode: 1
; LDSByteSize: 0 bytes/workgroup (compile time only)
; SGPRBlocks: 0
; VGPRBlocks: 1
; NumSGPRsForWavesPerEU: 29
; NumVGPRsForWavesPerEU: 17
; NamedBarCnt: 0
; Occupancy: 16
; WaveLimiterHint : 1
; COMPUTE_PGM_RSRC2:SCRATCH_EN: 0
; COMPUTE_PGM_RSRC2:USER_SGPR: 2
; COMPUTE_PGM_RSRC2:TRAP_HANDLER: 0
; COMPUTE_PGM_RSRC2:TGID_X_EN: 1
; COMPUTE_PGM_RSRC2:TGID_Y_EN: 0
; COMPUTE_PGM_RSRC2:TGID_Z_EN: 0
; COMPUTE_PGM_RSRC2:TIDIG_COMP_CNT: 0
	.section	.text._ZL11k_bin_bcastIXadL_ZL6op_mulffEE6__halfffJPKfS2_S2_S2_S2_S2_S2_EEvPKT0_PKT1_PT2_iii15HIP_vector_typeIjLj3EESC_SC_SC_SC_iiiiiiiiiiiDpT3_,"axG",@progbits,_ZL11k_bin_bcastIXadL_ZL6op_mulffEE6__halfffJPKfS2_S2_S2_S2_S2_S2_EEvPKT0_PKT1_PT2_iii15HIP_vector_typeIjLj3EESC_SC_SC_SC_iiiiiiiiiiiDpT3_,comdat
	.globl	_ZL11k_bin_bcastIXadL_ZL6op_mulffEE6__halfffJPKfS2_S2_S2_S2_S2_S2_EEvPKT0_PKT1_PT2_iii15HIP_vector_typeIjLj3EESC_SC_SC_SC_iiiiiiiiiiiDpT3_ ; -- Begin function _ZL11k_bin_bcastIXadL_ZL6op_mulffEE6__halfffJPKfS2_S2_S2_S2_S2_S2_EEvPKT0_PKT1_PT2_iii15HIP_vector_typeIjLj3EESC_SC_SC_SC_iiiiiiiiiiiDpT3_
	.p2align	8
	.type	_ZL11k_bin_bcastIXadL_ZL6op_mulffEE6__halfffJPKfS2_S2_S2_S2_S2_S2_EEvPKT0_PKT1_PT2_iii15HIP_vector_typeIjLj3EESC_SC_SC_SC_iiiiiiiiiiiDpT3_,@function
_ZL11k_bin_bcastIXadL_ZL6op_mulffEE6__halfffJPKfS2_S2_S2_S2_S2_S2_EEvPKT0_PKT1_PT2_iii15HIP_vector_typeIjLj3EESC_SC_SC_SC_iiiiiiiiiiiDpT3_: ; @_ZL11k_bin_bcastIXadL_ZL6op_mulffEE6__halfffJPKfS2_S2_S2_S2_S2_S2_EEvPKT0_PKT1_PT2_iii15HIP_vector_typeIjLj3EESC_SC_SC_SC_iiiiiiiiiiiDpT3_
; %bb.0:
	s_load_b64 s[2:3], s[0:1], 0xd4
	s_bfe_u32 s5, ttmp6, 0x40014
	s_bfe_u32 s7, ttmp6, 0x40010
	;; [unrolled: 1-line block ×3, first 2 shown]
	s_lshr_b32 s4, ttmp7, 16
	s_and_b32 s16, ttmp7, 0xffff
	s_add_co_i32 s5, s5, 1
	s_add_co_i32 s7, s7, 1
	s_load_b256 s[8:15], s[0:1], 0x18
	s_add_co_i32 s19, s19, 1
	s_bfe_u32 s6, ttmp6, 0x40008
	s_bfe_u32 s17, ttmp6, 0x40004
	s_mul_i32 s5, s4, s5
	s_mul_i32 s7, s16, s7
	s_and_b32 s18, ttmp6, 15
	s_mul_i32 s19, ttmp9, s19
	s_add_co_i32 s6, s6, s5
	s_add_co_i32 s17, s17, s7
	;; [unrolled: 1-line block ×3, first 2 shown]
	v_bfe_u32 v1, v0, 20, 10
	s_wait_kmcnt 0x0
	s_lshr_b32 s5, s2, 16
	s_and_b32 s7, s2, 0xffff
	s_getreg_b32 s2, hwreg(HW_REG_IB_STS2, 6, 4)
	s_and_b32 s3, s3, 0xffff
	s_cmp_eq_u32 s2, 0
	v_and_b32_e32 v2, 0x3ff, v0
	s_cselect_b32 s2, s4, s6
	v_bfe_u32 v4, v0, 10, 10
	v_mad_u32 v3, s2, s3, v1
	s_cselect_b32 s2, ttmp9, s18
	s_cselect_b32 s3, s16, s17
	v_mad_u32 v0, s2, s7, v2
	v_mad_u32 v2, s3, s5, v4
	s_delay_alu instid0(VALU_DEP_3) | instskip(NEXT) | instid1(VALU_DEP_3)
	v_mul_hi_u32 v1, v3, s11
	v_cmp_gt_u32_e32 vcc_lo, s8, v0
	s_delay_alu instid0(VALU_DEP_3) | instskip(SKIP_2) | instid1(VALU_DEP_1)
	v_cmp_gt_u32_e64 s2, s9, v2
	s_and_b32 s2, vcc_lo, s2
	v_add_nc_u32_e32 v1, v3, v1
	v_lshrrev_b32_e32 v1, s12, v1
	s_delay_alu instid0(VALU_DEP_1) | instskip(SKIP_3) | instid1(VALU_DEP_1)
	v_mul_lo_u32 v5, v1, s13
	v_cmp_gt_u32_e64 s3, s10, v1
	s_and_b32 s2, s2, s3
	v_sub_nc_u32_e32 v3, v3, v5
	v_cmp_gt_u32_e64 s4, s13, v3
	s_and_b32 s2, s2, s4
	s_delay_alu instid0(SALU_CYCLE_1)
	s_and_saveexec_b32 s3, s2
	s_cbranch_execz .LBB143_6
; %bb.1:
	v_cmp_gt_i32_e32 vcc_lo, s8, v0
	s_and_b32 exec_lo, exec_lo, vcc_lo
	s_cbranch_execz .LBB143_6
; %bb.2:
	s_clause 0x3
	s_load_b256 s[24:31], s[0:1], 0x3c
	s_load_b32 s2, s[0:1], 0x5c
	s_load_b256 s[16:23], s[0:1], 0x60
	s_load_b96 s[4:6], s[0:1], 0x80
	s_add_nc_u64 s[10:11], s[0:1], 0xc8
	s_clause 0x1
	s_load_b256 s[36:43], s[0:1], 0x90
	s_load_b64 s[12:13], s[0:1], 0x10
	s_wait_kmcnt 0x0
	v_mul_hi_u32 v4, s30, v3
	v_mul_hi_u32 v5, s27, v1
	;; [unrolled: 1-line block ×3, first 2 shown]
	v_mul_lo_u32 v7, v2, s20
	v_mul_lo_u32 v8, v2, s16
	s_delay_alu instid0(VALU_DEP_4) | instskip(NEXT) | instid1(VALU_DEP_3)
	v_dual_add_nc_u32 v4, v3, v4 :: v_dual_add_nc_u32 v5, v1, v5
	v_mad_u32 v7, v1, s21, v7
	s_delay_alu instid0(VALU_DEP_3) | instskip(NEXT) | instid1(VALU_DEP_3)
	v_mad_u32 v8, v1, s17, v8
	v_dual_lshrrev_b32 v4, s31, v4 :: v_dual_lshrrev_b32 v5, s28, v5
	s_delay_alu instid0(VALU_DEP_1) | instskip(SKIP_1) | instid1(VALU_DEP_3)
	v_mul_lo_u32 v4, v4, s2
	v_add_nc_u32_e32 v6, v2, v6
	v_mul_lo_u32 v5, v5, s29
	s_load_b64 s[2:3], s[0:1], 0x0
	v_mad_u32 v8, v3, s18, v8
	s_delay_alu instid0(VALU_DEP_3) | instskip(NEXT) | instid1(VALU_DEP_3)
	v_dual_sub_nc_u32 v4, v3, v4 :: v_dual_lshrrev_b32 v6, s25, v6
	v_sub_nc_u32_e32 v5, v1, v5
	s_delay_alu instid0(VALU_DEP_2) | instskip(NEXT) | instid1(VALU_DEP_3)
	v_mul_lo_u32 v9, v4, s6
	v_mul_lo_u32 v6, v6, s26
	s_load_b32 s6, s[10:11], 0x0
	s_load_b32 s9, s[0:1], 0x38
	v_mad_u32 v4, v3, s22, v7
	s_load_b256 s[24:31], s[0:1], 0xb0
	v_mov_b32_e32 v1, 0
	s_wait_xcnt 0x0
	s_mov_b32 s1, 0
	s_wait_kmcnt 0x0
	s_cmp_lg_u64 s[2:3], 0
	s_mov_b32 s0, s14
	v_mad_u32 v7, v5, s5, v9
	v_sub_nc_u32_e32 v2, v2, v6
	v_mul_lo_u32 v6, s19, v0
	v_dual_mov_b32 v5, v1 :: v_dual_mov_b32 v9, v1
	v_mov_b32_e32 v3, v1
	s_delay_alu instid0(VALU_DEP_2) | instskip(NEXT) | instid1(VALU_DEP_3)
	v_lshl_add_u64 v[4:5], v[4:5], 1, s[2:3]
	v_lshl_add_u64 v[8:9], v[8:9], 2, s[12:13]
	s_mul_i32 s2, s6, s7
	v_mad_u32 v2, v2, s4, v7
	s_cselect_b32 s3, -1, 0
	s_mul_i32 s4, s2, s19
	s_sub_co_i32 s5, 0, s9
	s_mov_b32 s6, s1
	s_branch .LBB143_4
.LBB143_3:                              ;   in Loop: Header=BB143_4 Depth=1
	s_wait_xcnt 0x0
	v_mul_u64_e32 v[10:11], s[0:1], v[0:1]
	s_delay_alu instid0(VALU_DEP_1) | instskip(NEXT) | instid1(VALU_DEP_1)
	v_dual_add_nc_u32 v6, s4, v6 :: v_dual_add_nc_u32 v10, v0, v11
	v_dual_mov_b32 v11, v1 :: v_dual_lshrrev_b32 v10, s15, v10
	s_delay_alu instid0(VALU_DEP_1) | instskip(NEXT) | instid1(VALU_DEP_1)
	v_mad_u32 v10, s5, v10, v0
	v_mul_lo_u32 v10, v10, s23
	s_delay_alu instid0(VALU_DEP_1) | instskip(NEXT) | instid1(VALU_DEP_1)
	v_add_nc_u64_e32 v[10:11], v[10:11], v[2:3]
	v_lshlrev_b64_e32 v[10:11], 2, v[10:11]
	s_delay_alu instid0(VALU_DEP_1)
	v_add_nc_u64_e32 v[12:13], s[36:37], v[10:11]
	v_add_nc_u64_e32 v[14:15], s[38:39], v[10:11]
	global_load_b32 v16, v[12:13], off
	s_wait_xcnt 0x0
	v_add_nc_u64_e32 v[12:13], s[40:41], v[10:11]
	global_load_b32 v17, v[14:15], off
	s_wait_xcnt 0x0
	;; [unrolled: 3-line block ×4, first 2 shown]
	v_add_nc_u64_e32 v[14:15], s[26:27], v[10:11]
	v_add_nc_u64_e32 v[10:11], s[28:29], v[10:11]
	global_load_b32 v12, v[12:13], off
	global_load_b32 v13, v[14:15], off
	;; [unrolled: 1-line block ×3, first 2 shown]
	s_wait_xcnt 0x0
	v_dual_mov_b32 v10, v0 :: v_dual_ashrrev_i32 v11, 31, v0
	v_add_nc_u32_e32 v0, s2, v0
	s_delay_alu instid0(VALU_DEP_2) | instskip(NEXT) | instid1(VALU_DEP_2)
	v_lshl_add_u64 v[10:11], v[10:11], 2, v[8:9]
	v_cmp_le_i32_e32 vcc_lo, s8, v0
	s_or_b32 s6, vcc_lo, s6
	s_wait_loadcnt 0x6
	v_mul_f32_e32 v7, v7, v16
	s_wait_loadcnt 0x5
	s_delay_alu instid0(VALU_DEP_1) | instskip(SKIP_1) | instid1(VALU_DEP_1)
	v_mul_f32_e32 v7, v7, v17
	s_wait_loadcnt 0x4
	v_mul_f32_e32 v7, v7, v18
	s_wait_loadcnt 0x3
	s_delay_alu instid0(VALU_DEP_1) | instskip(SKIP_1) | instid1(VALU_DEP_1)
	v_mul_f32_e32 v7, v7, v19
	;; [unrolled: 5-line block ×3, first 2 shown]
	s_wait_loadcnt 0x0
	v_mul_f32_e32 v7, v7, v20
	global_store_b32 v[10:11], v7, off
	s_wait_xcnt 0x0
	s_and_not1_b32 exec_lo, exec_lo, s6
	s_cbranch_execz .LBB143_6
.LBB143_4:                              ; =>This Inner Loop Header: Depth=1
	v_mov_b32_e32 v7, 0
	s_and_not1_b32 vcc_lo, exec_lo, s3
	s_cbranch_vccnz .LBB143_3
; %bb.5:                                ;   in Loop: Header=BB143_4 Depth=1
	v_ashrrev_i32_e32 v7, 31, v6
	s_delay_alu instid0(VALU_DEP_1)
	v_lshl_add_u64 v[10:11], v[6:7], 1, v[4:5]
	global_load_u16 v7, v[10:11], off
	s_wait_loadcnt 0x0
	v_cvt_f32_f16_e32 v7, v7
	s_branch .LBB143_3
.LBB143_6:
	s_endpgm
	.section	.rodata,"a",@progbits
	.p2align	6, 0x0
	.amdhsa_kernel _ZL11k_bin_bcastIXadL_ZL6op_mulffEE6__halfffJPKfS2_S2_S2_S2_S2_S2_EEvPKT0_PKT1_PT2_iii15HIP_vector_typeIjLj3EESC_SC_SC_SC_iiiiiiiiiiiDpT3_
		.amdhsa_group_segment_fixed_size 0
		.amdhsa_private_segment_fixed_size 0
		.amdhsa_kernarg_size 456
		.amdhsa_user_sgpr_count 2
		.amdhsa_user_sgpr_dispatch_ptr 0
		.amdhsa_user_sgpr_queue_ptr 0
		.amdhsa_user_sgpr_kernarg_segment_ptr 1
		.amdhsa_user_sgpr_dispatch_id 0
		.amdhsa_user_sgpr_kernarg_preload_length 0
		.amdhsa_user_sgpr_kernarg_preload_offset 0
		.amdhsa_user_sgpr_private_segment_size 0
		.amdhsa_wavefront_size32 1
		.amdhsa_uses_dynamic_stack 0
		.amdhsa_enable_private_segment 0
		.amdhsa_system_sgpr_workgroup_id_x 1
		.amdhsa_system_sgpr_workgroup_id_y 1
		.amdhsa_system_sgpr_workgroup_id_z 1
		.amdhsa_system_sgpr_workgroup_info 0
		.amdhsa_system_vgpr_workitem_id 2
		.amdhsa_next_free_vgpr 21
		.amdhsa_next_free_sgpr 44
		.amdhsa_named_barrier_count 0
		.amdhsa_reserve_vcc 1
		.amdhsa_float_round_mode_32 0
		.amdhsa_float_round_mode_16_64 0
		.amdhsa_float_denorm_mode_32 3
		.amdhsa_float_denorm_mode_16_64 3
		.amdhsa_fp16_overflow 0
		.amdhsa_memory_ordered 1
		.amdhsa_forward_progress 1
		.amdhsa_inst_pref_size 9
		.amdhsa_round_robin_scheduling 0
		.amdhsa_exception_fp_ieee_invalid_op 0
		.amdhsa_exception_fp_denorm_src 0
		.amdhsa_exception_fp_ieee_div_zero 0
		.amdhsa_exception_fp_ieee_overflow 0
		.amdhsa_exception_fp_ieee_underflow 0
		.amdhsa_exception_fp_ieee_inexact 0
		.amdhsa_exception_int_div_zero 0
	.end_amdhsa_kernel
	.section	.text._ZL11k_bin_bcastIXadL_ZL6op_mulffEE6__halfffJPKfS2_S2_S2_S2_S2_S2_EEvPKT0_PKT1_PT2_iii15HIP_vector_typeIjLj3EESC_SC_SC_SC_iiiiiiiiiiiDpT3_,"axG",@progbits,_ZL11k_bin_bcastIXadL_ZL6op_mulffEE6__halfffJPKfS2_S2_S2_S2_S2_S2_EEvPKT0_PKT1_PT2_iii15HIP_vector_typeIjLj3EESC_SC_SC_SC_iiiiiiiiiiiDpT3_,comdat
.Lfunc_end143:
	.size	_ZL11k_bin_bcastIXadL_ZL6op_mulffEE6__halfffJPKfS2_S2_S2_S2_S2_S2_EEvPKT0_PKT1_PT2_iii15HIP_vector_typeIjLj3EESC_SC_SC_SC_iiiiiiiiiiiDpT3_, .Lfunc_end143-_ZL11k_bin_bcastIXadL_ZL6op_mulffEE6__halfffJPKfS2_S2_S2_S2_S2_S2_EEvPKT0_PKT1_PT2_iii15HIP_vector_typeIjLj3EESC_SC_SC_SC_iiiiiiiiiiiDpT3_
                                        ; -- End function
	.set _ZL11k_bin_bcastIXadL_ZL6op_mulffEE6__halfffJPKfS2_S2_S2_S2_S2_S2_EEvPKT0_PKT1_PT2_iii15HIP_vector_typeIjLj3EESC_SC_SC_SC_iiiiiiiiiiiDpT3_.num_vgpr, 21
	.set _ZL11k_bin_bcastIXadL_ZL6op_mulffEE6__halfffJPKfS2_S2_S2_S2_S2_S2_EEvPKT0_PKT1_PT2_iii15HIP_vector_typeIjLj3EESC_SC_SC_SC_iiiiiiiiiiiDpT3_.num_agpr, 0
	.set _ZL11k_bin_bcastIXadL_ZL6op_mulffEE6__halfffJPKfS2_S2_S2_S2_S2_S2_EEvPKT0_PKT1_PT2_iii15HIP_vector_typeIjLj3EESC_SC_SC_SC_iiiiiiiiiiiDpT3_.numbered_sgpr, 44
	.set _ZL11k_bin_bcastIXadL_ZL6op_mulffEE6__halfffJPKfS2_S2_S2_S2_S2_S2_EEvPKT0_PKT1_PT2_iii15HIP_vector_typeIjLj3EESC_SC_SC_SC_iiiiiiiiiiiDpT3_.num_named_barrier, 0
	.set _ZL11k_bin_bcastIXadL_ZL6op_mulffEE6__halfffJPKfS2_S2_S2_S2_S2_S2_EEvPKT0_PKT1_PT2_iii15HIP_vector_typeIjLj3EESC_SC_SC_SC_iiiiiiiiiiiDpT3_.private_seg_size, 0
	.set _ZL11k_bin_bcastIXadL_ZL6op_mulffEE6__halfffJPKfS2_S2_S2_S2_S2_S2_EEvPKT0_PKT1_PT2_iii15HIP_vector_typeIjLj3EESC_SC_SC_SC_iiiiiiiiiiiDpT3_.uses_vcc, 1
	.set _ZL11k_bin_bcastIXadL_ZL6op_mulffEE6__halfffJPKfS2_S2_S2_S2_S2_S2_EEvPKT0_PKT1_PT2_iii15HIP_vector_typeIjLj3EESC_SC_SC_SC_iiiiiiiiiiiDpT3_.uses_flat_scratch, 0
	.set _ZL11k_bin_bcastIXadL_ZL6op_mulffEE6__halfffJPKfS2_S2_S2_S2_S2_S2_EEvPKT0_PKT1_PT2_iii15HIP_vector_typeIjLj3EESC_SC_SC_SC_iiiiiiiiiiiDpT3_.has_dyn_sized_stack, 0
	.set _ZL11k_bin_bcastIXadL_ZL6op_mulffEE6__halfffJPKfS2_S2_S2_S2_S2_S2_EEvPKT0_PKT1_PT2_iii15HIP_vector_typeIjLj3EESC_SC_SC_SC_iiiiiiiiiiiDpT3_.has_recursion, 0
	.set _ZL11k_bin_bcastIXadL_ZL6op_mulffEE6__halfffJPKfS2_S2_S2_S2_S2_S2_EEvPKT0_PKT1_PT2_iii15HIP_vector_typeIjLj3EESC_SC_SC_SC_iiiiiiiiiiiDpT3_.has_indirect_call, 0
	.section	.AMDGPU.csdata,"",@progbits
; Kernel info:
; codeLenInByte = 1064
; TotalNumSgprs: 46
; NumVgprs: 21
; ScratchSize: 0
; MemoryBound: 0
; FloatMode: 240
; IeeeMode: 1
; LDSByteSize: 0 bytes/workgroup (compile time only)
; SGPRBlocks: 0
; VGPRBlocks: 1
; NumSGPRsForWavesPerEU: 46
; NumVGPRsForWavesPerEU: 21
; NamedBarCnt: 0
; Occupancy: 16
; WaveLimiterHint : 1
; COMPUTE_PGM_RSRC2:SCRATCH_EN: 0
; COMPUTE_PGM_RSRC2:USER_SGPR: 2
; COMPUTE_PGM_RSRC2:TRAP_HANDLER: 0
; COMPUTE_PGM_RSRC2:TGID_X_EN: 1
; COMPUTE_PGM_RSRC2:TGID_Y_EN: 1
; COMPUTE_PGM_RSRC2:TGID_Z_EN: 1
; COMPUTE_PGM_RSRC2:TIDIG_COMP_CNT: 2
	.section	.text._ZL19k_bin_bcast_unravelIXadL_ZL6op_mulffEEfffJPKfS1_S1_S1_S1_S1_S1_S1_EEvPKT0_PKT1_PT2_15HIP_vector_typeIjLj3EESB_SB_jSB_SB_SB_SB_SB_SB_iiiiiiiiiiiDpT3_,"axG",@progbits,_ZL19k_bin_bcast_unravelIXadL_ZL6op_mulffEEfffJPKfS1_S1_S1_S1_S1_S1_S1_EEvPKT0_PKT1_PT2_15HIP_vector_typeIjLj3EESB_SB_jSB_SB_SB_SB_SB_SB_iiiiiiiiiiiDpT3_,comdat
	.globl	_ZL19k_bin_bcast_unravelIXadL_ZL6op_mulffEEfffJPKfS1_S1_S1_S1_S1_S1_S1_EEvPKT0_PKT1_PT2_15HIP_vector_typeIjLj3EESB_SB_jSB_SB_SB_SB_SB_SB_iiiiiiiiiiiDpT3_ ; -- Begin function _ZL19k_bin_bcast_unravelIXadL_ZL6op_mulffEEfffJPKfS1_S1_S1_S1_S1_S1_S1_EEvPKT0_PKT1_PT2_15HIP_vector_typeIjLj3EESB_SB_jSB_SB_SB_SB_SB_SB_iiiiiiiiiiiDpT3_
	.p2align	8
	.type	_ZL19k_bin_bcast_unravelIXadL_ZL6op_mulffEEfffJPKfS1_S1_S1_S1_S1_S1_S1_EEvPKT0_PKT1_PT2_15HIP_vector_typeIjLj3EESB_SB_jSB_SB_SB_SB_SB_SB_iiiiiiiiiiiDpT3_,@function
_ZL19k_bin_bcast_unravelIXadL_ZL6op_mulffEEfffJPKfS1_S1_S1_S1_S1_S1_S1_EEvPKT0_PKT1_PT2_15HIP_vector_typeIjLj3EESB_SB_jSB_SB_SB_SB_SB_SB_iiiiiiiiiiiDpT3_: ; @_ZL19k_bin_bcast_unravelIXadL_ZL6op_mulffEEfffJPKfS1_S1_S1_S1_S1_S1_S1_EEvPKT0_PKT1_PT2_15HIP_vector_typeIjLj3EESB_SB_jSB_SB_SB_SB_SB_SB_iiiiiiiiiiiDpT3_
; %bb.0:
	s_load_b32 s2, s[0:1], 0x104
	s_bfe_u32 s3, ttmp6, 0x4000c
	s_load_b256 s[4:11], s[0:1], 0x38
	s_add_co_i32 s3, s3, 1
	s_and_b32 s12, ttmp6, 15
	s_mul_i32 s3, ttmp9, s3
	s_getreg_b32 s13, hwreg(HW_REG_IB_STS2, 6, 4)
	s_add_co_i32 s12, s12, s3
	s_wait_kmcnt 0x0
	s_and_b32 s2, s2, 0xffff
	s_cmp_eq_u32 s13, 0
	s_cselect_b32 s3, ttmp9, s12
	s_delay_alu instid0(SALU_CYCLE_1) | instskip(SKIP_1) | instid1(VALU_DEP_1)
	v_mad_u32 v0, s3, s2, v0
	s_load_b32 s2, s[0:1], 0x2c
	v_mul_hi_u32 v1, v0, s6
	s_delay_alu instid0(VALU_DEP_1) | instskip(NEXT) | instid1(VALU_DEP_1)
	v_add_nc_u32_e32 v1, v0, v1
	v_lshrrev_b32_e32 v1, s7, v1
	s_delay_alu instid0(VALU_DEP_1) | instskip(NEXT) | instid1(VALU_DEP_1)
	v_mul_lo_u32 v2, v1, s8
	v_sub_nc_u32_e32 v0, v0, v2
	s_delay_alu instid0(VALU_DEP_1) | instskip(NEXT) | instid1(VALU_DEP_1)
	v_mul_hi_u32 v2, v0, s9
	v_add_nc_u32_e32 v2, v0, v2
	s_delay_alu instid0(VALU_DEP_1) | instskip(SKIP_1) | instid1(VALU_DEP_1)
	v_lshrrev_b32_e32 v2, s10, v2
	s_load_b96 s[8:10], s[0:1], 0x18
	v_mul_lo_u32 v3, v2, s11
	s_delay_alu instid0(VALU_DEP_1) | instskip(SKIP_3) | instid1(VALU_DEP_3)
	v_sub_nc_u32_e32 v0, v0, v3
	v_cmp_gt_u32_e64 s3, s4, v2
	v_cmp_gt_u32_e64 s4, s5, v1
	s_wait_kmcnt 0x0
	v_mul_hi_u32 v3, v0, s8
	s_delay_alu instid0(VALU_DEP_1) | instskip(NEXT) | instid1(VALU_DEP_1)
	v_add_nc_u32_e32 v3, v0, v3
	v_lshrrev_b32_e32 v4, s9, v3
	s_delay_alu instid0(VALU_DEP_1) | instskip(NEXT) | instid1(VALU_DEP_1)
	v_mul_lo_u32 v3, v4, s10
	v_sub_nc_u32_e32 v0, v0, v3
	v_cmp_gt_u32_e64 s2, s2, v4
	s_delay_alu instid0(VALU_DEP_2) | instskip(SKIP_1) | instid1(SALU_CYCLE_1)
	v_cmp_gt_u32_e32 vcc_lo, s10, v0
	s_and_b32 s2, vcc_lo, s2
	s_and_b32 s2, s2, s3
	s_delay_alu instid0(SALU_CYCLE_1) | instskip(NEXT) | instid1(SALU_CYCLE_1)
	s_and_b32 s2, s4, s2
	s_and_saveexec_b32 s3, s2
	s_cbranch_execz .LBB144_4
; %bb.1:
	s_clause 0x4
	s_load_b64 s[2:3], s[0:1], 0x0
	s_load_b96 s[16:18], s[0:1], 0xa8
	s_load_b256 s[20:27], s[0:1], 0x88
	s_load_b128 s[12:15], s[0:1], 0x78
	s_load_b256 s[4:11], s[0:1], 0x58
	v_dual_mov_b32 v3, 0 :: v_dual_mov_b32 v5, 0
	s_wait_kmcnt 0x0
	s_cmp_eq_u64 s[2:3], 0
	s_cbranch_scc1 .LBB144_3
; %bb.2:
	v_mul_lo_u32 v5, v1, s26
	v_mov_b32_e32 v7, 0
	s_delay_alu instid0(VALU_DEP_2) | instskip(NEXT) | instid1(VALU_DEP_1)
	v_mad_u32 v5, v2, s25, v5
	v_mad_u32 v6, v4, s24, v5
	s_delay_alu instid0(VALU_DEP_1) | instskip(SKIP_1) | instid1(VALU_DEP_1)
	v_lshl_add_u64 v[8:9], v[6:7], 2, s[2:3]
	v_mul_lo_u32 v6, v0, s23
	v_lshl_add_u64 v[6:7], v[6:7], 2, v[8:9]
	global_load_b32 v5, v[6:7], off
.LBB144_3:
	s_wait_xcnt 0x0
	v_mul_hi_u32 v6, s13, v1
	v_mul_hi_u32 v7, s10, v2
	;; [unrolled: 1-line block ×4, first 2 shown]
	s_delay_alu instid0(VALU_DEP_3) | instskip(NEXT) | instid1(VALU_DEP_1)
	v_dual_add_nc_u32 v6, v1, v6 :: v_dual_add_nc_u32 v7, v2, v7
	v_dual_lshrrev_b32 v6, s14, v6 :: v_dual_lshrrev_b32 v7, s11, v7
	s_delay_alu instid0(VALU_DEP_1) | instskip(SKIP_1) | instid1(VALU_DEP_3)
	v_mul_lo_u32 v6, v6, s15
	v_add_nc_u32_e32 v8, v4, v8
	v_mul_lo_u32 v7, v7, s12
	s_delay_alu instid0(VALU_DEP_3) | instskip(NEXT) | instid1(VALU_DEP_3)
	v_dual_sub_nc_u32 v6, v1, v6 :: v_dual_add_nc_u32 v9, v0, v9
	v_lshrrev_b32_e32 v8, s8, v8
	v_mul_lo_u32 v1, v1, s22
	s_delay_alu instid0(VALU_DEP_4) | instskip(NEXT) | instid1(VALU_DEP_4)
	v_sub_nc_u32_e32 v7, v2, v7
	v_mul_lo_u32 v6, v6, s18
	v_lshrrev_b32_e32 v9, s5, v9
	v_mul_lo_u32 v8, v8, s9
	s_delay_alu instid0(VALU_DEP_2) | instskip(SKIP_2) | instid1(VALU_DEP_4)
	v_mul_lo_u32 v9, v9, s6
	v_mad_u32 v1, v2, s21, v1
	v_mad_u32 v7, v7, s17, v6
	v_sub_nc_u32_e32 v8, v4, v8
	s_delay_alu instid0(VALU_DEP_1) | instskip(SKIP_2) | instid1(VALU_DEP_2)
	v_mad_u32 v8, v8, s16, v7
	v_sub_nc_u32_e32 v6, v0, v9
	s_load_b512 s[4:19], s[0:1], 0xb8
	v_ashrrev_i32_e32 v9, 31, v8
	s_delay_alu instid0(VALU_DEP_2) | instskip(SKIP_2) | instid1(VALU_DEP_1)
	v_mul_lo_u32 v6, v6, s27
	s_wait_xcnt 0x0
	s_load_b64 s[0:1], s[0:1], 0x10
	v_ashrrev_i32_e32 v7, 31, v6
	s_delay_alu instid0(VALU_DEP_1) | instskip(NEXT) | instid1(VALU_DEP_1)
	v_add_nc_u64_e32 v[6:7], v[6:7], v[8:9]
	v_lshlrev_b64_e32 v[6:7], 2, v[6:7]
	s_wait_kmcnt 0x0
	s_delay_alu instid0(VALU_DEP_1)
	v_add_nc_u64_e32 v[8:9], s[4:5], v[6:7]
	v_add_nc_u64_e32 v[10:11], s[6:7], v[6:7]
	global_load_b32 v12, v[8:9], off
	s_wait_xcnt 0x0
	v_add_nc_u64_e32 v[8:9], s[8:9], v[6:7]
	global_load_b32 v13, v[10:11], off
	s_wait_xcnt 0x0
	;; [unrolled: 3-line block ×5, first 2 shown]
	v_add_nc_u64_e32 v[8:9], s[16:17], v[6:7]
	global_load_b32 v10, v[10:11], off
	v_add_nc_u64_e32 v[6:7], s[18:19], v[6:7]
	global_load_b32 v11, v[8:9], off
	global_load_b32 v17, v[6:7], off
	s_wait_loadcnt 0x7
	v_mul_f32_e32 v5, v5, v12
	s_wait_loadcnt 0x6
	s_delay_alu instid0(VALU_DEP_1) | instskip(SKIP_1) | instid1(VALU_DEP_1)
	v_mul_f32_e32 v5, v5, v13
	s_wait_loadcnt 0x5
	v_mul_f32_e32 v2, v5, v14
	s_wait_loadcnt 0x4
	s_delay_alu instid0(VALU_DEP_1) | instskip(SKIP_2) | instid1(VALU_DEP_2)
	v_mul_f32_e32 v5, v2, v15
	v_mad_u32 v2, v4, s20, v1
	s_wait_loadcnt 0x3
	v_mul_f32_e32 v1, v5, v16
	s_wait_loadcnt 0x2
	s_delay_alu instid0(VALU_DEP_1) | instskip(NEXT) | instid1(VALU_DEP_3)
	v_dual_mul_f32 v4, v1, v10 :: v_dual_mov_b32 v1, v3
	v_lshl_add_u64 v[2:3], v[2:3], 2, s[0:1]
	s_wait_loadcnt 0x1
	s_delay_alu instid0(VALU_DEP_2) | instskip(NEXT) | instid1(VALU_DEP_2)
	v_mul_f32_e32 v4, v4, v11
	v_lshl_add_u64 v[0:1], v[0:1], 2, v[2:3]
	s_wait_loadcnt 0x0
	s_delay_alu instid0(VALU_DEP_2)
	v_mul_f32_e32 v4, v4, v17
	global_store_b32 v[0:1], v4, off
.LBB144_4:
	s_endpgm
	.section	.rodata,"a",@progbits
	.p2align	6, 0x0
	.amdhsa_kernel _ZL19k_bin_bcast_unravelIXadL_ZL6op_mulffEEfffJPKfS1_S1_S1_S1_S1_S1_S1_EEvPKT0_PKT1_PT2_15HIP_vector_typeIjLj3EESB_SB_jSB_SB_SB_SB_SB_SB_iiiiiiiiiiiDpT3_
		.amdhsa_group_segment_fixed_size 0
		.amdhsa_private_segment_fixed_size 0
		.amdhsa_kernarg_size 504
		.amdhsa_user_sgpr_count 2
		.amdhsa_user_sgpr_dispatch_ptr 0
		.amdhsa_user_sgpr_queue_ptr 0
		.amdhsa_user_sgpr_kernarg_segment_ptr 1
		.amdhsa_user_sgpr_dispatch_id 0
		.amdhsa_user_sgpr_kernarg_preload_length 0
		.amdhsa_user_sgpr_kernarg_preload_offset 0
		.amdhsa_user_sgpr_private_segment_size 0
		.amdhsa_wavefront_size32 1
		.amdhsa_uses_dynamic_stack 0
		.amdhsa_enable_private_segment 0
		.amdhsa_system_sgpr_workgroup_id_x 1
		.amdhsa_system_sgpr_workgroup_id_y 0
		.amdhsa_system_sgpr_workgroup_id_z 0
		.amdhsa_system_sgpr_workgroup_info 0
		.amdhsa_system_vgpr_workitem_id 0
		.amdhsa_next_free_vgpr 18
		.amdhsa_next_free_sgpr 28
		.amdhsa_named_barrier_count 0
		.amdhsa_reserve_vcc 1
		.amdhsa_float_round_mode_32 0
		.amdhsa_float_round_mode_16_64 0
		.amdhsa_float_denorm_mode_32 3
		.amdhsa_float_denorm_mode_16_64 3
		.amdhsa_fp16_overflow 0
		.amdhsa_memory_ordered 1
		.amdhsa_forward_progress 1
		.amdhsa_inst_pref_size 8
		.amdhsa_round_robin_scheduling 0
		.amdhsa_exception_fp_ieee_invalid_op 0
		.amdhsa_exception_fp_denorm_src 0
		.amdhsa_exception_fp_ieee_div_zero 0
		.amdhsa_exception_fp_ieee_overflow 0
		.amdhsa_exception_fp_ieee_underflow 0
		.amdhsa_exception_fp_ieee_inexact 0
		.amdhsa_exception_int_div_zero 0
	.end_amdhsa_kernel
	.section	.text._ZL19k_bin_bcast_unravelIXadL_ZL6op_mulffEEfffJPKfS1_S1_S1_S1_S1_S1_S1_EEvPKT0_PKT1_PT2_15HIP_vector_typeIjLj3EESB_SB_jSB_SB_SB_SB_SB_SB_iiiiiiiiiiiDpT3_,"axG",@progbits,_ZL19k_bin_bcast_unravelIXadL_ZL6op_mulffEEfffJPKfS1_S1_S1_S1_S1_S1_S1_EEvPKT0_PKT1_PT2_15HIP_vector_typeIjLj3EESB_SB_jSB_SB_SB_SB_SB_SB_iiiiiiiiiiiDpT3_,comdat
.Lfunc_end144:
	.size	_ZL19k_bin_bcast_unravelIXadL_ZL6op_mulffEEfffJPKfS1_S1_S1_S1_S1_S1_S1_EEvPKT0_PKT1_PT2_15HIP_vector_typeIjLj3EESB_SB_jSB_SB_SB_SB_SB_SB_iiiiiiiiiiiDpT3_, .Lfunc_end144-_ZL19k_bin_bcast_unravelIXadL_ZL6op_mulffEEfffJPKfS1_S1_S1_S1_S1_S1_S1_EEvPKT0_PKT1_PT2_15HIP_vector_typeIjLj3EESB_SB_jSB_SB_SB_SB_SB_SB_iiiiiiiiiiiDpT3_
                                        ; -- End function
	.set _ZL19k_bin_bcast_unravelIXadL_ZL6op_mulffEEfffJPKfS1_S1_S1_S1_S1_S1_S1_EEvPKT0_PKT1_PT2_15HIP_vector_typeIjLj3EESB_SB_jSB_SB_SB_SB_SB_SB_iiiiiiiiiiiDpT3_.num_vgpr, 18
	.set _ZL19k_bin_bcast_unravelIXadL_ZL6op_mulffEEfffJPKfS1_S1_S1_S1_S1_S1_S1_EEvPKT0_PKT1_PT2_15HIP_vector_typeIjLj3EESB_SB_jSB_SB_SB_SB_SB_SB_iiiiiiiiiiiDpT3_.num_agpr, 0
	.set _ZL19k_bin_bcast_unravelIXadL_ZL6op_mulffEEfffJPKfS1_S1_S1_S1_S1_S1_S1_EEvPKT0_PKT1_PT2_15HIP_vector_typeIjLj3EESB_SB_jSB_SB_SB_SB_SB_SB_iiiiiiiiiiiDpT3_.numbered_sgpr, 28
	.set _ZL19k_bin_bcast_unravelIXadL_ZL6op_mulffEEfffJPKfS1_S1_S1_S1_S1_S1_S1_EEvPKT0_PKT1_PT2_15HIP_vector_typeIjLj3EESB_SB_jSB_SB_SB_SB_SB_SB_iiiiiiiiiiiDpT3_.num_named_barrier, 0
	.set _ZL19k_bin_bcast_unravelIXadL_ZL6op_mulffEEfffJPKfS1_S1_S1_S1_S1_S1_S1_EEvPKT0_PKT1_PT2_15HIP_vector_typeIjLj3EESB_SB_jSB_SB_SB_SB_SB_SB_iiiiiiiiiiiDpT3_.private_seg_size, 0
	.set _ZL19k_bin_bcast_unravelIXadL_ZL6op_mulffEEfffJPKfS1_S1_S1_S1_S1_S1_S1_EEvPKT0_PKT1_PT2_15HIP_vector_typeIjLj3EESB_SB_jSB_SB_SB_SB_SB_SB_iiiiiiiiiiiDpT3_.uses_vcc, 1
	.set _ZL19k_bin_bcast_unravelIXadL_ZL6op_mulffEEfffJPKfS1_S1_S1_S1_S1_S1_S1_EEvPKT0_PKT1_PT2_15HIP_vector_typeIjLj3EESB_SB_jSB_SB_SB_SB_SB_SB_iiiiiiiiiiiDpT3_.uses_flat_scratch, 0
	.set _ZL19k_bin_bcast_unravelIXadL_ZL6op_mulffEEfffJPKfS1_S1_S1_S1_S1_S1_S1_EEvPKT0_PKT1_PT2_15HIP_vector_typeIjLj3EESB_SB_jSB_SB_SB_SB_SB_SB_iiiiiiiiiiiDpT3_.has_dyn_sized_stack, 0
	.set _ZL19k_bin_bcast_unravelIXadL_ZL6op_mulffEEfffJPKfS1_S1_S1_S1_S1_S1_S1_EEvPKT0_PKT1_PT2_15HIP_vector_typeIjLj3EESB_SB_jSB_SB_SB_SB_SB_SB_iiiiiiiiiiiDpT3_.has_recursion, 0
	.set _ZL19k_bin_bcast_unravelIXadL_ZL6op_mulffEEfffJPKfS1_S1_S1_S1_S1_S1_S1_EEvPKT0_PKT1_PT2_15HIP_vector_typeIjLj3EESB_SB_jSB_SB_SB_SB_SB_SB_iiiiiiiiiiiDpT3_.has_indirect_call, 0
	.section	.AMDGPU.csdata,"",@progbits
; Kernel info:
; codeLenInByte = 932
; TotalNumSgprs: 30
; NumVgprs: 18
; ScratchSize: 0
; MemoryBound: 0
; FloatMode: 240
; IeeeMode: 1
; LDSByteSize: 0 bytes/workgroup (compile time only)
; SGPRBlocks: 0
; VGPRBlocks: 1
; NumSGPRsForWavesPerEU: 30
; NumVGPRsForWavesPerEU: 18
; NamedBarCnt: 0
; Occupancy: 16
; WaveLimiterHint : 1
; COMPUTE_PGM_RSRC2:SCRATCH_EN: 0
; COMPUTE_PGM_RSRC2:USER_SGPR: 2
; COMPUTE_PGM_RSRC2:TRAP_HANDLER: 0
; COMPUTE_PGM_RSRC2:TGID_X_EN: 1
; COMPUTE_PGM_RSRC2:TGID_Y_EN: 0
; COMPUTE_PGM_RSRC2:TGID_Z_EN: 0
; COMPUTE_PGM_RSRC2:TIDIG_COMP_CNT: 0
	.section	.text._ZL11k_bin_bcastIXadL_ZL6op_mulffEEfffJPKfS1_S1_S1_S1_S1_S1_S1_EEvPKT0_PKT1_PT2_iii15HIP_vector_typeIjLj3EESB_SB_SB_SB_iiiiiiiiiiiDpT3_,"axG",@progbits,_ZL11k_bin_bcastIXadL_ZL6op_mulffEEfffJPKfS1_S1_S1_S1_S1_S1_S1_EEvPKT0_PKT1_PT2_iii15HIP_vector_typeIjLj3EESB_SB_SB_SB_iiiiiiiiiiiDpT3_,comdat
	.globl	_ZL11k_bin_bcastIXadL_ZL6op_mulffEEfffJPKfS1_S1_S1_S1_S1_S1_S1_EEvPKT0_PKT1_PT2_iii15HIP_vector_typeIjLj3EESB_SB_SB_SB_iiiiiiiiiiiDpT3_ ; -- Begin function _ZL11k_bin_bcastIXadL_ZL6op_mulffEEfffJPKfS1_S1_S1_S1_S1_S1_S1_EEvPKT0_PKT1_PT2_iii15HIP_vector_typeIjLj3EESB_SB_SB_SB_iiiiiiiiiiiDpT3_
	.p2align	8
	.type	_ZL11k_bin_bcastIXadL_ZL6op_mulffEEfffJPKfS1_S1_S1_S1_S1_S1_S1_EEvPKT0_PKT1_PT2_iii15HIP_vector_typeIjLj3EESB_SB_SB_SB_iiiiiiiiiiiDpT3_,@function
_ZL11k_bin_bcastIXadL_ZL6op_mulffEEfffJPKfS1_S1_S1_S1_S1_S1_S1_EEvPKT0_PKT1_PT2_iii15HIP_vector_typeIjLj3EESB_SB_SB_SB_iiiiiiiiiiiDpT3_: ; @_ZL11k_bin_bcastIXadL_ZL6op_mulffEEfffJPKfS1_S1_S1_S1_S1_S1_S1_EEvPKT0_PKT1_PT2_iii15HIP_vector_typeIjLj3EESB_SB_SB_SB_iiiiiiiiiiiDpT3_
; %bb.0:
	s_load_b64 s[2:3], s[0:1], 0xdc
	s_bfe_u32 s5, ttmp6, 0x40014
	s_bfe_u32 s8, ttmp6, 0x40010
	;; [unrolled: 1-line block ×3, first 2 shown]
	s_lshr_b32 s4, ttmp7, 16
	s_add_co_i32 s5, s5, 1
	s_and_b32 s7, ttmp7, 0xffff
	s_load_b256 s[20:27], s[0:1], 0x18
	s_add_co_i32 s8, s8, 1
	s_add_co_i32 s11, s11, 1
	s_bfe_u32 s6, ttmp6, 0x40008
	s_mul_i32 s5, s4, s5
	s_bfe_u32 s9, ttmp6, 0x40004
	s_and_b32 s10, ttmp6, 15
	s_mul_i32 s8, s7, s8
	s_mul_i32 s11, ttmp9, s11
	s_add_co_i32 s6, s6, s5
	s_add_co_i32 s9, s9, s8
	;; [unrolled: 1-line block ×3, first 2 shown]
	v_bfe_u32 v1, v0, 20, 10
	s_wait_kmcnt 0x0
	s_lshr_b32 s5, s2, 16
	s_and_b32 s28, s2, 0xffff
	s_getreg_b32 s2, hwreg(HW_REG_IB_STS2, 6, 4)
	s_and_b32 s3, s3, 0xffff
	s_cmp_eq_u32 s2, 0
	v_and_b32_e32 v2, 0x3ff, v0
	s_cselect_b32 s2, s4, s6
	v_bfe_u32 v4, v0, 10, 10
	v_mad_u32 v3, s2, s3, v1
	s_cselect_b32 s2, ttmp9, s10
	s_cselect_b32 s3, s7, s9
	v_mad_u32 v0, s2, s28, v2
	v_mad_u32 v2, s3, s5, v4
	s_delay_alu instid0(VALU_DEP_3) | instskip(NEXT) | instid1(VALU_DEP_3)
	v_mul_hi_u32 v1, v3, s23
	v_cmp_gt_u32_e32 vcc_lo, s20, v0
	s_delay_alu instid0(VALU_DEP_3) | instskip(SKIP_2) | instid1(VALU_DEP_1)
	v_cmp_gt_u32_e64 s2, s21, v2
	s_and_b32 s2, vcc_lo, s2
	v_add_nc_u32_e32 v1, v3, v1
	v_lshrrev_b32_e32 v1, s24, v1
	s_delay_alu instid0(VALU_DEP_1) | instskip(SKIP_3) | instid1(VALU_DEP_1)
	v_mul_lo_u32 v5, v1, s25
	v_cmp_gt_u32_e64 s3, s22, v1
	s_and_b32 s2, s2, s3
	v_sub_nc_u32_e32 v3, v3, v5
	v_cmp_gt_u32_e64 s4, s25, v3
	s_and_b32 s2, s2, s4
	s_delay_alu instid0(SALU_CYCLE_1)
	s_and_saveexec_b32 s3, s2
	s_cbranch_execz .LBB145_6
; %bb.1:
	v_cmp_gt_i32_e32 vcc_lo, s20, v0
	s_and_b32 exec_lo, exec_lo, vcc_lo
	s_cbranch_execz .LBB145_6
; %bb.2:
	s_clause 0x4
	s_load_b256 s[4:11], s[0:1], 0x3c
	s_load_b32 s2, s[0:1], 0x5c
	s_load_b256 s[36:43], s[0:1], 0x60
	s_load_b96 s[44:46], s[0:1], 0x80
	s_load_b64 s[22:23], s[0:1], 0x10
	s_wait_kmcnt 0x0
	v_mul_hi_u32 v4, s10, v3
	v_mul_hi_u32 v5, s7, v1
	;; [unrolled: 1-line block ×3, first 2 shown]
	v_mul_lo_u32 v7, v2, s40
	v_mul_lo_u32 v8, v2, s36
	s_delay_alu instid0(VALU_DEP_4) | instskip(NEXT) | instid1(VALU_DEP_3)
	v_dual_add_nc_u32 v4, v3, v4 :: v_dual_add_nc_u32 v5, v1, v5
	v_mad_u32 v7, v1, s41, v7
	s_delay_alu instid0(VALU_DEP_3) | instskip(NEXT) | instid1(VALU_DEP_3)
	v_mad_u32 v8, v1, s37, v8
	v_dual_lshrrev_b32 v4, s11, v4 :: v_dual_lshrrev_b32 v5, s8, v5
	s_delay_alu instid0(VALU_DEP_1) | instskip(SKIP_1) | instid1(VALU_DEP_3)
	v_mul_lo_u32 v4, v4, s2
	v_add_nc_u32_e32 v6, v2, v6
	v_mul_lo_u32 v5, v5, s9
	s_load_b64 s[2:3], s[0:1], 0x0
	v_mad_u32 v8, v3, s38, v8
	s_delay_alu instid0(VALU_DEP_3) | instskip(NEXT) | instid1(VALU_DEP_3)
	v_dual_sub_nc_u32 v4, v3, v4 :: v_dual_lshrrev_b32 v6, s5, v6
	v_sub_nc_u32_e32 v5, v1, v5
	s_add_nc_u64 s[4:5], s[0:1], 0xd0
	s_load_b32 s21, s[4:5], 0x0
	s_load_b32 s24, s[0:1], 0x38
	v_mul_lo_u32 v9, v4, s46
	v_mul_lo_u32 v6, v6, s6
	v_mad_u32 v4, v3, s42, v7
	s_wait_xcnt 0x0
	s_load_b512 s[4:19], s[0:1], 0x90
	v_mov_b32_e32 v1, 0
	s_wait_xcnt 0x0
	s_mov_b32 s1, 0
	s_wait_kmcnt 0x0
	s_cmp_lg_u64 s[2:3], 0
	s_mov_b32 s0, s26
	v_mad_u32 v7, v5, s45, v9
	v_sub_nc_u32_e32 v2, v2, v6
	v_mul_lo_u32 v6, s39, v0
	v_dual_mov_b32 v5, v1 :: v_dual_mov_b32 v9, v1
	v_mov_b32_e32 v3, v1
	s_delay_alu instid0(VALU_DEP_2) | instskip(NEXT) | instid1(VALU_DEP_3)
	v_lshl_add_u64 v[4:5], v[4:5], 2, s[2:3]
	v_lshl_add_u64 v[8:9], v[8:9], 2, s[22:23]
	s_mul_i32 s2, s21, s28
	v_mad_u32 v2, v2, s44, v7
	s_cselect_b32 s3, -1, 0
	s_mul_i32 s21, s2, s39
	s_sub_co_i32 s22, 0, s24
	s_mov_b32 s23, s1
	s_branch .LBB145_4
.LBB145_3:                              ;   in Loop: Header=BB145_4 Depth=1
	s_wait_xcnt 0x0
	v_mul_u64_e32 v[10:11], s[0:1], v[0:1]
	s_delay_alu instid0(VALU_DEP_1) | instskip(NEXT) | instid1(VALU_DEP_1)
	v_dual_add_nc_u32 v6, s21, v6 :: v_dual_add_nc_u32 v10, v0, v11
	v_dual_mov_b32 v11, v1 :: v_dual_lshrrev_b32 v10, s27, v10
	s_delay_alu instid0(VALU_DEP_1) | instskip(NEXT) | instid1(VALU_DEP_1)
	v_mad_u32 v10, s22, v10, v0
	v_mul_lo_u32 v10, v10, s43
	s_delay_alu instid0(VALU_DEP_1) | instskip(NEXT) | instid1(VALU_DEP_1)
	v_add_nc_u64_e32 v[10:11], v[10:11], v[2:3]
	v_lshlrev_b64_e32 v[10:11], 2, v[10:11]
	s_delay_alu instid0(VALU_DEP_1)
	v_add_nc_u64_e32 v[12:13], s[4:5], v[10:11]
	v_add_nc_u64_e32 v[14:15], s[6:7], v[10:11]
	global_load_b32 v16, v[12:13], off
	s_wait_xcnt 0x0
	v_add_nc_u64_e32 v[12:13], s[8:9], v[10:11]
	global_load_b32 v17, v[14:15], off
	s_wait_xcnt 0x0
	;; [unrolled: 3-line block ×5, first 2 shown]
	v_add_nc_u64_e32 v[12:13], s[16:17], v[10:11]
	global_load_b32 v14, v[14:15], off
	v_add_nc_u64_e32 v[10:11], s[18:19], v[10:11]
	global_load_b32 v15, v[12:13], off
	global_load_b32 v21, v[10:11], off
	s_wait_xcnt 0x0
	v_dual_mov_b32 v10, v0 :: v_dual_ashrrev_i32 v11, 31, v0
	v_add_nc_u32_e32 v0, s2, v0
	s_delay_alu instid0(VALU_DEP_2) | instskip(NEXT) | instid1(VALU_DEP_2)
	v_lshl_add_u64 v[10:11], v[10:11], 2, v[8:9]
	v_cmp_le_i32_e32 vcc_lo, s20, v0
	s_or_b32 s23, vcc_lo, s23
	s_wait_loadcnt 0x7
	v_mul_f32_e32 v7, v7, v16
	s_wait_loadcnt 0x6
	s_delay_alu instid0(VALU_DEP_1) | instskip(SKIP_1) | instid1(VALU_DEP_1)
	v_mul_f32_e32 v7, v7, v17
	s_wait_loadcnt 0x5
	v_mul_f32_e32 v7, v7, v18
	s_wait_loadcnt 0x4
	s_delay_alu instid0(VALU_DEP_1) | instskip(SKIP_1) | instid1(VALU_DEP_1)
	v_mul_f32_e32 v7, v7, v19
	;; [unrolled: 5-line block ×3, first 2 shown]
	s_wait_loadcnt 0x1
	v_mul_f32_e32 v7, v7, v15
	s_wait_loadcnt 0x0
	s_delay_alu instid0(VALU_DEP_1)
	v_mul_f32_e32 v7, v7, v21
	global_store_b32 v[10:11], v7, off
	s_wait_xcnt 0x0
	s_and_not1_b32 exec_lo, exec_lo, s23
	s_cbranch_execz .LBB145_6
.LBB145_4:                              ; =>This Inner Loop Header: Depth=1
	v_mov_b32_e32 v7, 0
	s_and_not1_b32 vcc_lo, exec_lo, s3
	s_cbranch_vccnz .LBB145_3
; %bb.5:                                ;   in Loop: Header=BB145_4 Depth=1
	v_ashrrev_i32_e32 v7, 31, v6
	s_delay_alu instid0(VALU_DEP_1)
	v_lshl_add_u64 v[10:11], v[6:7], 2, v[4:5]
	global_load_b32 v7, v[10:11], off
	s_branch .LBB145_3
.LBB145_6:
	s_endpgm
	.section	.rodata,"a",@progbits
	.p2align	6, 0x0
	.amdhsa_kernel _ZL11k_bin_bcastIXadL_ZL6op_mulffEEfffJPKfS1_S1_S1_S1_S1_S1_S1_EEvPKT0_PKT1_PT2_iii15HIP_vector_typeIjLj3EESB_SB_SB_SB_iiiiiiiiiiiDpT3_
		.amdhsa_group_segment_fixed_size 0
		.amdhsa_private_segment_fixed_size 0
		.amdhsa_kernarg_size 464
		.amdhsa_user_sgpr_count 2
		.amdhsa_user_sgpr_dispatch_ptr 0
		.amdhsa_user_sgpr_queue_ptr 0
		.amdhsa_user_sgpr_kernarg_segment_ptr 1
		.amdhsa_user_sgpr_dispatch_id 0
		.amdhsa_user_sgpr_kernarg_preload_length 0
		.amdhsa_user_sgpr_kernarg_preload_offset 0
		.amdhsa_user_sgpr_private_segment_size 0
		.amdhsa_wavefront_size32 1
		.amdhsa_uses_dynamic_stack 0
		.amdhsa_enable_private_segment 0
		.amdhsa_system_sgpr_workgroup_id_x 1
		.amdhsa_system_sgpr_workgroup_id_y 1
		.amdhsa_system_sgpr_workgroup_id_z 1
		.amdhsa_system_sgpr_workgroup_info 0
		.amdhsa_system_vgpr_workitem_id 2
		.amdhsa_next_free_vgpr 22
		.amdhsa_next_free_sgpr 47
		.amdhsa_named_barrier_count 0
		.amdhsa_reserve_vcc 1
		.amdhsa_float_round_mode_32 0
		.amdhsa_float_round_mode_16_64 0
		.amdhsa_float_denorm_mode_32 3
		.amdhsa_float_denorm_mode_16_64 3
		.amdhsa_fp16_overflow 0
		.amdhsa_memory_ordered 1
		.amdhsa_forward_progress 1
		.amdhsa_inst_pref_size 9
		.amdhsa_round_robin_scheduling 0
		.amdhsa_exception_fp_ieee_invalid_op 0
		.amdhsa_exception_fp_denorm_src 0
		.amdhsa_exception_fp_ieee_div_zero 0
		.amdhsa_exception_fp_ieee_overflow 0
		.amdhsa_exception_fp_ieee_underflow 0
		.amdhsa_exception_fp_ieee_inexact 0
		.amdhsa_exception_int_div_zero 0
	.end_amdhsa_kernel
	.section	.text._ZL11k_bin_bcastIXadL_ZL6op_mulffEEfffJPKfS1_S1_S1_S1_S1_S1_S1_EEvPKT0_PKT1_PT2_iii15HIP_vector_typeIjLj3EESB_SB_SB_SB_iiiiiiiiiiiDpT3_,"axG",@progbits,_ZL11k_bin_bcastIXadL_ZL6op_mulffEEfffJPKfS1_S1_S1_S1_S1_S1_S1_EEvPKT0_PKT1_PT2_iii15HIP_vector_typeIjLj3EESB_SB_SB_SB_iiiiiiiiiiiDpT3_,comdat
.Lfunc_end145:
	.size	_ZL11k_bin_bcastIXadL_ZL6op_mulffEEfffJPKfS1_S1_S1_S1_S1_S1_S1_EEvPKT0_PKT1_PT2_iii15HIP_vector_typeIjLj3EESB_SB_SB_SB_iiiiiiiiiiiDpT3_, .Lfunc_end145-_ZL11k_bin_bcastIXadL_ZL6op_mulffEEfffJPKfS1_S1_S1_S1_S1_S1_S1_EEvPKT0_PKT1_PT2_iii15HIP_vector_typeIjLj3EESB_SB_SB_SB_iiiiiiiiiiiDpT3_
                                        ; -- End function
	.set _ZL11k_bin_bcastIXadL_ZL6op_mulffEEfffJPKfS1_S1_S1_S1_S1_S1_S1_EEvPKT0_PKT1_PT2_iii15HIP_vector_typeIjLj3EESB_SB_SB_SB_iiiiiiiiiiiDpT3_.num_vgpr, 22
	.set _ZL11k_bin_bcastIXadL_ZL6op_mulffEEfffJPKfS1_S1_S1_S1_S1_S1_S1_EEvPKT0_PKT1_PT2_iii15HIP_vector_typeIjLj3EESB_SB_SB_SB_iiiiiiiiiiiDpT3_.num_agpr, 0
	.set _ZL11k_bin_bcastIXadL_ZL6op_mulffEEfffJPKfS1_S1_S1_S1_S1_S1_S1_EEvPKT0_PKT1_PT2_iii15HIP_vector_typeIjLj3EESB_SB_SB_SB_iiiiiiiiiiiDpT3_.numbered_sgpr, 47
	.set _ZL11k_bin_bcastIXadL_ZL6op_mulffEEfffJPKfS1_S1_S1_S1_S1_S1_S1_EEvPKT0_PKT1_PT2_iii15HIP_vector_typeIjLj3EESB_SB_SB_SB_iiiiiiiiiiiDpT3_.num_named_barrier, 0
	.set _ZL11k_bin_bcastIXadL_ZL6op_mulffEEfffJPKfS1_S1_S1_S1_S1_S1_S1_EEvPKT0_PKT1_PT2_iii15HIP_vector_typeIjLj3EESB_SB_SB_SB_iiiiiiiiiiiDpT3_.private_seg_size, 0
	.set _ZL11k_bin_bcastIXadL_ZL6op_mulffEEfffJPKfS1_S1_S1_S1_S1_S1_S1_EEvPKT0_PKT1_PT2_iii15HIP_vector_typeIjLj3EESB_SB_SB_SB_iiiiiiiiiiiDpT3_.uses_vcc, 1
	.set _ZL11k_bin_bcastIXadL_ZL6op_mulffEEfffJPKfS1_S1_S1_S1_S1_S1_S1_EEvPKT0_PKT1_PT2_iii15HIP_vector_typeIjLj3EESB_SB_SB_SB_iiiiiiiiiiiDpT3_.uses_flat_scratch, 0
	.set _ZL11k_bin_bcastIXadL_ZL6op_mulffEEfffJPKfS1_S1_S1_S1_S1_S1_S1_EEvPKT0_PKT1_PT2_iii15HIP_vector_typeIjLj3EESB_SB_SB_SB_iiiiiiiiiiiDpT3_.has_dyn_sized_stack, 0
	.set _ZL11k_bin_bcastIXadL_ZL6op_mulffEEfffJPKfS1_S1_S1_S1_S1_S1_S1_EEvPKT0_PKT1_PT2_iii15HIP_vector_typeIjLj3EESB_SB_SB_SB_iiiiiiiiiiiDpT3_.has_recursion, 0
	.set _ZL11k_bin_bcastIXadL_ZL6op_mulffEEfffJPKfS1_S1_S1_S1_S1_S1_S1_EEvPKT0_PKT1_PT2_iii15HIP_vector_typeIjLj3EESB_SB_SB_SB_iiiiiiiiiiiDpT3_.has_indirect_call, 0
	.section	.AMDGPU.csdata,"",@progbits
; Kernel info:
; codeLenInByte = 1076
; TotalNumSgprs: 49
; NumVgprs: 22
; ScratchSize: 0
; MemoryBound: 0
; FloatMode: 240
; IeeeMode: 1
; LDSByteSize: 0 bytes/workgroup (compile time only)
; SGPRBlocks: 0
; VGPRBlocks: 1
; NumSGPRsForWavesPerEU: 49
; NumVGPRsForWavesPerEU: 22
; NamedBarCnt: 0
; Occupancy: 16
; WaveLimiterHint : 1
; COMPUTE_PGM_RSRC2:SCRATCH_EN: 0
; COMPUTE_PGM_RSRC2:USER_SGPR: 2
; COMPUTE_PGM_RSRC2:TRAP_HANDLER: 0
; COMPUTE_PGM_RSRC2:TGID_X_EN: 1
; COMPUTE_PGM_RSRC2:TGID_Y_EN: 1
; COMPUTE_PGM_RSRC2:TGID_Z_EN: 1
; COMPUTE_PGM_RSRC2:TIDIG_COMP_CNT: 2
	.section	.text._ZL19k_bin_bcast_unravelIXadL_ZL6op_mulffEE6__halfS0_S0_JPKS0_S2_S2_S2_S2_S2_S2_S2_EEvPKT0_PKT1_PT2_15HIP_vector_typeIjLj3EESC_SC_jSC_SC_SC_SC_SC_SC_iiiiiiiiiiiDpT3_,"axG",@progbits,_ZL19k_bin_bcast_unravelIXadL_ZL6op_mulffEE6__halfS0_S0_JPKS0_S2_S2_S2_S2_S2_S2_S2_EEvPKT0_PKT1_PT2_15HIP_vector_typeIjLj3EESC_SC_jSC_SC_SC_SC_SC_SC_iiiiiiiiiiiDpT3_,comdat
	.globl	_ZL19k_bin_bcast_unravelIXadL_ZL6op_mulffEE6__halfS0_S0_JPKS0_S2_S2_S2_S2_S2_S2_S2_EEvPKT0_PKT1_PT2_15HIP_vector_typeIjLj3EESC_SC_jSC_SC_SC_SC_SC_SC_iiiiiiiiiiiDpT3_ ; -- Begin function _ZL19k_bin_bcast_unravelIXadL_ZL6op_mulffEE6__halfS0_S0_JPKS0_S2_S2_S2_S2_S2_S2_S2_EEvPKT0_PKT1_PT2_15HIP_vector_typeIjLj3EESC_SC_jSC_SC_SC_SC_SC_SC_iiiiiiiiiiiDpT3_
	.p2align	8
	.type	_ZL19k_bin_bcast_unravelIXadL_ZL6op_mulffEE6__halfS0_S0_JPKS0_S2_S2_S2_S2_S2_S2_S2_EEvPKT0_PKT1_PT2_15HIP_vector_typeIjLj3EESC_SC_jSC_SC_SC_SC_SC_SC_iiiiiiiiiiiDpT3_,@function
_ZL19k_bin_bcast_unravelIXadL_ZL6op_mulffEE6__halfS0_S0_JPKS0_S2_S2_S2_S2_S2_S2_S2_EEvPKT0_PKT1_PT2_15HIP_vector_typeIjLj3EESC_SC_jSC_SC_SC_SC_SC_SC_iiiiiiiiiiiDpT3_: ; @_ZL19k_bin_bcast_unravelIXadL_ZL6op_mulffEE6__halfS0_S0_JPKS0_S2_S2_S2_S2_S2_S2_S2_EEvPKT0_PKT1_PT2_15HIP_vector_typeIjLj3EESC_SC_jSC_SC_SC_SC_SC_SC_iiiiiiiiiiiDpT3_
; %bb.0:
	s_load_b32 s2, s[0:1], 0x104
	s_bfe_u32 s3, ttmp6, 0x4000c
	s_load_b256 s[4:11], s[0:1], 0x38
	s_add_co_i32 s3, s3, 1
	s_and_b32 s12, ttmp6, 15
	s_mul_i32 s3, ttmp9, s3
	s_getreg_b32 s13, hwreg(HW_REG_IB_STS2, 6, 4)
	s_add_co_i32 s12, s12, s3
	s_wait_kmcnt 0x0
	s_and_b32 s2, s2, 0xffff
	s_cmp_eq_u32 s13, 0
	s_cselect_b32 s3, ttmp9, s12
	s_delay_alu instid0(SALU_CYCLE_1) | instskip(SKIP_1) | instid1(VALU_DEP_1)
	v_mad_u32 v0, s3, s2, v0
	s_load_b32 s2, s[0:1], 0x2c
	v_mul_hi_u32 v1, v0, s6
	s_delay_alu instid0(VALU_DEP_1) | instskip(NEXT) | instid1(VALU_DEP_1)
	v_add_nc_u32_e32 v1, v0, v1
	v_lshrrev_b32_e32 v1, s7, v1
	s_delay_alu instid0(VALU_DEP_1) | instskip(NEXT) | instid1(VALU_DEP_1)
	v_mul_lo_u32 v2, v1, s8
	v_sub_nc_u32_e32 v0, v0, v2
	s_delay_alu instid0(VALU_DEP_1) | instskip(NEXT) | instid1(VALU_DEP_1)
	v_mul_hi_u32 v2, v0, s9
	v_add_nc_u32_e32 v2, v0, v2
	s_delay_alu instid0(VALU_DEP_1) | instskip(SKIP_1) | instid1(VALU_DEP_1)
	v_lshrrev_b32_e32 v2, s10, v2
	s_load_b96 s[8:10], s[0:1], 0x18
	v_mul_lo_u32 v3, v2, s11
	s_delay_alu instid0(VALU_DEP_1) | instskip(SKIP_3) | instid1(VALU_DEP_3)
	v_sub_nc_u32_e32 v0, v0, v3
	v_cmp_gt_u32_e64 s3, s4, v2
	v_cmp_gt_u32_e64 s4, s5, v1
	s_wait_kmcnt 0x0
	v_mul_hi_u32 v3, v0, s8
	s_delay_alu instid0(VALU_DEP_1) | instskip(NEXT) | instid1(VALU_DEP_1)
	v_add_nc_u32_e32 v3, v0, v3
	v_lshrrev_b32_e32 v4, s9, v3
	s_delay_alu instid0(VALU_DEP_1) | instskip(NEXT) | instid1(VALU_DEP_1)
	v_mul_lo_u32 v3, v4, s10
	v_sub_nc_u32_e32 v0, v0, v3
	v_cmp_gt_u32_e64 s2, s2, v4
	s_delay_alu instid0(VALU_DEP_2) | instskip(SKIP_1) | instid1(SALU_CYCLE_1)
	v_cmp_gt_u32_e32 vcc_lo, s10, v0
	s_and_b32 s2, vcc_lo, s2
	s_and_b32 s2, s2, s3
	s_delay_alu instid0(SALU_CYCLE_1) | instskip(NEXT) | instid1(SALU_CYCLE_1)
	s_and_b32 s2, s4, s2
	s_and_saveexec_b32 s3, s2
	s_cbranch_execz .LBB146_4
; %bb.1:
	s_clause 0x4
	s_load_b64 s[2:3], s[0:1], 0x0
	s_load_b96 s[16:18], s[0:1], 0xa8
	s_load_b256 s[20:27], s[0:1], 0x88
	s_load_b128 s[12:15], s[0:1], 0x78
	s_load_b256 s[4:11], s[0:1], 0x58
	v_dual_mov_b32 v3, 0 :: v_dual_mov_b32 v5, 0
	s_wait_kmcnt 0x0
	s_cmp_eq_u64 s[2:3], 0
	s_cbranch_scc1 .LBB146_3
; %bb.2:
	v_mul_lo_u32 v5, v1, s26
	v_mov_b32_e32 v7, 0
	s_delay_alu instid0(VALU_DEP_2) | instskip(NEXT) | instid1(VALU_DEP_1)
	v_mad_u32 v5, v2, s25, v5
	v_mad_u32 v6, v4, s24, v5
	s_delay_alu instid0(VALU_DEP_1) | instskip(SKIP_1) | instid1(VALU_DEP_1)
	v_lshl_add_u64 v[8:9], v[6:7], 1, s[2:3]
	v_mul_lo_u32 v6, v0, s23
	v_lshl_add_u64 v[6:7], v[6:7], 1, v[8:9]
	global_load_u16 v5, v[6:7], off
	s_wait_loadcnt 0x0
	v_cvt_f32_f16_e32 v5, v5
.LBB146_3:
	v_mul_hi_u32 v6, s13, v1
	v_mul_hi_u32 v7, s10, v2
	;; [unrolled: 1-line block ×4, first 2 shown]
	s_delay_alu instid0(VALU_DEP_3) | instskip(NEXT) | instid1(VALU_DEP_1)
	v_dual_add_nc_u32 v6, v1, v6 :: v_dual_add_nc_u32 v7, v2, v7
	v_dual_lshrrev_b32 v6, s14, v6 :: v_dual_lshrrev_b32 v7, s11, v7
	s_delay_alu instid0(VALU_DEP_1) | instskip(SKIP_1) | instid1(VALU_DEP_3)
	v_mul_lo_u32 v6, v6, s15
	v_add_nc_u32_e32 v8, v4, v8
	v_mul_lo_u32 v7, v7, s12
	s_delay_alu instid0(VALU_DEP_3) | instskip(NEXT) | instid1(VALU_DEP_3)
	v_dual_sub_nc_u32 v6, v1, v6 :: v_dual_add_nc_u32 v9, v0, v9
	v_lshrrev_b32_e32 v8, s8, v8
	v_mul_lo_u32 v1, v1, s22
	s_delay_alu instid0(VALU_DEP_4) | instskip(NEXT) | instid1(VALU_DEP_4)
	v_sub_nc_u32_e32 v7, v2, v7
	v_mul_lo_u32 v6, v6, s18
	v_lshrrev_b32_e32 v9, s5, v9
	v_mul_lo_u32 v8, v8, s9
	s_delay_alu instid0(VALU_DEP_2) | instskip(SKIP_2) | instid1(VALU_DEP_4)
	v_mul_lo_u32 v9, v9, s6
	v_mad_u32 v1, v2, s21, v1
	v_mad_u32 v7, v7, s17, v6
	v_sub_nc_u32_e32 v8, v4, v8
	s_delay_alu instid0(VALU_DEP_1) | instskip(SKIP_2) | instid1(VALU_DEP_2)
	v_mad_u32 v8, v8, s16, v7
	v_sub_nc_u32_e32 v6, v0, v9
	s_load_b512 s[4:19], s[0:1], 0xb8
	v_ashrrev_i32_e32 v9, 31, v8
	s_delay_alu instid0(VALU_DEP_2) | instskip(SKIP_2) | instid1(VALU_DEP_1)
	v_mul_lo_u32 v6, v6, s27
	s_wait_xcnt 0x0
	s_load_b64 s[0:1], s[0:1], 0x10
	v_ashrrev_i32_e32 v7, 31, v6
	s_delay_alu instid0(VALU_DEP_1) | instskip(NEXT) | instid1(VALU_DEP_1)
	v_add_nc_u64_e32 v[6:7], v[6:7], v[8:9]
	v_lshlrev_b64_e32 v[6:7], 1, v[6:7]
	s_wait_kmcnt 0x0
	s_delay_alu instid0(VALU_DEP_1)
	v_add_nc_u64_e32 v[8:9], s[4:5], v[6:7]
	v_add_nc_u64_e32 v[10:11], s[6:7], v[6:7]
	global_load_u16 v12, v[8:9], off
	s_wait_xcnt 0x0
	v_add_nc_u64_e32 v[8:9], s[8:9], v[6:7]
	global_load_u16 v13, v[10:11], off
	s_wait_xcnt 0x0
	;; [unrolled: 3-line block ×5, first 2 shown]
	v_add_nc_u64_e32 v[8:9], s[16:17], v[6:7]
	v_add_nc_u64_e32 v[6:7], s[18:19], v[6:7]
	global_load_u16 v17, v[10:11], off
	global_load_u16 v18, v[8:9], off
	;; [unrolled: 1-line block ×3, first 2 shown]
	s_wait_loadcnt 0x7
	s_wait_xcnt 0x0
	v_cvt_f32_f16_e32 v7, v12
	s_wait_loadcnt 0x6
	v_cvt_f32_f16_e32 v8, v13
	s_delay_alu instid0(VALU_DEP_2) | instskip(SKIP_2) | instid1(VALU_DEP_2)
	v_mul_f32_e32 v5, v5, v7
	s_wait_loadcnt 0x5
	v_cvt_f32_f16_e32 v7, v14
	v_mul_f32_e32 v5, v5, v8
	s_wait_loadcnt 0x4
	v_cvt_f32_f16_e32 v2, v15
	s_delay_alu instid0(VALU_DEP_2) | instskip(SKIP_2) | instid1(VALU_DEP_2)
	v_mul_f32_e32 v5, v5, v7
	s_wait_loadcnt 0x3
	v_cvt_f32_f16_e32 v7, v16
	v_mul_f32_e32 v5, v5, v2
	v_mad_u32 v2, v4, s20, v1
	s_wait_loadcnt 0x2
	v_cvt_f32_f16_e32 v1, v17
	s_delay_alu instid0(VALU_DEP_3) | instskip(SKIP_2) | instid1(VALU_DEP_2)
	v_mul_f32_e32 v4, v5, v7
	s_wait_loadcnt 0x1
	v_cvt_f32_f16_e32 v5, v18
	v_dual_mul_f32 v4, v4, v1 :: v_dual_mov_b32 v1, v3
	v_lshl_add_u64 v[2:3], v[2:3], 1, s[0:1]
	s_delay_alu instid0(VALU_DEP_2) | instskip(NEXT) | instid1(VALU_DEP_2)
	v_mul_f32_e32 v4, v4, v5
	v_lshl_add_u64 v[0:1], v[0:1], 1, v[2:3]
	s_wait_loadcnt 0x0
	s_delay_alu instid0(VALU_DEP_2)
	v_fma_mixlo_f16 v4, v4, v6, 0 op_sel_hi:[0,1,0]
	global_store_b16 v[0:1], v4, off
.LBB146_4:
	s_endpgm
	.section	.rodata,"a",@progbits
	.p2align	6, 0x0
	.amdhsa_kernel _ZL19k_bin_bcast_unravelIXadL_ZL6op_mulffEE6__halfS0_S0_JPKS0_S2_S2_S2_S2_S2_S2_S2_EEvPKT0_PKT1_PT2_15HIP_vector_typeIjLj3EESC_SC_jSC_SC_SC_SC_SC_SC_iiiiiiiiiiiDpT3_
		.amdhsa_group_segment_fixed_size 0
		.amdhsa_private_segment_fixed_size 0
		.amdhsa_kernarg_size 504
		.amdhsa_user_sgpr_count 2
		.amdhsa_user_sgpr_dispatch_ptr 0
		.amdhsa_user_sgpr_queue_ptr 0
		.amdhsa_user_sgpr_kernarg_segment_ptr 1
		.amdhsa_user_sgpr_dispatch_id 0
		.amdhsa_user_sgpr_kernarg_preload_length 0
		.amdhsa_user_sgpr_kernarg_preload_offset 0
		.amdhsa_user_sgpr_private_segment_size 0
		.amdhsa_wavefront_size32 1
		.amdhsa_uses_dynamic_stack 0
		.amdhsa_enable_private_segment 0
		.amdhsa_system_sgpr_workgroup_id_x 1
		.amdhsa_system_sgpr_workgroup_id_y 0
		.amdhsa_system_sgpr_workgroup_id_z 0
		.amdhsa_system_sgpr_workgroup_info 0
		.amdhsa_system_vgpr_workitem_id 0
		.amdhsa_next_free_vgpr 19
		.amdhsa_next_free_sgpr 28
		.amdhsa_named_barrier_count 0
		.amdhsa_reserve_vcc 1
		.amdhsa_float_round_mode_32 0
		.amdhsa_float_round_mode_16_64 0
		.amdhsa_float_denorm_mode_32 3
		.amdhsa_float_denorm_mode_16_64 3
		.amdhsa_fp16_overflow 0
		.amdhsa_memory_ordered 1
		.amdhsa_forward_progress 1
		.amdhsa_inst_pref_size 8
		.amdhsa_round_robin_scheduling 0
		.amdhsa_exception_fp_ieee_invalid_op 0
		.amdhsa_exception_fp_denorm_src 0
		.amdhsa_exception_fp_ieee_div_zero 0
		.amdhsa_exception_fp_ieee_overflow 0
		.amdhsa_exception_fp_ieee_underflow 0
		.amdhsa_exception_fp_ieee_inexact 0
		.amdhsa_exception_int_div_zero 0
	.end_amdhsa_kernel
	.section	.text._ZL19k_bin_bcast_unravelIXadL_ZL6op_mulffEE6__halfS0_S0_JPKS0_S2_S2_S2_S2_S2_S2_S2_EEvPKT0_PKT1_PT2_15HIP_vector_typeIjLj3EESC_SC_jSC_SC_SC_SC_SC_SC_iiiiiiiiiiiDpT3_,"axG",@progbits,_ZL19k_bin_bcast_unravelIXadL_ZL6op_mulffEE6__halfS0_S0_JPKS0_S2_S2_S2_S2_S2_S2_S2_EEvPKT0_PKT1_PT2_15HIP_vector_typeIjLj3EESC_SC_jSC_SC_SC_SC_SC_SC_iiiiiiiiiiiDpT3_,comdat
.Lfunc_end146:
	.size	_ZL19k_bin_bcast_unravelIXadL_ZL6op_mulffEE6__halfS0_S0_JPKS0_S2_S2_S2_S2_S2_S2_S2_EEvPKT0_PKT1_PT2_15HIP_vector_typeIjLj3EESC_SC_jSC_SC_SC_SC_SC_SC_iiiiiiiiiiiDpT3_, .Lfunc_end146-_ZL19k_bin_bcast_unravelIXadL_ZL6op_mulffEE6__halfS0_S0_JPKS0_S2_S2_S2_S2_S2_S2_S2_EEvPKT0_PKT1_PT2_15HIP_vector_typeIjLj3EESC_SC_jSC_SC_SC_SC_SC_SC_iiiiiiiiiiiDpT3_
                                        ; -- End function
	.set _ZL19k_bin_bcast_unravelIXadL_ZL6op_mulffEE6__halfS0_S0_JPKS0_S2_S2_S2_S2_S2_S2_S2_EEvPKT0_PKT1_PT2_15HIP_vector_typeIjLj3EESC_SC_jSC_SC_SC_SC_SC_SC_iiiiiiiiiiiDpT3_.num_vgpr, 19
	.set _ZL19k_bin_bcast_unravelIXadL_ZL6op_mulffEE6__halfS0_S0_JPKS0_S2_S2_S2_S2_S2_S2_S2_EEvPKT0_PKT1_PT2_15HIP_vector_typeIjLj3EESC_SC_jSC_SC_SC_SC_SC_SC_iiiiiiiiiiiDpT3_.num_agpr, 0
	.set _ZL19k_bin_bcast_unravelIXadL_ZL6op_mulffEE6__halfS0_S0_JPKS0_S2_S2_S2_S2_S2_S2_S2_EEvPKT0_PKT1_PT2_15HIP_vector_typeIjLj3EESC_SC_jSC_SC_SC_SC_SC_SC_iiiiiiiiiiiDpT3_.numbered_sgpr, 28
	.set _ZL19k_bin_bcast_unravelIXadL_ZL6op_mulffEE6__halfS0_S0_JPKS0_S2_S2_S2_S2_S2_S2_S2_EEvPKT0_PKT1_PT2_15HIP_vector_typeIjLj3EESC_SC_jSC_SC_SC_SC_SC_SC_iiiiiiiiiiiDpT3_.num_named_barrier, 0
	.set _ZL19k_bin_bcast_unravelIXadL_ZL6op_mulffEE6__halfS0_S0_JPKS0_S2_S2_S2_S2_S2_S2_S2_EEvPKT0_PKT1_PT2_15HIP_vector_typeIjLj3EESC_SC_jSC_SC_SC_SC_SC_SC_iiiiiiiiiiiDpT3_.private_seg_size, 0
	.set _ZL19k_bin_bcast_unravelIXadL_ZL6op_mulffEE6__halfS0_S0_JPKS0_S2_S2_S2_S2_S2_S2_S2_EEvPKT0_PKT1_PT2_15HIP_vector_typeIjLj3EESC_SC_jSC_SC_SC_SC_SC_SC_iiiiiiiiiiiDpT3_.uses_vcc, 1
	.set _ZL19k_bin_bcast_unravelIXadL_ZL6op_mulffEE6__halfS0_S0_JPKS0_S2_S2_S2_S2_S2_S2_S2_EEvPKT0_PKT1_PT2_15HIP_vector_typeIjLj3EESC_SC_jSC_SC_SC_SC_SC_SC_iiiiiiiiiiiDpT3_.uses_flat_scratch, 0
	.set _ZL19k_bin_bcast_unravelIXadL_ZL6op_mulffEE6__halfS0_S0_JPKS0_S2_S2_S2_S2_S2_S2_S2_EEvPKT0_PKT1_PT2_15HIP_vector_typeIjLj3EESC_SC_jSC_SC_SC_SC_SC_SC_iiiiiiiiiiiDpT3_.has_dyn_sized_stack, 0
	.set _ZL19k_bin_bcast_unravelIXadL_ZL6op_mulffEE6__halfS0_S0_JPKS0_S2_S2_S2_S2_S2_S2_S2_EEvPKT0_PKT1_PT2_15HIP_vector_typeIjLj3EESC_SC_jSC_SC_SC_SC_SC_SC_iiiiiiiiiiiDpT3_.has_recursion, 0
	.set _ZL19k_bin_bcast_unravelIXadL_ZL6op_mulffEE6__halfS0_S0_JPKS0_S2_S2_S2_S2_S2_S2_S2_EEvPKT0_PKT1_PT2_15HIP_vector_typeIjLj3EESC_SC_jSC_SC_SC_SC_SC_SC_iiiiiiiiiiiDpT3_.has_indirect_call, 0
	.section	.AMDGPU.csdata,"",@progbits
; Kernel info:
; codeLenInByte = 972
; TotalNumSgprs: 30
; NumVgprs: 19
; ScratchSize: 0
; MemoryBound: 0
; FloatMode: 240
; IeeeMode: 1
; LDSByteSize: 0 bytes/workgroup (compile time only)
; SGPRBlocks: 0
; VGPRBlocks: 1
; NumSGPRsForWavesPerEU: 30
; NumVGPRsForWavesPerEU: 19
; NamedBarCnt: 0
; Occupancy: 16
; WaveLimiterHint : 1
; COMPUTE_PGM_RSRC2:SCRATCH_EN: 0
; COMPUTE_PGM_RSRC2:USER_SGPR: 2
; COMPUTE_PGM_RSRC2:TRAP_HANDLER: 0
; COMPUTE_PGM_RSRC2:TGID_X_EN: 1
; COMPUTE_PGM_RSRC2:TGID_Y_EN: 0
; COMPUTE_PGM_RSRC2:TGID_Z_EN: 0
; COMPUTE_PGM_RSRC2:TIDIG_COMP_CNT: 0
	.section	.text._ZL11k_bin_bcastIXadL_ZL6op_mulffEE6__halfS0_S0_JPKS0_S2_S2_S2_S2_S2_S2_S2_EEvPKT0_PKT1_PT2_iii15HIP_vector_typeIjLj3EESC_SC_SC_SC_iiiiiiiiiiiDpT3_,"axG",@progbits,_ZL11k_bin_bcastIXadL_ZL6op_mulffEE6__halfS0_S0_JPKS0_S2_S2_S2_S2_S2_S2_S2_EEvPKT0_PKT1_PT2_iii15HIP_vector_typeIjLj3EESC_SC_SC_SC_iiiiiiiiiiiDpT3_,comdat
	.globl	_ZL11k_bin_bcastIXadL_ZL6op_mulffEE6__halfS0_S0_JPKS0_S2_S2_S2_S2_S2_S2_S2_EEvPKT0_PKT1_PT2_iii15HIP_vector_typeIjLj3EESC_SC_SC_SC_iiiiiiiiiiiDpT3_ ; -- Begin function _ZL11k_bin_bcastIXadL_ZL6op_mulffEE6__halfS0_S0_JPKS0_S2_S2_S2_S2_S2_S2_S2_EEvPKT0_PKT1_PT2_iii15HIP_vector_typeIjLj3EESC_SC_SC_SC_iiiiiiiiiiiDpT3_
	.p2align	8
	.type	_ZL11k_bin_bcastIXadL_ZL6op_mulffEE6__halfS0_S0_JPKS0_S2_S2_S2_S2_S2_S2_S2_EEvPKT0_PKT1_PT2_iii15HIP_vector_typeIjLj3EESC_SC_SC_SC_iiiiiiiiiiiDpT3_,@function
_ZL11k_bin_bcastIXadL_ZL6op_mulffEE6__halfS0_S0_JPKS0_S2_S2_S2_S2_S2_S2_S2_EEvPKT0_PKT1_PT2_iii15HIP_vector_typeIjLj3EESC_SC_SC_SC_iiiiiiiiiiiDpT3_: ; @_ZL11k_bin_bcastIXadL_ZL6op_mulffEE6__halfS0_S0_JPKS0_S2_S2_S2_S2_S2_S2_S2_EEvPKT0_PKT1_PT2_iii15HIP_vector_typeIjLj3EESC_SC_SC_SC_iiiiiiiiiiiDpT3_
; %bb.0:
	s_load_b64 s[2:3], s[0:1], 0xdc
	s_bfe_u32 s5, ttmp6, 0x40014
	s_bfe_u32 s8, ttmp6, 0x40010
	;; [unrolled: 1-line block ×3, first 2 shown]
	s_lshr_b32 s4, ttmp7, 16
	s_add_co_i32 s5, s5, 1
	s_and_b32 s7, ttmp7, 0xffff
	s_load_b256 s[20:27], s[0:1], 0x18
	s_add_co_i32 s8, s8, 1
	s_add_co_i32 s11, s11, 1
	s_bfe_u32 s6, ttmp6, 0x40008
	s_mul_i32 s5, s4, s5
	s_bfe_u32 s9, ttmp6, 0x40004
	s_and_b32 s10, ttmp6, 15
	s_mul_i32 s8, s7, s8
	s_mul_i32 s11, ttmp9, s11
	s_add_co_i32 s6, s6, s5
	s_add_co_i32 s9, s9, s8
	;; [unrolled: 1-line block ×3, first 2 shown]
	v_bfe_u32 v1, v0, 20, 10
	s_wait_kmcnt 0x0
	s_lshr_b32 s5, s2, 16
	s_and_b32 s28, s2, 0xffff
	s_getreg_b32 s2, hwreg(HW_REG_IB_STS2, 6, 4)
	s_and_b32 s3, s3, 0xffff
	s_cmp_eq_u32 s2, 0
	v_and_b32_e32 v2, 0x3ff, v0
	s_cselect_b32 s2, s4, s6
	v_bfe_u32 v4, v0, 10, 10
	v_mad_u32 v3, s2, s3, v1
	s_cselect_b32 s2, ttmp9, s10
	s_cselect_b32 s3, s7, s9
	v_mad_u32 v0, s2, s28, v2
	v_mad_u32 v2, s3, s5, v4
	s_delay_alu instid0(VALU_DEP_3) | instskip(NEXT) | instid1(VALU_DEP_3)
	v_mul_hi_u32 v1, v3, s23
	v_cmp_gt_u32_e32 vcc_lo, s20, v0
	s_delay_alu instid0(VALU_DEP_3) | instskip(SKIP_2) | instid1(VALU_DEP_1)
	v_cmp_gt_u32_e64 s2, s21, v2
	s_and_b32 s2, vcc_lo, s2
	v_add_nc_u32_e32 v1, v3, v1
	v_lshrrev_b32_e32 v1, s24, v1
	s_delay_alu instid0(VALU_DEP_1) | instskip(SKIP_3) | instid1(VALU_DEP_1)
	v_mul_lo_u32 v5, v1, s25
	v_cmp_gt_u32_e64 s3, s22, v1
	s_and_b32 s2, s2, s3
	v_sub_nc_u32_e32 v3, v3, v5
	v_cmp_gt_u32_e64 s4, s25, v3
	s_and_b32 s2, s2, s4
	s_delay_alu instid0(SALU_CYCLE_1)
	s_and_saveexec_b32 s3, s2
	s_cbranch_execz .LBB147_6
; %bb.1:
	v_cmp_gt_i32_e32 vcc_lo, s20, v0
	s_and_b32 exec_lo, exec_lo, vcc_lo
	s_cbranch_execz .LBB147_6
; %bb.2:
	s_clause 0x4
	s_load_b256 s[4:11], s[0:1], 0x3c
	s_load_b32 s2, s[0:1], 0x5c
	s_load_b256 s[36:43], s[0:1], 0x60
	s_load_b96 s[44:46], s[0:1], 0x80
	s_load_b64 s[22:23], s[0:1], 0x10
	s_wait_kmcnt 0x0
	v_mul_hi_u32 v4, s10, v3
	v_mul_hi_u32 v5, s7, v1
	;; [unrolled: 1-line block ×3, first 2 shown]
	v_mul_lo_u32 v7, v2, s40
	v_mul_lo_u32 v8, v2, s36
	s_delay_alu instid0(VALU_DEP_4) | instskip(NEXT) | instid1(VALU_DEP_3)
	v_dual_add_nc_u32 v4, v3, v4 :: v_dual_add_nc_u32 v5, v1, v5
	v_mad_u32 v7, v1, s41, v7
	s_delay_alu instid0(VALU_DEP_3) | instskip(NEXT) | instid1(VALU_DEP_3)
	v_mad_u32 v8, v1, s37, v8
	v_dual_lshrrev_b32 v4, s11, v4 :: v_dual_lshrrev_b32 v5, s8, v5
	s_delay_alu instid0(VALU_DEP_1) | instskip(SKIP_1) | instid1(VALU_DEP_3)
	v_mul_lo_u32 v4, v4, s2
	v_add_nc_u32_e32 v6, v2, v6
	v_mul_lo_u32 v5, v5, s9
	s_load_b64 s[2:3], s[0:1], 0x0
	v_mad_u32 v8, v3, s38, v8
	s_delay_alu instid0(VALU_DEP_3) | instskip(NEXT) | instid1(VALU_DEP_3)
	v_dual_sub_nc_u32 v4, v3, v4 :: v_dual_lshrrev_b32 v6, s5, v6
	v_sub_nc_u32_e32 v5, v1, v5
	s_add_nc_u64 s[4:5], s[0:1], 0xd0
	s_load_b32 s21, s[4:5], 0x0
	s_load_b32 s24, s[0:1], 0x38
	v_mul_lo_u32 v9, v4, s46
	v_mul_lo_u32 v6, v6, s6
	v_mad_u32 v4, v3, s42, v7
	s_wait_xcnt 0x0
	s_load_b512 s[4:19], s[0:1], 0x90
	v_mov_b32_e32 v1, 0
	s_wait_xcnt 0x0
	s_mov_b32 s1, 0
	s_wait_kmcnt 0x0
	s_cmp_lg_u64 s[2:3], 0
	s_mov_b32 s0, s26
	v_mad_u32 v7, v5, s45, v9
	v_sub_nc_u32_e32 v2, v2, v6
	v_mul_lo_u32 v6, s39, v0
	v_dual_mov_b32 v5, v1 :: v_dual_mov_b32 v9, v1
	v_mov_b32_e32 v3, v1
	s_delay_alu instid0(VALU_DEP_2) | instskip(NEXT) | instid1(VALU_DEP_3)
	v_lshl_add_u64 v[4:5], v[4:5], 1, s[2:3]
	v_lshl_add_u64 v[8:9], v[8:9], 1, s[22:23]
	s_mul_i32 s2, s21, s28
	v_mad_u32 v2, v2, s44, v7
	s_cselect_b32 s3, -1, 0
	s_mul_i32 s21, s2, s39
	s_sub_co_i32 s22, 0, s24
	s_mov_b32 s23, s1
	s_branch .LBB147_4
.LBB147_3:                              ;   in Loop: Header=BB147_4 Depth=1
	s_wait_xcnt 0x0
	v_mul_u64_e32 v[10:11], s[0:1], v[0:1]
	s_delay_alu instid0(VALU_DEP_1) | instskip(NEXT) | instid1(VALU_DEP_1)
	v_dual_add_nc_u32 v6, s21, v6 :: v_dual_add_nc_u32 v10, v0, v11
	v_dual_mov_b32 v11, v1 :: v_dual_lshrrev_b32 v10, s27, v10
	s_delay_alu instid0(VALU_DEP_1) | instskip(NEXT) | instid1(VALU_DEP_1)
	v_mad_u32 v10, s22, v10, v0
	v_mul_lo_u32 v10, v10, s43
	s_delay_alu instid0(VALU_DEP_1) | instskip(NEXT) | instid1(VALU_DEP_1)
	v_add_nc_u64_e32 v[10:11], v[10:11], v[2:3]
	v_lshlrev_b64_e32 v[10:11], 1, v[10:11]
	s_delay_alu instid0(VALU_DEP_1)
	v_add_nc_u64_e32 v[12:13], s[4:5], v[10:11]
	v_add_nc_u64_e32 v[14:15], s[6:7], v[10:11]
	global_load_u16 v16, v[12:13], off
	s_wait_xcnt 0x0
	v_add_nc_u64_e32 v[12:13], s[8:9], v[10:11]
	global_load_u16 v17, v[14:15], off
	s_wait_xcnt 0x0
	;; [unrolled: 3-line block ×5, first 2 shown]
	v_add_nc_u64_e32 v[12:13], s[16:17], v[10:11]
	global_load_u16 v21, v[14:15], off
	global_load_u16 v22, v[12:13], off
	v_add_nc_u64_e32 v[10:11], s[18:19], v[10:11]
	global_load_u16 v12, v[10:11], off
	s_wait_loadcnt 0x7
	s_wait_xcnt 0x0
	v_cvt_f32_f16_e32 v10, v16
	s_wait_loadcnt 0x6
	v_cvt_f32_f16_e32 v11, v17
	s_delay_alu instid0(VALU_DEP_2) | instskip(SKIP_2) | instid1(VALU_DEP_2)
	v_mul_f32_e32 v7, v7, v10
	s_wait_loadcnt 0x5
	v_cvt_f32_f16_e32 v10, v18
	v_mul_f32_e32 v7, v7, v11
	s_wait_loadcnt 0x4
	v_cvt_f32_f16_e32 v11, v19
	s_delay_alu instid0(VALU_DEP_2) | instskip(SKIP_2) | instid1(VALU_DEP_2)
	v_mul_f32_e32 v7, v7, v10
	s_wait_loadcnt 0x3
	v_cvt_f32_f16_e32 v10, v20
	v_mul_f32_e32 v7, v7, v11
	s_wait_loadcnt 0x2
	v_cvt_f32_f16_e32 v11, v21
	s_wait_loadcnt 0x1
	v_cvt_f32_f16_e32 v13, v22
	v_dual_mul_f32 v7, v7, v10 :: v_dual_mov_b32 v10, v0
	s_delay_alu instid0(VALU_DEP_1) | instskip(NEXT) | instid1(VALU_DEP_1)
	v_dual_mul_f32 v7, v7, v11 :: v_dual_ashrrev_i32 v11, 31, v0
	v_dual_mul_f32 v7, v7, v13 :: v_dual_add_nc_u32 v0, s2, v0
	s_delay_alu instid0(VALU_DEP_2) | instskip(NEXT) | instid1(VALU_DEP_2)
	v_lshl_add_u64 v[10:11], v[10:11], 1, v[8:9]
	v_cmp_le_i32_e32 vcc_lo, s20, v0
	s_wait_loadcnt 0x0
	s_delay_alu instid0(VALU_DEP_3)
	v_fma_mixlo_f16 v7, v7, v12, 0 op_sel_hi:[0,1,0]
	s_or_b32 s23, vcc_lo, s23
	global_store_b16 v[10:11], v7, off
	s_wait_xcnt 0x0
	s_and_not1_b32 exec_lo, exec_lo, s23
	s_cbranch_execz .LBB147_6
.LBB147_4:                              ; =>This Inner Loop Header: Depth=1
	v_mov_b32_e32 v7, 0
	s_and_not1_b32 vcc_lo, exec_lo, s3
	s_cbranch_vccnz .LBB147_3
; %bb.5:                                ;   in Loop: Header=BB147_4 Depth=1
	v_ashrrev_i32_e32 v7, 31, v6
	s_delay_alu instid0(VALU_DEP_1)
	v_lshl_add_u64 v[10:11], v[6:7], 1, v[4:5]
	global_load_u16 v7, v[10:11], off
	s_wait_loadcnt 0x0
	v_cvt_f32_f16_e32 v7, v7
	s_branch .LBB147_3
.LBB147_6:
	s_endpgm
	.section	.rodata,"a",@progbits
	.p2align	6, 0x0
	.amdhsa_kernel _ZL11k_bin_bcastIXadL_ZL6op_mulffEE6__halfS0_S0_JPKS0_S2_S2_S2_S2_S2_S2_S2_EEvPKT0_PKT1_PT2_iii15HIP_vector_typeIjLj3EESC_SC_SC_SC_iiiiiiiiiiiDpT3_
		.amdhsa_group_segment_fixed_size 0
		.amdhsa_private_segment_fixed_size 0
		.amdhsa_kernarg_size 464
		.amdhsa_user_sgpr_count 2
		.amdhsa_user_sgpr_dispatch_ptr 0
		.amdhsa_user_sgpr_queue_ptr 0
		.amdhsa_user_sgpr_kernarg_segment_ptr 1
		.amdhsa_user_sgpr_dispatch_id 0
		.amdhsa_user_sgpr_kernarg_preload_length 0
		.amdhsa_user_sgpr_kernarg_preload_offset 0
		.amdhsa_user_sgpr_private_segment_size 0
		.amdhsa_wavefront_size32 1
		.amdhsa_uses_dynamic_stack 0
		.amdhsa_enable_private_segment 0
		.amdhsa_system_sgpr_workgroup_id_x 1
		.amdhsa_system_sgpr_workgroup_id_y 1
		.amdhsa_system_sgpr_workgroup_id_z 1
		.amdhsa_system_sgpr_workgroup_info 0
		.amdhsa_system_vgpr_workitem_id 2
		.amdhsa_next_free_vgpr 23
		.amdhsa_next_free_sgpr 47
		.amdhsa_named_barrier_count 0
		.amdhsa_reserve_vcc 1
		.amdhsa_float_round_mode_32 0
		.amdhsa_float_round_mode_16_64 0
		.amdhsa_float_denorm_mode_32 3
		.amdhsa_float_denorm_mode_16_64 3
		.amdhsa_fp16_overflow 0
		.amdhsa_memory_ordered 1
		.amdhsa_forward_progress 1
		.amdhsa_inst_pref_size 9
		.amdhsa_round_robin_scheduling 0
		.amdhsa_exception_fp_ieee_invalid_op 0
		.amdhsa_exception_fp_denorm_src 0
		.amdhsa_exception_fp_ieee_div_zero 0
		.amdhsa_exception_fp_ieee_overflow 0
		.amdhsa_exception_fp_ieee_underflow 0
		.amdhsa_exception_fp_ieee_inexact 0
		.amdhsa_exception_int_div_zero 0
	.end_amdhsa_kernel
	.section	.text._ZL11k_bin_bcastIXadL_ZL6op_mulffEE6__halfS0_S0_JPKS0_S2_S2_S2_S2_S2_S2_S2_EEvPKT0_PKT1_PT2_iii15HIP_vector_typeIjLj3EESC_SC_SC_SC_iiiiiiiiiiiDpT3_,"axG",@progbits,_ZL11k_bin_bcastIXadL_ZL6op_mulffEE6__halfS0_S0_JPKS0_S2_S2_S2_S2_S2_S2_S2_EEvPKT0_PKT1_PT2_iii15HIP_vector_typeIjLj3EESC_SC_SC_SC_iiiiiiiiiiiDpT3_,comdat
.Lfunc_end147:
	.size	_ZL11k_bin_bcastIXadL_ZL6op_mulffEE6__halfS0_S0_JPKS0_S2_S2_S2_S2_S2_S2_S2_EEvPKT0_PKT1_PT2_iii15HIP_vector_typeIjLj3EESC_SC_SC_SC_iiiiiiiiiiiDpT3_, .Lfunc_end147-_ZL11k_bin_bcastIXadL_ZL6op_mulffEE6__halfS0_S0_JPKS0_S2_S2_S2_S2_S2_S2_S2_EEvPKT0_PKT1_PT2_iii15HIP_vector_typeIjLj3EESC_SC_SC_SC_iiiiiiiiiiiDpT3_
                                        ; -- End function
	.set _ZL11k_bin_bcastIXadL_ZL6op_mulffEE6__halfS0_S0_JPKS0_S2_S2_S2_S2_S2_S2_S2_EEvPKT0_PKT1_PT2_iii15HIP_vector_typeIjLj3EESC_SC_SC_SC_iiiiiiiiiiiDpT3_.num_vgpr, 23
	.set _ZL11k_bin_bcastIXadL_ZL6op_mulffEE6__halfS0_S0_JPKS0_S2_S2_S2_S2_S2_S2_S2_EEvPKT0_PKT1_PT2_iii15HIP_vector_typeIjLj3EESC_SC_SC_SC_iiiiiiiiiiiDpT3_.num_agpr, 0
	.set _ZL11k_bin_bcastIXadL_ZL6op_mulffEE6__halfS0_S0_JPKS0_S2_S2_S2_S2_S2_S2_S2_EEvPKT0_PKT1_PT2_iii15HIP_vector_typeIjLj3EESC_SC_SC_SC_iiiiiiiiiiiDpT3_.numbered_sgpr, 47
	.set _ZL11k_bin_bcastIXadL_ZL6op_mulffEE6__halfS0_S0_JPKS0_S2_S2_S2_S2_S2_S2_S2_EEvPKT0_PKT1_PT2_iii15HIP_vector_typeIjLj3EESC_SC_SC_SC_iiiiiiiiiiiDpT3_.num_named_barrier, 0
	.set _ZL11k_bin_bcastIXadL_ZL6op_mulffEE6__halfS0_S0_JPKS0_S2_S2_S2_S2_S2_S2_S2_EEvPKT0_PKT1_PT2_iii15HIP_vector_typeIjLj3EESC_SC_SC_SC_iiiiiiiiiiiDpT3_.private_seg_size, 0
	.set _ZL11k_bin_bcastIXadL_ZL6op_mulffEE6__halfS0_S0_JPKS0_S2_S2_S2_S2_S2_S2_S2_EEvPKT0_PKT1_PT2_iii15HIP_vector_typeIjLj3EESC_SC_SC_SC_iiiiiiiiiiiDpT3_.uses_vcc, 1
	.set _ZL11k_bin_bcastIXadL_ZL6op_mulffEE6__halfS0_S0_JPKS0_S2_S2_S2_S2_S2_S2_S2_EEvPKT0_PKT1_PT2_iii15HIP_vector_typeIjLj3EESC_SC_SC_SC_iiiiiiiiiiiDpT3_.uses_flat_scratch, 0
	.set _ZL11k_bin_bcastIXadL_ZL6op_mulffEE6__halfS0_S0_JPKS0_S2_S2_S2_S2_S2_S2_S2_EEvPKT0_PKT1_PT2_iii15HIP_vector_typeIjLj3EESC_SC_SC_SC_iiiiiiiiiiiDpT3_.has_dyn_sized_stack, 0
	.set _ZL11k_bin_bcastIXadL_ZL6op_mulffEE6__halfS0_S0_JPKS0_S2_S2_S2_S2_S2_S2_S2_EEvPKT0_PKT1_PT2_iii15HIP_vector_typeIjLj3EESC_SC_SC_SC_iiiiiiiiiiiDpT3_.has_recursion, 0
	.set _ZL11k_bin_bcastIXadL_ZL6op_mulffEE6__halfS0_S0_JPKS0_S2_S2_S2_S2_S2_S2_S2_EEvPKT0_PKT1_PT2_iii15HIP_vector_typeIjLj3EESC_SC_SC_SC_iiiiiiiiiiiDpT3_.has_indirect_call, 0
	.section	.AMDGPU.csdata,"",@progbits
; Kernel info:
; codeLenInByte = 1120
; TotalNumSgprs: 49
; NumVgprs: 23
; ScratchSize: 0
; MemoryBound: 0
; FloatMode: 240
; IeeeMode: 1
; LDSByteSize: 0 bytes/workgroup (compile time only)
; SGPRBlocks: 0
; VGPRBlocks: 1
; NumSGPRsForWavesPerEU: 49
; NumVGPRsForWavesPerEU: 23
; NamedBarCnt: 0
; Occupancy: 16
; WaveLimiterHint : 1
; COMPUTE_PGM_RSRC2:SCRATCH_EN: 0
; COMPUTE_PGM_RSRC2:USER_SGPR: 2
; COMPUTE_PGM_RSRC2:TRAP_HANDLER: 0
; COMPUTE_PGM_RSRC2:TGID_X_EN: 1
; COMPUTE_PGM_RSRC2:TGID_Y_EN: 1
; COMPUTE_PGM_RSRC2:TGID_Z_EN: 1
; COMPUTE_PGM_RSRC2:TIDIG_COMP_CNT: 2
	.section	.text._ZL19k_bin_bcast_unravelIXadL_ZL6op_mulffEE6__halffS0_JPKfS2_S2_S2_S2_S2_S2_S2_EEvPKT0_PKT1_PT2_15HIP_vector_typeIjLj3EESC_SC_jSC_SC_SC_SC_SC_SC_iiiiiiiiiiiDpT3_,"axG",@progbits,_ZL19k_bin_bcast_unravelIXadL_ZL6op_mulffEE6__halffS0_JPKfS2_S2_S2_S2_S2_S2_S2_EEvPKT0_PKT1_PT2_15HIP_vector_typeIjLj3EESC_SC_jSC_SC_SC_SC_SC_SC_iiiiiiiiiiiDpT3_,comdat
	.globl	_ZL19k_bin_bcast_unravelIXadL_ZL6op_mulffEE6__halffS0_JPKfS2_S2_S2_S2_S2_S2_S2_EEvPKT0_PKT1_PT2_15HIP_vector_typeIjLj3EESC_SC_jSC_SC_SC_SC_SC_SC_iiiiiiiiiiiDpT3_ ; -- Begin function _ZL19k_bin_bcast_unravelIXadL_ZL6op_mulffEE6__halffS0_JPKfS2_S2_S2_S2_S2_S2_S2_EEvPKT0_PKT1_PT2_15HIP_vector_typeIjLj3EESC_SC_jSC_SC_SC_SC_SC_SC_iiiiiiiiiiiDpT3_
	.p2align	8
	.type	_ZL19k_bin_bcast_unravelIXadL_ZL6op_mulffEE6__halffS0_JPKfS2_S2_S2_S2_S2_S2_S2_EEvPKT0_PKT1_PT2_15HIP_vector_typeIjLj3EESC_SC_jSC_SC_SC_SC_SC_SC_iiiiiiiiiiiDpT3_,@function
_ZL19k_bin_bcast_unravelIXadL_ZL6op_mulffEE6__halffS0_JPKfS2_S2_S2_S2_S2_S2_S2_EEvPKT0_PKT1_PT2_15HIP_vector_typeIjLj3EESC_SC_jSC_SC_SC_SC_SC_SC_iiiiiiiiiiiDpT3_: ; @_ZL19k_bin_bcast_unravelIXadL_ZL6op_mulffEE6__halffS0_JPKfS2_S2_S2_S2_S2_S2_S2_EEvPKT0_PKT1_PT2_15HIP_vector_typeIjLj3EESC_SC_jSC_SC_SC_SC_SC_SC_iiiiiiiiiiiDpT3_
; %bb.0:
	s_load_b32 s2, s[0:1], 0x104
	s_bfe_u32 s3, ttmp6, 0x4000c
	s_load_b256 s[4:11], s[0:1], 0x38
	s_add_co_i32 s3, s3, 1
	s_and_b32 s12, ttmp6, 15
	s_mul_i32 s3, ttmp9, s3
	s_getreg_b32 s13, hwreg(HW_REG_IB_STS2, 6, 4)
	s_add_co_i32 s12, s12, s3
	s_wait_kmcnt 0x0
	s_and_b32 s2, s2, 0xffff
	s_cmp_eq_u32 s13, 0
	s_cselect_b32 s3, ttmp9, s12
	s_delay_alu instid0(SALU_CYCLE_1) | instskip(SKIP_1) | instid1(VALU_DEP_1)
	v_mad_u32 v0, s3, s2, v0
	s_load_b32 s2, s[0:1], 0x2c
	v_mul_hi_u32 v1, v0, s6
	s_delay_alu instid0(VALU_DEP_1) | instskip(NEXT) | instid1(VALU_DEP_1)
	v_add_nc_u32_e32 v1, v0, v1
	v_lshrrev_b32_e32 v1, s7, v1
	s_delay_alu instid0(VALU_DEP_1) | instskip(NEXT) | instid1(VALU_DEP_1)
	v_mul_lo_u32 v2, v1, s8
	v_sub_nc_u32_e32 v0, v0, v2
	s_delay_alu instid0(VALU_DEP_1) | instskip(NEXT) | instid1(VALU_DEP_1)
	v_mul_hi_u32 v2, v0, s9
	v_add_nc_u32_e32 v2, v0, v2
	s_delay_alu instid0(VALU_DEP_1) | instskip(SKIP_1) | instid1(VALU_DEP_1)
	v_lshrrev_b32_e32 v2, s10, v2
	s_load_b96 s[8:10], s[0:1], 0x18
	v_mul_lo_u32 v3, v2, s11
	s_delay_alu instid0(VALU_DEP_1) | instskip(SKIP_3) | instid1(VALU_DEP_3)
	v_sub_nc_u32_e32 v0, v0, v3
	v_cmp_gt_u32_e64 s3, s4, v2
	v_cmp_gt_u32_e64 s4, s5, v1
	s_wait_kmcnt 0x0
	v_mul_hi_u32 v3, v0, s8
	s_delay_alu instid0(VALU_DEP_1) | instskip(NEXT) | instid1(VALU_DEP_1)
	v_add_nc_u32_e32 v3, v0, v3
	v_lshrrev_b32_e32 v4, s9, v3
	s_delay_alu instid0(VALU_DEP_1) | instskip(NEXT) | instid1(VALU_DEP_1)
	v_mul_lo_u32 v3, v4, s10
	v_sub_nc_u32_e32 v0, v0, v3
	v_cmp_gt_u32_e64 s2, s2, v4
	s_delay_alu instid0(VALU_DEP_2) | instskip(SKIP_1) | instid1(SALU_CYCLE_1)
	v_cmp_gt_u32_e32 vcc_lo, s10, v0
	s_and_b32 s2, vcc_lo, s2
	s_and_b32 s2, s2, s3
	s_delay_alu instid0(SALU_CYCLE_1) | instskip(NEXT) | instid1(SALU_CYCLE_1)
	s_and_b32 s2, s4, s2
	s_and_saveexec_b32 s3, s2
	s_cbranch_execz .LBB148_4
; %bb.1:
	s_clause 0x4
	s_load_b64 s[2:3], s[0:1], 0x0
	s_load_b96 s[16:18], s[0:1], 0xa8
	s_load_b256 s[20:27], s[0:1], 0x88
	s_load_b128 s[12:15], s[0:1], 0x78
	s_load_b256 s[4:11], s[0:1], 0x58
	v_dual_mov_b32 v3, 0 :: v_dual_mov_b32 v5, 0
	s_wait_kmcnt 0x0
	s_cmp_eq_u64 s[2:3], 0
	s_cbranch_scc1 .LBB148_3
; %bb.2:
	v_mul_lo_u32 v5, v1, s26
	v_mov_b32_e32 v7, 0
	s_delay_alu instid0(VALU_DEP_2) | instskip(NEXT) | instid1(VALU_DEP_1)
	v_mad_u32 v5, v2, s25, v5
	v_mad_u32 v6, v4, s24, v5
	s_delay_alu instid0(VALU_DEP_1) | instskip(SKIP_1) | instid1(VALU_DEP_1)
	v_lshl_add_u64 v[8:9], v[6:7], 1, s[2:3]
	v_mul_lo_u32 v6, v0, s23
	v_lshl_add_u64 v[6:7], v[6:7], 1, v[8:9]
	global_load_u16 v5, v[6:7], off
	s_wait_loadcnt 0x0
	v_cvt_f32_f16_e32 v5, v5
.LBB148_3:
	v_mul_hi_u32 v6, s13, v1
	v_mul_hi_u32 v7, s10, v2
	;; [unrolled: 1-line block ×4, first 2 shown]
	s_delay_alu instid0(VALU_DEP_3) | instskip(NEXT) | instid1(VALU_DEP_1)
	v_dual_add_nc_u32 v6, v1, v6 :: v_dual_add_nc_u32 v7, v2, v7
	v_dual_lshrrev_b32 v6, s14, v6 :: v_dual_lshrrev_b32 v7, s11, v7
	s_delay_alu instid0(VALU_DEP_1) | instskip(SKIP_1) | instid1(VALU_DEP_3)
	v_mul_lo_u32 v6, v6, s15
	v_add_nc_u32_e32 v8, v4, v8
	v_mul_lo_u32 v7, v7, s12
	s_delay_alu instid0(VALU_DEP_3) | instskip(NEXT) | instid1(VALU_DEP_3)
	v_dual_sub_nc_u32 v6, v1, v6 :: v_dual_add_nc_u32 v9, v0, v9
	v_lshrrev_b32_e32 v8, s8, v8
	v_mul_lo_u32 v1, v1, s22
	s_delay_alu instid0(VALU_DEP_4) | instskip(NEXT) | instid1(VALU_DEP_4)
	v_sub_nc_u32_e32 v7, v2, v7
	v_mul_lo_u32 v6, v6, s18
	v_lshrrev_b32_e32 v9, s5, v9
	v_mul_lo_u32 v8, v8, s9
	s_delay_alu instid0(VALU_DEP_2) | instskip(SKIP_2) | instid1(VALU_DEP_4)
	v_mul_lo_u32 v9, v9, s6
	v_mad_u32 v1, v2, s21, v1
	v_mad_u32 v7, v7, s17, v6
	v_sub_nc_u32_e32 v8, v4, v8
	s_delay_alu instid0(VALU_DEP_1) | instskip(SKIP_2) | instid1(VALU_DEP_2)
	v_mad_u32 v8, v8, s16, v7
	v_sub_nc_u32_e32 v6, v0, v9
	s_load_b512 s[4:19], s[0:1], 0xb8
	v_ashrrev_i32_e32 v9, 31, v8
	s_delay_alu instid0(VALU_DEP_2) | instskip(SKIP_2) | instid1(VALU_DEP_1)
	v_mul_lo_u32 v6, v6, s27
	s_wait_xcnt 0x0
	s_load_b64 s[0:1], s[0:1], 0x10
	v_ashrrev_i32_e32 v7, 31, v6
	s_delay_alu instid0(VALU_DEP_1) | instskip(NEXT) | instid1(VALU_DEP_1)
	v_add_nc_u64_e32 v[6:7], v[6:7], v[8:9]
	v_lshlrev_b64_e32 v[6:7], 2, v[6:7]
	s_wait_kmcnt 0x0
	s_delay_alu instid0(VALU_DEP_1)
	v_add_nc_u64_e32 v[8:9], s[4:5], v[6:7]
	v_add_nc_u64_e32 v[10:11], s[6:7], v[6:7]
	global_load_b32 v12, v[8:9], off
	s_wait_xcnt 0x0
	v_add_nc_u64_e32 v[8:9], s[8:9], v[6:7]
	global_load_b32 v13, v[10:11], off
	s_wait_xcnt 0x0
	;; [unrolled: 3-line block ×5, first 2 shown]
	v_add_nc_u64_e32 v[8:9], s[16:17], v[6:7]
	global_load_b32 v10, v[10:11], off
	v_add_nc_u64_e32 v[6:7], s[18:19], v[6:7]
	global_load_b32 v11, v[8:9], off
	global_load_b32 v17, v[6:7], off
	s_wait_loadcnt 0x7
	v_mul_f32_e32 v5, v5, v12
	s_wait_loadcnt 0x6
	s_delay_alu instid0(VALU_DEP_1) | instskip(SKIP_1) | instid1(VALU_DEP_1)
	v_mul_f32_e32 v5, v5, v13
	s_wait_loadcnt 0x5
	v_mul_f32_e32 v2, v5, v14
	s_wait_loadcnt 0x4
	s_delay_alu instid0(VALU_DEP_1) | instskip(SKIP_2) | instid1(VALU_DEP_2)
	v_mul_f32_e32 v5, v2, v15
	v_mad_u32 v2, v4, s20, v1
	s_wait_loadcnt 0x3
	v_mul_f32_e32 v1, v5, v16
	s_wait_loadcnt 0x2
	s_delay_alu instid0(VALU_DEP_1) | instskip(NEXT) | instid1(VALU_DEP_3)
	v_dual_mul_f32 v4, v1, v10 :: v_dual_mov_b32 v1, v3
	v_lshl_add_u64 v[2:3], v[2:3], 1, s[0:1]
	s_wait_loadcnt 0x1
	s_delay_alu instid0(VALU_DEP_2) | instskip(NEXT) | instid1(VALU_DEP_2)
	v_mul_f32_e32 v4, v4, v11
	v_lshl_add_u64 v[0:1], v[0:1], 1, v[2:3]
	s_wait_loadcnt 0x0
	s_delay_alu instid0(VALU_DEP_2)
	v_fma_mixlo_f16 v4, v4, v17, 0
	global_store_b16 v[0:1], v4, off
.LBB148_4:
	s_endpgm
	.section	.rodata,"a",@progbits
	.p2align	6, 0x0
	.amdhsa_kernel _ZL19k_bin_bcast_unravelIXadL_ZL6op_mulffEE6__halffS0_JPKfS2_S2_S2_S2_S2_S2_S2_EEvPKT0_PKT1_PT2_15HIP_vector_typeIjLj3EESC_SC_jSC_SC_SC_SC_SC_SC_iiiiiiiiiiiDpT3_
		.amdhsa_group_segment_fixed_size 0
		.amdhsa_private_segment_fixed_size 0
		.amdhsa_kernarg_size 504
		.amdhsa_user_sgpr_count 2
		.amdhsa_user_sgpr_dispatch_ptr 0
		.amdhsa_user_sgpr_queue_ptr 0
		.amdhsa_user_sgpr_kernarg_segment_ptr 1
		.amdhsa_user_sgpr_dispatch_id 0
		.amdhsa_user_sgpr_kernarg_preload_length 0
		.amdhsa_user_sgpr_kernarg_preload_offset 0
		.amdhsa_user_sgpr_private_segment_size 0
		.amdhsa_wavefront_size32 1
		.amdhsa_uses_dynamic_stack 0
		.amdhsa_enable_private_segment 0
		.amdhsa_system_sgpr_workgroup_id_x 1
		.amdhsa_system_sgpr_workgroup_id_y 0
		.amdhsa_system_sgpr_workgroup_id_z 0
		.amdhsa_system_sgpr_workgroup_info 0
		.amdhsa_system_vgpr_workitem_id 0
		.amdhsa_next_free_vgpr 18
		.amdhsa_next_free_sgpr 28
		.amdhsa_named_barrier_count 0
		.amdhsa_reserve_vcc 1
		.amdhsa_float_round_mode_32 0
		.amdhsa_float_round_mode_16_64 0
		.amdhsa_float_denorm_mode_32 3
		.amdhsa_float_denorm_mode_16_64 3
		.amdhsa_fp16_overflow 0
		.amdhsa_memory_ordered 1
		.amdhsa_forward_progress 1
		.amdhsa_inst_pref_size 8
		.amdhsa_round_robin_scheduling 0
		.amdhsa_exception_fp_ieee_invalid_op 0
		.amdhsa_exception_fp_denorm_src 0
		.amdhsa_exception_fp_ieee_div_zero 0
		.amdhsa_exception_fp_ieee_overflow 0
		.amdhsa_exception_fp_ieee_underflow 0
		.amdhsa_exception_fp_ieee_inexact 0
		.amdhsa_exception_int_div_zero 0
	.end_amdhsa_kernel
	.section	.text._ZL19k_bin_bcast_unravelIXadL_ZL6op_mulffEE6__halffS0_JPKfS2_S2_S2_S2_S2_S2_S2_EEvPKT0_PKT1_PT2_15HIP_vector_typeIjLj3EESC_SC_jSC_SC_SC_SC_SC_SC_iiiiiiiiiiiDpT3_,"axG",@progbits,_ZL19k_bin_bcast_unravelIXadL_ZL6op_mulffEE6__halffS0_JPKfS2_S2_S2_S2_S2_S2_S2_EEvPKT0_PKT1_PT2_15HIP_vector_typeIjLj3EESC_SC_jSC_SC_SC_SC_SC_SC_iiiiiiiiiiiDpT3_,comdat
.Lfunc_end148:
	.size	_ZL19k_bin_bcast_unravelIXadL_ZL6op_mulffEE6__halffS0_JPKfS2_S2_S2_S2_S2_S2_S2_EEvPKT0_PKT1_PT2_15HIP_vector_typeIjLj3EESC_SC_jSC_SC_SC_SC_SC_SC_iiiiiiiiiiiDpT3_, .Lfunc_end148-_ZL19k_bin_bcast_unravelIXadL_ZL6op_mulffEE6__halffS0_JPKfS2_S2_S2_S2_S2_S2_S2_EEvPKT0_PKT1_PT2_15HIP_vector_typeIjLj3EESC_SC_jSC_SC_SC_SC_SC_SC_iiiiiiiiiiiDpT3_
                                        ; -- End function
	.set _ZL19k_bin_bcast_unravelIXadL_ZL6op_mulffEE6__halffS0_JPKfS2_S2_S2_S2_S2_S2_S2_EEvPKT0_PKT1_PT2_15HIP_vector_typeIjLj3EESC_SC_jSC_SC_SC_SC_SC_SC_iiiiiiiiiiiDpT3_.num_vgpr, 18
	.set _ZL19k_bin_bcast_unravelIXadL_ZL6op_mulffEE6__halffS0_JPKfS2_S2_S2_S2_S2_S2_S2_EEvPKT0_PKT1_PT2_15HIP_vector_typeIjLj3EESC_SC_jSC_SC_SC_SC_SC_SC_iiiiiiiiiiiDpT3_.num_agpr, 0
	.set _ZL19k_bin_bcast_unravelIXadL_ZL6op_mulffEE6__halffS0_JPKfS2_S2_S2_S2_S2_S2_S2_EEvPKT0_PKT1_PT2_15HIP_vector_typeIjLj3EESC_SC_jSC_SC_SC_SC_SC_SC_iiiiiiiiiiiDpT3_.numbered_sgpr, 28
	.set _ZL19k_bin_bcast_unravelIXadL_ZL6op_mulffEE6__halffS0_JPKfS2_S2_S2_S2_S2_S2_S2_EEvPKT0_PKT1_PT2_15HIP_vector_typeIjLj3EESC_SC_jSC_SC_SC_SC_SC_SC_iiiiiiiiiiiDpT3_.num_named_barrier, 0
	.set _ZL19k_bin_bcast_unravelIXadL_ZL6op_mulffEE6__halffS0_JPKfS2_S2_S2_S2_S2_S2_S2_EEvPKT0_PKT1_PT2_15HIP_vector_typeIjLj3EESC_SC_jSC_SC_SC_SC_SC_SC_iiiiiiiiiiiDpT3_.private_seg_size, 0
	.set _ZL19k_bin_bcast_unravelIXadL_ZL6op_mulffEE6__halffS0_JPKfS2_S2_S2_S2_S2_S2_S2_EEvPKT0_PKT1_PT2_15HIP_vector_typeIjLj3EESC_SC_jSC_SC_SC_SC_SC_SC_iiiiiiiiiiiDpT3_.uses_vcc, 1
	.set _ZL19k_bin_bcast_unravelIXadL_ZL6op_mulffEE6__halffS0_JPKfS2_S2_S2_S2_S2_S2_S2_EEvPKT0_PKT1_PT2_15HIP_vector_typeIjLj3EESC_SC_jSC_SC_SC_SC_SC_SC_iiiiiiiiiiiDpT3_.uses_flat_scratch, 0
	.set _ZL19k_bin_bcast_unravelIXadL_ZL6op_mulffEE6__halffS0_JPKfS2_S2_S2_S2_S2_S2_S2_EEvPKT0_PKT1_PT2_15HIP_vector_typeIjLj3EESC_SC_jSC_SC_SC_SC_SC_SC_iiiiiiiiiiiDpT3_.has_dyn_sized_stack, 0
	.set _ZL19k_bin_bcast_unravelIXadL_ZL6op_mulffEE6__halffS0_JPKfS2_S2_S2_S2_S2_S2_S2_EEvPKT0_PKT1_PT2_15HIP_vector_typeIjLj3EESC_SC_jSC_SC_SC_SC_SC_SC_iiiiiiiiiiiDpT3_.has_recursion, 0
	.set _ZL19k_bin_bcast_unravelIXadL_ZL6op_mulffEE6__halffS0_JPKfS2_S2_S2_S2_S2_S2_S2_EEvPKT0_PKT1_PT2_15HIP_vector_typeIjLj3EESC_SC_jSC_SC_SC_SC_SC_SC_iiiiiiiiiiiDpT3_.has_indirect_call, 0
	.section	.AMDGPU.csdata,"",@progbits
; Kernel info:
; codeLenInByte = 940
; TotalNumSgprs: 30
; NumVgprs: 18
; ScratchSize: 0
; MemoryBound: 0
; FloatMode: 240
; IeeeMode: 1
; LDSByteSize: 0 bytes/workgroup (compile time only)
; SGPRBlocks: 0
; VGPRBlocks: 1
; NumSGPRsForWavesPerEU: 30
; NumVGPRsForWavesPerEU: 18
; NamedBarCnt: 0
; Occupancy: 16
; WaveLimiterHint : 1
; COMPUTE_PGM_RSRC2:SCRATCH_EN: 0
; COMPUTE_PGM_RSRC2:USER_SGPR: 2
; COMPUTE_PGM_RSRC2:TRAP_HANDLER: 0
; COMPUTE_PGM_RSRC2:TGID_X_EN: 1
; COMPUTE_PGM_RSRC2:TGID_Y_EN: 0
; COMPUTE_PGM_RSRC2:TGID_Z_EN: 0
; COMPUTE_PGM_RSRC2:TIDIG_COMP_CNT: 0
	.section	.text._ZL11k_bin_bcastIXadL_ZL6op_mulffEE6__halffS0_JPKfS2_S2_S2_S2_S2_S2_S2_EEvPKT0_PKT1_PT2_iii15HIP_vector_typeIjLj3EESC_SC_SC_SC_iiiiiiiiiiiDpT3_,"axG",@progbits,_ZL11k_bin_bcastIXadL_ZL6op_mulffEE6__halffS0_JPKfS2_S2_S2_S2_S2_S2_S2_EEvPKT0_PKT1_PT2_iii15HIP_vector_typeIjLj3EESC_SC_SC_SC_iiiiiiiiiiiDpT3_,comdat
	.globl	_ZL11k_bin_bcastIXadL_ZL6op_mulffEE6__halffS0_JPKfS2_S2_S2_S2_S2_S2_S2_EEvPKT0_PKT1_PT2_iii15HIP_vector_typeIjLj3EESC_SC_SC_SC_iiiiiiiiiiiDpT3_ ; -- Begin function _ZL11k_bin_bcastIXadL_ZL6op_mulffEE6__halffS0_JPKfS2_S2_S2_S2_S2_S2_S2_EEvPKT0_PKT1_PT2_iii15HIP_vector_typeIjLj3EESC_SC_SC_SC_iiiiiiiiiiiDpT3_
	.p2align	8
	.type	_ZL11k_bin_bcastIXadL_ZL6op_mulffEE6__halffS0_JPKfS2_S2_S2_S2_S2_S2_S2_EEvPKT0_PKT1_PT2_iii15HIP_vector_typeIjLj3EESC_SC_SC_SC_iiiiiiiiiiiDpT3_,@function
_ZL11k_bin_bcastIXadL_ZL6op_mulffEE6__halffS0_JPKfS2_S2_S2_S2_S2_S2_S2_EEvPKT0_PKT1_PT2_iii15HIP_vector_typeIjLj3EESC_SC_SC_SC_iiiiiiiiiiiDpT3_: ; @_ZL11k_bin_bcastIXadL_ZL6op_mulffEE6__halffS0_JPKfS2_S2_S2_S2_S2_S2_S2_EEvPKT0_PKT1_PT2_iii15HIP_vector_typeIjLj3EESC_SC_SC_SC_iiiiiiiiiiiDpT3_
; %bb.0:
	s_load_b64 s[2:3], s[0:1], 0xdc
	s_bfe_u32 s5, ttmp6, 0x40014
	s_bfe_u32 s8, ttmp6, 0x40010
	;; [unrolled: 1-line block ×3, first 2 shown]
	s_lshr_b32 s4, ttmp7, 16
	s_add_co_i32 s5, s5, 1
	s_and_b32 s7, ttmp7, 0xffff
	s_load_b256 s[20:27], s[0:1], 0x18
	s_add_co_i32 s8, s8, 1
	s_add_co_i32 s11, s11, 1
	s_bfe_u32 s6, ttmp6, 0x40008
	s_mul_i32 s5, s4, s5
	s_bfe_u32 s9, ttmp6, 0x40004
	s_and_b32 s10, ttmp6, 15
	s_mul_i32 s8, s7, s8
	s_mul_i32 s11, ttmp9, s11
	s_add_co_i32 s6, s6, s5
	s_add_co_i32 s9, s9, s8
	;; [unrolled: 1-line block ×3, first 2 shown]
	v_bfe_u32 v1, v0, 20, 10
	s_wait_kmcnt 0x0
	s_lshr_b32 s5, s2, 16
	s_and_b32 s28, s2, 0xffff
	s_getreg_b32 s2, hwreg(HW_REG_IB_STS2, 6, 4)
	s_and_b32 s3, s3, 0xffff
	s_cmp_eq_u32 s2, 0
	v_and_b32_e32 v2, 0x3ff, v0
	s_cselect_b32 s2, s4, s6
	v_bfe_u32 v4, v0, 10, 10
	v_mad_u32 v3, s2, s3, v1
	s_cselect_b32 s2, ttmp9, s10
	s_cselect_b32 s3, s7, s9
	v_mad_u32 v0, s2, s28, v2
	v_mad_u32 v2, s3, s5, v4
	s_delay_alu instid0(VALU_DEP_3) | instskip(NEXT) | instid1(VALU_DEP_3)
	v_mul_hi_u32 v1, v3, s23
	v_cmp_gt_u32_e32 vcc_lo, s20, v0
	s_delay_alu instid0(VALU_DEP_3) | instskip(SKIP_2) | instid1(VALU_DEP_1)
	v_cmp_gt_u32_e64 s2, s21, v2
	s_and_b32 s2, vcc_lo, s2
	v_add_nc_u32_e32 v1, v3, v1
	v_lshrrev_b32_e32 v1, s24, v1
	s_delay_alu instid0(VALU_DEP_1) | instskip(SKIP_3) | instid1(VALU_DEP_1)
	v_mul_lo_u32 v5, v1, s25
	v_cmp_gt_u32_e64 s3, s22, v1
	s_and_b32 s2, s2, s3
	v_sub_nc_u32_e32 v3, v3, v5
	v_cmp_gt_u32_e64 s4, s25, v3
	s_and_b32 s2, s2, s4
	s_delay_alu instid0(SALU_CYCLE_1)
	s_and_saveexec_b32 s3, s2
	s_cbranch_execz .LBB149_6
; %bb.1:
	v_cmp_gt_i32_e32 vcc_lo, s20, v0
	s_and_b32 exec_lo, exec_lo, vcc_lo
	s_cbranch_execz .LBB149_6
; %bb.2:
	s_clause 0x4
	s_load_b256 s[4:11], s[0:1], 0x3c
	s_load_b32 s2, s[0:1], 0x5c
	s_load_b256 s[36:43], s[0:1], 0x60
	s_load_b96 s[44:46], s[0:1], 0x80
	s_load_b64 s[22:23], s[0:1], 0x10
	s_wait_kmcnt 0x0
	v_mul_hi_u32 v4, s10, v3
	v_mul_hi_u32 v5, s7, v1
	;; [unrolled: 1-line block ×3, first 2 shown]
	v_mul_lo_u32 v7, v2, s40
	v_mul_lo_u32 v8, v2, s36
	s_delay_alu instid0(VALU_DEP_4) | instskip(NEXT) | instid1(VALU_DEP_3)
	v_dual_add_nc_u32 v4, v3, v4 :: v_dual_add_nc_u32 v5, v1, v5
	v_mad_u32 v7, v1, s41, v7
	s_delay_alu instid0(VALU_DEP_3) | instskip(NEXT) | instid1(VALU_DEP_3)
	v_mad_u32 v8, v1, s37, v8
	v_dual_lshrrev_b32 v4, s11, v4 :: v_dual_lshrrev_b32 v5, s8, v5
	s_delay_alu instid0(VALU_DEP_1) | instskip(SKIP_1) | instid1(VALU_DEP_3)
	v_mul_lo_u32 v4, v4, s2
	v_add_nc_u32_e32 v6, v2, v6
	v_mul_lo_u32 v5, v5, s9
	s_load_b64 s[2:3], s[0:1], 0x0
	v_mad_u32 v8, v3, s38, v8
	s_delay_alu instid0(VALU_DEP_3) | instskip(NEXT) | instid1(VALU_DEP_3)
	v_dual_sub_nc_u32 v4, v3, v4 :: v_dual_lshrrev_b32 v6, s5, v6
	v_sub_nc_u32_e32 v5, v1, v5
	s_add_nc_u64 s[4:5], s[0:1], 0xd0
	s_load_b32 s21, s[4:5], 0x0
	s_load_b32 s24, s[0:1], 0x38
	v_mul_lo_u32 v9, v4, s46
	v_mul_lo_u32 v6, v6, s6
	v_mad_u32 v4, v3, s42, v7
	s_wait_xcnt 0x0
	s_load_b512 s[4:19], s[0:1], 0x90
	v_mov_b32_e32 v1, 0
	s_wait_xcnt 0x0
	s_mov_b32 s1, 0
	s_wait_kmcnt 0x0
	s_cmp_lg_u64 s[2:3], 0
	s_mov_b32 s0, s26
	v_mad_u32 v7, v5, s45, v9
	v_sub_nc_u32_e32 v2, v2, v6
	v_mul_lo_u32 v6, s39, v0
	v_dual_mov_b32 v5, v1 :: v_dual_mov_b32 v9, v1
	v_mov_b32_e32 v3, v1
	s_delay_alu instid0(VALU_DEP_2) | instskip(NEXT) | instid1(VALU_DEP_3)
	v_lshl_add_u64 v[4:5], v[4:5], 1, s[2:3]
	v_lshl_add_u64 v[8:9], v[8:9], 1, s[22:23]
	s_mul_i32 s2, s21, s28
	v_mad_u32 v2, v2, s44, v7
	s_cselect_b32 s3, -1, 0
	s_mul_i32 s21, s2, s39
	s_sub_co_i32 s22, 0, s24
	s_mov_b32 s23, s1
	s_branch .LBB149_4
.LBB149_3:                              ;   in Loop: Header=BB149_4 Depth=1
	s_wait_xcnt 0x0
	v_mul_u64_e32 v[10:11], s[0:1], v[0:1]
	s_delay_alu instid0(VALU_DEP_1) | instskip(NEXT) | instid1(VALU_DEP_1)
	v_dual_add_nc_u32 v6, s21, v6 :: v_dual_add_nc_u32 v10, v0, v11
	v_dual_mov_b32 v11, v1 :: v_dual_lshrrev_b32 v10, s27, v10
	s_delay_alu instid0(VALU_DEP_1) | instskip(NEXT) | instid1(VALU_DEP_1)
	v_mad_u32 v10, s22, v10, v0
	v_mul_lo_u32 v10, v10, s43
	s_delay_alu instid0(VALU_DEP_1) | instskip(NEXT) | instid1(VALU_DEP_1)
	v_add_nc_u64_e32 v[10:11], v[10:11], v[2:3]
	v_lshlrev_b64_e32 v[10:11], 2, v[10:11]
	s_delay_alu instid0(VALU_DEP_1)
	v_add_nc_u64_e32 v[12:13], s[4:5], v[10:11]
	v_add_nc_u64_e32 v[14:15], s[6:7], v[10:11]
	global_load_b32 v16, v[12:13], off
	s_wait_xcnt 0x0
	v_add_nc_u64_e32 v[12:13], s[8:9], v[10:11]
	global_load_b32 v17, v[14:15], off
	s_wait_xcnt 0x0
	;; [unrolled: 3-line block ×5, first 2 shown]
	v_add_nc_u64_e32 v[12:13], s[16:17], v[10:11]
	global_load_b32 v14, v[14:15], off
	v_add_nc_u64_e32 v[10:11], s[18:19], v[10:11]
	global_load_b32 v15, v[12:13], off
	global_load_b32 v21, v[10:11], off
	s_wait_xcnt 0x0
	v_dual_mov_b32 v10, v0 :: v_dual_ashrrev_i32 v11, 31, v0
	v_add_nc_u32_e32 v0, s2, v0
	s_delay_alu instid0(VALU_DEP_2) | instskip(NEXT) | instid1(VALU_DEP_2)
	v_lshl_add_u64 v[10:11], v[10:11], 1, v[8:9]
	v_cmp_le_i32_e32 vcc_lo, s20, v0
	s_or_b32 s23, vcc_lo, s23
	s_wait_loadcnt 0x7
	v_mul_f32_e32 v7, v7, v16
	s_wait_loadcnt 0x6
	s_delay_alu instid0(VALU_DEP_1) | instskip(SKIP_1) | instid1(VALU_DEP_1)
	v_mul_f32_e32 v7, v7, v17
	s_wait_loadcnt 0x5
	v_mul_f32_e32 v7, v7, v18
	s_wait_loadcnt 0x4
	s_delay_alu instid0(VALU_DEP_1) | instskip(SKIP_1) | instid1(VALU_DEP_1)
	v_mul_f32_e32 v7, v7, v19
	;; [unrolled: 5-line block ×3, first 2 shown]
	s_wait_loadcnt 0x1
	v_mul_f32_e32 v7, v7, v15
	s_wait_loadcnt 0x0
	s_delay_alu instid0(VALU_DEP_1)
	v_fma_mixlo_f16 v7, v7, v21, 0
	global_store_b16 v[10:11], v7, off
	s_wait_xcnt 0x0
	s_and_not1_b32 exec_lo, exec_lo, s23
	s_cbranch_execz .LBB149_6
.LBB149_4:                              ; =>This Inner Loop Header: Depth=1
	v_mov_b32_e32 v7, 0
	s_and_not1_b32 vcc_lo, exec_lo, s3
	s_cbranch_vccnz .LBB149_3
; %bb.5:                                ;   in Loop: Header=BB149_4 Depth=1
	v_ashrrev_i32_e32 v7, 31, v6
	s_delay_alu instid0(VALU_DEP_1)
	v_lshl_add_u64 v[10:11], v[6:7], 1, v[4:5]
	global_load_u16 v7, v[10:11], off
	s_wait_loadcnt 0x0
	v_cvt_f32_f16_e32 v7, v7
	s_branch .LBB149_3
.LBB149_6:
	s_endpgm
	.section	.rodata,"a",@progbits
	.p2align	6, 0x0
	.amdhsa_kernel _ZL11k_bin_bcastIXadL_ZL6op_mulffEE6__halffS0_JPKfS2_S2_S2_S2_S2_S2_S2_EEvPKT0_PKT1_PT2_iii15HIP_vector_typeIjLj3EESC_SC_SC_SC_iiiiiiiiiiiDpT3_
		.amdhsa_group_segment_fixed_size 0
		.amdhsa_private_segment_fixed_size 0
		.amdhsa_kernarg_size 464
		.amdhsa_user_sgpr_count 2
		.amdhsa_user_sgpr_dispatch_ptr 0
		.amdhsa_user_sgpr_queue_ptr 0
		.amdhsa_user_sgpr_kernarg_segment_ptr 1
		.amdhsa_user_sgpr_dispatch_id 0
		.amdhsa_user_sgpr_kernarg_preload_length 0
		.amdhsa_user_sgpr_kernarg_preload_offset 0
		.amdhsa_user_sgpr_private_segment_size 0
		.amdhsa_wavefront_size32 1
		.amdhsa_uses_dynamic_stack 0
		.amdhsa_enable_private_segment 0
		.amdhsa_system_sgpr_workgroup_id_x 1
		.amdhsa_system_sgpr_workgroup_id_y 1
		.amdhsa_system_sgpr_workgroup_id_z 1
		.amdhsa_system_sgpr_workgroup_info 0
		.amdhsa_system_vgpr_workitem_id 2
		.amdhsa_next_free_vgpr 22
		.amdhsa_next_free_sgpr 47
		.amdhsa_named_barrier_count 0
		.amdhsa_reserve_vcc 1
		.amdhsa_float_round_mode_32 0
		.amdhsa_float_round_mode_16_64 0
		.amdhsa_float_denorm_mode_32 3
		.amdhsa_float_denorm_mode_16_64 3
		.amdhsa_fp16_overflow 0
		.amdhsa_memory_ordered 1
		.amdhsa_forward_progress 1
		.amdhsa_inst_pref_size 9
		.amdhsa_round_robin_scheduling 0
		.amdhsa_exception_fp_ieee_invalid_op 0
		.amdhsa_exception_fp_denorm_src 0
		.amdhsa_exception_fp_ieee_div_zero 0
		.amdhsa_exception_fp_ieee_overflow 0
		.amdhsa_exception_fp_ieee_underflow 0
		.amdhsa_exception_fp_ieee_inexact 0
		.amdhsa_exception_int_div_zero 0
	.end_amdhsa_kernel
	.section	.text._ZL11k_bin_bcastIXadL_ZL6op_mulffEE6__halffS0_JPKfS2_S2_S2_S2_S2_S2_S2_EEvPKT0_PKT1_PT2_iii15HIP_vector_typeIjLj3EESC_SC_SC_SC_iiiiiiiiiiiDpT3_,"axG",@progbits,_ZL11k_bin_bcastIXadL_ZL6op_mulffEE6__halffS0_JPKfS2_S2_S2_S2_S2_S2_S2_EEvPKT0_PKT1_PT2_iii15HIP_vector_typeIjLj3EESC_SC_SC_SC_iiiiiiiiiiiDpT3_,comdat
.Lfunc_end149:
	.size	_ZL11k_bin_bcastIXadL_ZL6op_mulffEE6__halffS0_JPKfS2_S2_S2_S2_S2_S2_S2_EEvPKT0_PKT1_PT2_iii15HIP_vector_typeIjLj3EESC_SC_SC_SC_iiiiiiiiiiiDpT3_, .Lfunc_end149-_ZL11k_bin_bcastIXadL_ZL6op_mulffEE6__halffS0_JPKfS2_S2_S2_S2_S2_S2_S2_EEvPKT0_PKT1_PT2_iii15HIP_vector_typeIjLj3EESC_SC_SC_SC_iiiiiiiiiiiDpT3_
                                        ; -- End function
	.set _ZL11k_bin_bcastIXadL_ZL6op_mulffEE6__halffS0_JPKfS2_S2_S2_S2_S2_S2_S2_EEvPKT0_PKT1_PT2_iii15HIP_vector_typeIjLj3EESC_SC_SC_SC_iiiiiiiiiiiDpT3_.num_vgpr, 22
	.set _ZL11k_bin_bcastIXadL_ZL6op_mulffEE6__halffS0_JPKfS2_S2_S2_S2_S2_S2_S2_EEvPKT0_PKT1_PT2_iii15HIP_vector_typeIjLj3EESC_SC_SC_SC_iiiiiiiiiiiDpT3_.num_agpr, 0
	.set _ZL11k_bin_bcastIXadL_ZL6op_mulffEE6__halffS0_JPKfS2_S2_S2_S2_S2_S2_S2_EEvPKT0_PKT1_PT2_iii15HIP_vector_typeIjLj3EESC_SC_SC_SC_iiiiiiiiiiiDpT3_.numbered_sgpr, 47
	.set _ZL11k_bin_bcastIXadL_ZL6op_mulffEE6__halffS0_JPKfS2_S2_S2_S2_S2_S2_S2_EEvPKT0_PKT1_PT2_iii15HIP_vector_typeIjLj3EESC_SC_SC_SC_iiiiiiiiiiiDpT3_.num_named_barrier, 0
	.set _ZL11k_bin_bcastIXadL_ZL6op_mulffEE6__halffS0_JPKfS2_S2_S2_S2_S2_S2_S2_EEvPKT0_PKT1_PT2_iii15HIP_vector_typeIjLj3EESC_SC_SC_SC_iiiiiiiiiiiDpT3_.private_seg_size, 0
	.set _ZL11k_bin_bcastIXadL_ZL6op_mulffEE6__halffS0_JPKfS2_S2_S2_S2_S2_S2_S2_EEvPKT0_PKT1_PT2_iii15HIP_vector_typeIjLj3EESC_SC_SC_SC_iiiiiiiiiiiDpT3_.uses_vcc, 1
	.set _ZL11k_bin_bcastIXadL_ZL6op_mulffEE6__halffS0_JPKfS2_S2_S2_S2_S2_S2_S2_EEvPKT0_PKT1_PT2_iii15HIP_vector_typeIjLj3EESC_SC_SC_SC_iiiiiiiiiiiDpT3_.uses_flat_scratch, 0
	.set _ZL11k_bin_bcastIXadL_ZL6op_mulffEE6__halffS0_JPKfS2_S2_S2_S2_S2_S2_S2_EEvPKT0_PKT1_PT2_iii15HIP_vector_typeIjLj3EESC_SC_SC_SC_iiiiiiiiiiiDpT3_.has_dyn_sized_stack, 0
	.set _ZL11k_bin_bcastIXadL_ZL6op_mulffEE6__halffS0_JPKfS2_S2_S2_S2_S2_S2_S2_EEvPKT0_PKT1_PT2_iii15HIP_vector_typeIjLj3EESC_SC_SC_SC_iiiiiiiiiiiDpT3_.has_recursion, 0
	.set _ZL11k_bin_bcastIXadL_ZL6op_mulffEE6__halffS0_JPKfS2_S2_S2_S2_S2_S2_S2_EEvPKT0_PKT1_PT2_iii15HIP_vector_typeIjLj3EESC_SC_SC_SC_iiiiiiiiiiiDpT3_.has_indirect_call, 0
	.section	.AMDGPU.csdata,"",@progbits
; Kernel info:
; codeLenInByte = 1088
; TotalNumSgprs: 49
; NumVgprs: 22
; ScratchSize: 0
; MemoryBound: 0
; FloatMode: 240
; IeeeMode: 1
; LDSByteSize: 0 bytes/workgroup (compile time only)
; SGPRBlocks: 0
; VGPRBlocks: 1
; NumSGPRsForWavesPerEU: 49
; NumVGPRsForWavesPerEU: 22
; NamedBarCnt: 0
; Occupancy: 16
; WaveLimiterHint : 1
; COMPUTE_PGM_RSRC2:SCRATCH_EN: 0
; COMPUTE_PGM_RSRC2:USER_SGPR: 2
; COMPUTE_PGM_RSRC2:TRAP_HANDLER: 0
; COMPUTE_PGM_RSRC2:TGID_X_EN: 1
; COMPUTE_PGM_RSRC2:TGID_Y_EN: 1
; COMPUTE_PGM_RSRC2:TGID_Z_EN: 1
; COMPUTE_PGM_RSRC2:TIDIG_COMP_CNT: 2
	.section	.text._ZL19k_bin_bcast_unravelIXadL_ZL6op_mulffEE6__halfffJPKfS2_S2_S2_S2_S2_S2_S2_EEvPKT0_PKT1_PT2_15HIP_vector_typeIjLj3EESC_SC_jSC_SC_SC_SC_SC_SC_iiiiiiiiiiiDpT3_,"axG",@progbits,_ZL19k_bin_bcast_unravelIXadL_ZL6op_mulffEE6__halfffJPKfS2_S2_S2_S2_S2_S2_S2_EEvPKT0_PKT1_PT2_15HIP_vector_typeIjLj3EESC_SC_jSC_SC_SC_SC_SC_SC_iiiiiiiiiiiDpT3_,comdat
	.globl	_ZL19k_bin_bcast_unravelIXadL_ZL6op_mulffEE6__halfffJPKfS2_S2_S2_S2_S2_S2_S2_EEvPKT0_PKT1_PT2_15HIP_vector_typeIjLj3EESC_SC_jSC_SC_SC_SC_SC_SC_iiiiiiiiiiiDpT3_ ; -- Begin function _ZL19k_bin_bcast_unravelIXadL_ZL6op_mulffEE6__halfffJPKfS2_S2_S2_S2_S2_S2_S2_EEvPKT0_PKT1_PT2_15HIP_vector_typeIjLj3EESC_SC_jSC_SC_SC_SC_SC_SC_iiiiiiiiiiiDpT3_
	.p2align	8
	.type	_ZL19k_bin_bcast_unravelIXadL_ZL6op_mulffEE6__halfffJPKfS2_S2_S2_S2_S2_S2_S2_EEvPKT0_PKT1_PT2_15HIP_vector_typeIjLj3EESC_SC_jSC_SC_SC_SC_SC_SC_iiiiiiiiiiiDpT3_,@function
_ZL19k_bin_bcast_unravelIXadL_ZL6op_mulffEE6__halfffJPKfS2_S2_S2_S2_S2_S2_S2_EEvPKT0_PKT1_PT2_15HIP_vector_typeIjLj3EESC_SC_jSC_SC_SC_SC_SC_SC_iiiiiiiiiiiDpT3_: ; @_ZL19k_bin_bcast_unravelIXadL_ZL6op_mulffEE6__halfffJPKfS2_S2_S2_S2_S2_S2_S2_EEvPKT0_PKT1_PT2_15HIP_vector_typeIjLj3EESC_SC_jSC_SC_SC_SC_SC_SC_iiiiiiiiiiiDpT3_
; %bb.0:
	s_load_b32 s2, s[0:1], 0x104
	s_bfe_u32 s3, ttmp6, 0x4000c
	s_load_b256 s[4:11], s[0:1], 0x38
	s_add_co_i32 s3, s3, 1
	s_and_b32 s12, ttmp6, 15
	s_mul_i32 s3, ttmp9, s3
	s_getreg_b32 s13, hwreg(HW_REG_IB_STS2, 6, 4)
	s_add_co_i32 s12, s12, s3
	s_wait_kmcnt 0x0
	s_and_b32 s2, s2, 0xffff
	s_cmp_eq_u32 s13, 0
	s_cselect_b32 s3, ttmp9, s12
	s_delay_alu instid0(SALU_CYCLE_1) | instskip(SKIP_1) | instid1(VALU_DEP_1)
	v_mad_u32 v0, s3, s2, v0
	s_load_b32 s2, s[0:1], 0x2c
	v_mul_hi_u32 v1, v0, s6
	s_delay_alu instid0(VALU_DEP_1) | instskip(NEXT) | instid1(VALU_DEP_1)
	v_add_nc_u32_e32 v1, v0, v1
	v_lshrrev_b32_e32 v1, s7, v1
	s_delay_alu instid0(VALU_DEP_1) | instskip(NEXT) | instid1(VALU_DEP_1)
	v_mul_lo_u32 v2, v1, s8
	v_sub_nc_u32_e32 v0, v0, v2
	s_delay_alu instid0(VALU_DEP_1) | instskip(NEXT) | instid1(VALU_DEP_1)
	v_mul_hi_u32 v2, v0, s9
	v_add_nc_u32_e32 v2, v0, v2
	s_delay_alu instid0(VALU_DEP_1) | instskip(SKIP_1) | instid1(VALU_DEP_1)
	v_lshrrev_b32_e32 v2, s10, v2
	s_load_b96 s[8:10], s[0:1], 0x18
	v_mul_lo_u32 v3, v2, s11
	s_delay_alu instid0(VALU_DEP_1) | instskip(SKIP_3) | instid1(VALU_DEP_3)
	v_sub_nc_u32_e32 v0, v0, v3
	v_cmp_gt_u32_e64 s3, s4, v2
	v_cmp_gt_u32_e64 s4, s5, v1
	s_wait_kmcnt 0x0
	v_mul_hi_u32 v3, v0, s8
	s_delay_alu instid0(VALU_DEP_1) | instskip(NEXT) | instid1(VALU_DEP_1)
	v_add_nc_u32_e32 v3, v0, v3
	v_lshrrev_b32_e32 v4, s9, v3
	s_delay_alu instid0(VALU_DEP_1) | instskip(NEXT) | instid1(VALU_DEP_1)
	v_mul_lo_u32 v3, v4, s10
	v_sub_nc_u32_e32 v0, v0, v3
	v_cmp_gt_u32_e64 s2, s2, v4
	s_delay_alu instid0(VALU_DEP_2) | instskip(SKIP_1) | instid1(SALU_CYCLE_1)
	v_cmp_gt_u32_e32 vcc_lo, s10, v0
	s_and_b32 s2, vcc_lo, s2
	s_and_b32 s2, s2, s3
	s_delay_alu instid0(SALU_CYCLE_1) | instskip(NEXT) | instid1(SALU_CYCLE_1)
	s_and_b32 s2, s4, s2
	s_and_saveexec_b32 s3, s2
	s_cbranch_execz .LBB150_4
; %bb.1:
	s_clause 0x4
	s_load_b64 s[2:3], s[0:1], 0x0
	s_load_b96 s[16:18], s[0:1], 0xa8
	s_load_b256 s[20:27], s[0:1], 0x88
	s_load_b128 s[12:15], s[0:1], 0x78
	s_load_b256 s[4:11], s[0:1], 0x58
	v_dual_mov_b32 v3, 0 :: v_dual_mov_b32 v5, 0
	s_wait_kmcnt 0x0
	s_cmp_eq_u64 s[2:3], 0
	s_cbranch_scc1 .LBB150_3
; %bb.2:
	v_mul_lo_u32 v5, v1, s26
	v_mov_b32_e32 v7, 0
	s_delay_alu instid0(VALU_DEP_2) | instskip(NEXT) | instid1(VALU_DEP_1)
	v_mad_u32 v5, v2, s25, v5
	v_mad_u32 v6, v4, s24, v5
	s_delay_alu instid0(VALU_DEP_1) | instskip(SKIP_1) | instid1(VALU_DEP_1)
	v_lshl_add_u64 v[8:9], v[6:7], 1, s[2:3]
	v_mul_lo_u32 v6, v0, s23
	v_lshl_add_u64 v[6:7], v[6:7], 1, v[8:9]
	global_load_u16 v5, v[6:7], off
	s_wait_loadcnt 0x0
	v_cvt_f32_f16_e32 v5, v5
.LBB150_3:
	v_mul_hi_u32 v6, s13, v1
	v_mul_hi_u32 v7, s10, v2
	;; [unrolled: 1-line block ×4, first 2 shown]
	s_delay_alu instid0(VALU_DEP_3) | instskip(NEXT) | instid1(VALU_DEP_1)
	v_dual_add_nc_u32 v6, v1, v6 :: v_dual_add_nc_u32 v7, v2, v7
	v_dual_lshrrev_b32 v6, s14, v6 :: v_dual_lshrrev_b32 v7, s11, v7
	s_delay_alu instid0(VALU_DEP_1) | instskip(SKIP_1) | instid1(VALU_DEP_3)
	v_mul_lo_u32 v6, v6, s15
	v_add_nc_u32_e32 v8, v4, v8
	v_mul_lo_u32 v7, v7, s12
	s_delay_alu instid0(VALU_DEP_3) | instskip(NEXT) | instid1(VALU_DEP_3)
	v_dual_sub_nc_u32 v6, v1, v6 :: v_dual_add_nc_u32 v9, v0, v9
	v_lshrrev_b32_e32 v8, s8, v8
	v_mul_lo_u32 v1, v1, s22
	s_delay_alu instid0(VALU_DEP_4) | instskip(NEXT) | instid1(VALU_DEP_4)
	v_sub_nc_u32_e32 v7, v2, v7
	v_mul_lo_u32 v6, v6, s18
	v_lshrrev_b32_e32 v9, s5, v9
	v_mul_lo_u32 v8, v8, s9
	s_delay_alu instid0(VALU_DEP_2) | instskip(SKIP_2) | instid1(VALU_DEP_4)
	v_mul_lo_u32 v9, v9, s6
	v_mad_u32 v1, v2, s21, v1
	v_mad_u32 v7, v7, s17, v6
	v_sub_nc_u32_e32 v8, v4, v8
	s_delay_alu instid0(VALU_DEP_1) | instskip(SKIP_2) | instid1(VALU_DEP_2)
	v_mad_u32 v8, v8, s16, v7
	v_sub_nc_u32_e32 v6, v0, v9
	s_load_b512 s[4:19], s[0:1], 0xb8
	v_ashrrev_i32_e32 v9, 31, v8
	s_delay_alu instid0(VALU_DEP_2) | instskip(SKIP_2) | instid1(VALU_DEP_1)
	v_mul_lo_u32 v6, v6, s27
	s_wait_xcnt 0x0
	s_load_b64 s[0:1], s[0:1], 0x10
	v_ashrrev_i32_e32 v7, 31, v6
	s_delay_alu instid0(VALU_DEP_1) | instskip(NEXT) | instid1(VALU_DEP_1)
	v_add_nc_u64_e32 v[6:7], v[6:7], v[8:9]
	v_lshlrev_b64_e32 v[6:7], 2, v[6:7]
	s_wait_kmcnt 0x0
	s_delay_alu instid0(VALU_DEP_1)
	v_add_nc_u64_e32 v[8:9], s[4:5], v[6:7]
	v_add_nc_u64_e32 v[10:11], s[6:7], v[6:7]
	global_load_b32 v12, v[8:9], off
	s_wait_xcnt 0x0
	v_add_nc_u64_e32 v[8:9], s[8:9], v[6:7]
	global_load_b32 v13, v[10:11], off
	s_wait_xcnt 0x0
	;; [unrolled: 3-line block ×5, first 2 shown]
	v_add_nc_u64_e32 v[8:9], s[16:17], v[6:7]
	global_load_b32 v10, v[10:11], off
	v_add_nc_u64_e32 v[6:7], s[18:19], v[6:7]
	global_load_b32 v11, v[8:9], off
	global_load_b32 v17, v[6:7], off
	s_wait_loadcnt 0x7
	v_mul_f32_e32 v5, v5, v12
	s_wait_loadcnt 0x6
	s_delay_alu instid0(VALU_DEP_1) | instskip(SKIP_1) | instid1(VALU_DEP_1)
	v_mul_f32_e32 v5, v5, v13
	s_wait_loadcnt 0x5
	v_mul_f32_e32 v2, v5, v14
	s_wait_loadcnt 0x4
	s_delay_alu instid0(VALU_DEP_1) | instskip(SKIP_2) | instid1(VALU_DEP_2)
	v_mul_f32_e32 v5, v2, v15
	v_mad_u32 v2, v4, s20, v1
	s_wait_loadcnt 0x3
	v_mul_f32_e32 v1, v5, v16
	s_wait_loadcnt 0x2
	s_delay_alu instid0(VALU_DEP_1) | instskip(NEXT) | instid1(VALU_DEP_3)
	v_dual_mul_f32 v4, v1, v10 :: v_dual_mov_b32 v1, v3
	v_lshl_add_u64 v[2:3], v[2:3], 2, s[0:1]
	s_wait_loadcnt 0x1
	s_delay_alu instid0(VALU_DEP_2) | instskip(NEXT) | instid1(VALU_DEP_2)
	v_mul_f32_e32 v4, v4, v11
	v_lshl_add_u64 v[0:1], v[0:1], 2, v[2:3]
	s_wait_loadcnt 0x0
	s_delay_alu instid0(VALU_DEP_2)
	v_mul_f32_e32 v4, v4, v17
	global_store_b32 v[0:1], v4, off
.LBB150_4:
	s_endpgm
	.section	.rodata,"a",@progbits
	.p2align	6, 0x0
	.amdhsa_kernel _ZL19k_bin_bcast_unravelIXadL_ZL6op_mulffEE6__halfffJPKfS2_S2_S2_S2_S2_S2_S2_EEvPKT0_PKT1_PT2_15HIP_vector_typeIjLj3EESC_SC_jSC_SC_SC_SC_SC_SC_iiiiiiiiiiiDpT3_
		.amdhsa_group_segment_fixed_size 0
		.amdhsa_private_segment_fixed_size 0
		.amdhsa_kernarg_size 504
		.amdhsa_user_sgpr_count 2
		.amdhsa_user_sgpr_dispatch_ptr 0
		.amdhsa_user_sgpr_queue_ptr 0
		.amdhsa_user_sgpr_kernarg_segment_ptr 1
		.amdhsa_user_sgpr_dispatch_id 0
		.amdhsa_user_sgpr_kernarg_preload_length 0
		.amdhsa_user_sgpr_kernarg_preload_offset 0
		.amdhsa_user_sgpr_private_segment_size 0
		.amdhsa_wavefront_size32 1
		.amdhsa_uses_dynamic_stack 0
		.amdhsa_enable_private_segment 0
		.amdhsa_system_sgpr_workgroup_id_x 1
		.amdhsa_system_sgpr_workgroup_id_y 0
		.amdhsa_system_sgpr_workgroup_id_z 0
		.amdhsa_system_sgpr_workgroup_info 0
		.amdhsa_system_vgpr_workitem_id 0
		.amdhsa_next_free_vgpr 18
		.amdhsa_next_free_sgpr 28
		.amdhsa_named_barrier_count 0
		.amdhsa_reserve_vcc 1
		.amdhsa_float_round_mode_32 0
		.amdhsa_float_round_mode_16_64 0
		.amdhsa_float_denorm_mode_32 3
		.amdhsa_float_denorm_mode_16_64 3
		.amdhsa_fp16_overflow 0
		.amdhsa_memory_ordered 1
		.amdhsa_forward_progress 1
		.amdhsa_inst_pref_size 8
		.amdhsa_round_robin_scheduling 0
		.amdhsa_exception_fp_ieee_invalid_op 0
		.amdhsa_exception_fp_denorm_src 0
		.amdhsa_exception_fp_ieee_div_zero 0
		.amdhsa_exception_fp_ieee_overflow 0
		.amdhsa_exception_fp_ieee_underflow 0
		.amdhsa_exception_fp_ieee_inexact 0
		.amdhsa_exception_int_div_zero 0
	.end_amdhsa_kernel
	.section	.text._ZL19k_bin_bcast_unravelIXadL_ZL6op_mulffEE6__halfffJPKfS2_S2_S2_S2_S2_S2_S2_EEvPKT0_PKT1_PT2_15HIP_vector_typeIjLj3EESC_SC_jSC_SC_SC_SC_SC_SC_iiiiiiiiiiiDpT3_,"axG",@progbits,_ZL19k_bin_bcast_unravelIXadL_ZL6op_mulffEE6__halfffJPKfS2_S2_S2_S2_S2_S2_S2_EEvPKT0_PKT1_PT2_15HIP_vector_typeIjLj3EESC_SC_jSC_SC_SC_SC_SC_SC_iiiiiiiiiiiDpT3_,comdat
.Lfunc_end150:
	.size	_ZL19k_bin_bcast_unravelIXadL_ZL6op_mulffEE6__halfffJPKfS2_S2_S2_S2_S2_S2_S2_EEvPKT0_PKT1_PT2_15HIP_vector_typeIjLj3EESC_SC_jSC_SC_SC_SC_SC_SC_iiiiiiiiiiiDpT3_, .Lfunc_end150-_ZL19k_bin_bcast_unravelIXadL_ZL6op_mulffEE6__halfffJPKfS2_S2_S2_S2_S2_S2_S2_EEvPKT0_PKT1_PT2_15HIP_vector_typeIjLj3EESC_SC_jSC_SC_SC_SC_SC_SC_iiiiiiiiiiiDpT3_
                                        ; -- End function
	.set _ZL19k_bin_bcast_unravelIXadL_ZL6op_mulffEE6__halfffJPKfS2_S2_S2_S2_S2_S2_S2_EEvPKT0_PKT1_PT2_15HIP_vector_typeIjLj3EESC_SC_jSC_SC_SC_SC_SC_SC_iiiiiiiiiiiDpT3_.num_vgpr, 18
	.set _ZL19k_bin_bcast_unravelIXadL_ZL6op_mulffEE6__halfffJPKfS2_S2_S2_S2_S2_S2_S2_EEvPKT0_PKT1_PT2_15HIP_vector_typeIjLj3EESC_SC_jSC_SC_SC_SC_SC_SC_iiiiiiiiiiiDpT3_.num_agpr, 0
	.set _ZL19k_bin_bcast_unravelIXadL_ZL6op_mulffEE6__halfffJPKfS2_S2_S2_S2_S2_S2_S2_EEvPKT0_PKT1_PT2_15HIP_vector_typeIjLj3EESC_SC_jSC_SC_SC_SC_SC_SC_iiiiiiiiiiiDpT3_.numbered_sgpr, 28
	.set _ZL19k_bin_bcast_unravelIXadL_ZL6op_mulffEE6__halfffJPKfS2_S2_S2_S2_S2_S2_S2_EEvPKT0_PKT1_PT2_15HIP_vector_typeIjLj3EESC_SC_jSC_SC_SC_SC_SC_SC_iiiiiiiiiiiDpT3_.num_named_barrier, 0
	.set _ZL19k_bin_bcast_unravelIXadL_ZL6op_mulffEE6__halfffJPKfS2_S2_S2_S2_S2_S2_S2_EEvPKT0_PKT1_PT2_15HIP_vector_typeIjLj3EESC_SC_jSC_SC_SC_SC_SC_SC_iiiiiiiiiiiDpT3_.private_seg_size, 0
	.set _ZL19k_bin_bcast_unravelIXadL_ZL6op_mulffEE6__halfffJPKfS2_S2_S2_S2_S2_S2_S2_EEvPKT0_PKT1_PT2_15HIP_vector_typeIjLj3EESC_SC_jSC_SC_SC_SC_SC_SC_iiiiiiiiiiiDpT3_.uses_vcc, 1
	.set _ZL19k_bin_bcast_unravelIXadL_ZL6op_mulffEE6__halfffJPKfS2_S2_S2_S2_S2_S2_S2_EEvPKT0_PKT1_PT2_15HIP_vector_typeIjLj3EESC_SC_jSC_SC_SC_SC_SC_SC_iiiiiiiiiiiDpT3_.uses_flat_scratch, 0
	.set _ZL19k_bin_bcast_unravelIXadL_ZL6op_mulffEE6__halfffJPKfS2_S2_S2_S2_S2_S2_S2_EEvPKT0_PKT1_PT2_15HIP_vector_typeIjLj3EESC_SC_jSC_SC_SC_SC_SC_SC_iiiiiiiiiiiDpT3_.has_dyn_sized_stack, 0
	.set _ZL19k_bin_bcast_unravelIXadL_ZL6op_mulffEE6__halfffJPKfS2_S2_S2_S2_S2_S2_S2_EEvPKT0_PKT1_PT2_15HIP_vector_typeIjLj3EESC_SC_jSC_SC_SC_SC_SC_SC_iiiiiiiiiiiDpT3_.has_recursion, 0
	.set _ZL19k_bin_bcast_unravelIXadL_ZL6op_mulffEE6__halfffJPKfS2_S2_S2_S2_S2_S2_S2_EEvPKT0_PKT1_PT2_15HIP_vector_typeIjLj3EESC_SC_jSC_SC_SC_SC_SC_SC_iiiiiiiiiiiDpT3_.has_indirect_call, 0
	.section	.AMDGPU.csdata,"",@progbits
; Kernel info:
; codeLenInByte = 936
; TotalNumSgprs: 30
; NumVgprs: 18
; ScratchSize: 0
; MemoryBound: 0
; FloatMode: 240
; IeeeMode: 1
; LDSByteSize: 0 bytes/workgroup (compile time only)
; SGPRBlocks: 0
; VGPRBlocks: 1
; NumSGPRsForWavesPerEU: 30
; NumVGPRsForWavesPerEU: 18
; NamedBarCnt: 0
; Occupancy: 16
; WaveLimiterHint : 1
; COMPUTE_PGM_RSRC2:SCRATCH_EN: 0
; COMPUTE_PGM_RSRC2:USER_SGPR: 2
; COMPUTE_PGM_RSRC2:TRAP_HANDLER: 0
; COMPUTE_PGM_RSRC2:TGID_X_EN: 1
; COMPUTE_PGM_RSRC2:TGID_Y_EN: 0
; COMPUTE_PGM_RSRC2:TGID_Z_EN: 0
; COMPUTE_PGM_RSRC2:TIDIG_COMP_CNT: 0
	.section	.text._ZL11k_bin_bcastIXadL_ZL6op_mulffEE6__halfffJPKfS2_S2_S2_S2_S2_S2_S2_EEvPKT0_PKT1_PT2_iii15HIP_vector_typeIjLj3EESC_SC_SC_SC_iiiiiiiiiiiDpT3_,"axG",@progbits,_ZL11k_bin_bcastIXadL_ZL6op_mulffEE6__halfffJPKfS2_S2_S2_S2_S2_S2_S2_EEvPKT0_PKT1_PT2_iii15HIP_vector_typeIjLj3EESC_SC_SC_SC_iiiiiiiiiiiDpT3_,comdat
	.globl	_ZL11k_bin_bcastIXadL_ZL6op_mulffEE6__halfffJPKfS2_S2_S2_S2_S2_S2_S2_EEvPKT0_PKT1_PT2_iii15HIP_vector_typeIjLj3EESC_SC_SC_SC_iiiiiiiiiiiDpT3_ ; -- Begin function _ZL11k_bin_bcastIXadL_ZL6op_mulffEE6__halfffJPKfS2_S2_S2_S2_S2_S2_S2_EEvPKT0_PKT1_PT2_iii15HIP_vector_typeIjLj3EESC_SC_SC_SC_iiiiiiiiiiiDpT3_
	.p2align	8
	.type	_ZL11k_bin_bcastIXadL_ZL6op_mulffEE6__halfffJPKfS2_S2_S2_S2_S2_S2_S2_EEvPKT0_PKT1_PT2_iii15HIP_vector_typeIjLj3EESC_SC_SC_SC_iiiiiiiiiiiDpT3_,@function
_ZL11k_bin_bcastIXadL_ZL6op_mulffEE6__halfffJPKfS2_S2_S2_S2_S2_S2_S2_EEvPKT0_PKT1_PT2_iii15HIP_vector_typeIjLj3EESC_SC_SC_SC_iiiiiiiiiiiDpT3_: ; @_ZL11k_bin_bcastIXadL_ZL6op_mulffEE6__halfffJPKfS2_S2_S2_S2_S2_S2_S2_EEvPKT0_PKT1_PT2_iii15HIP_vector_typeIjLj3EESC_SC_SC_SC_iiiiiiiiiiiDpT3_
; %bb.0:
	s_load_b64 s[2:3], s[0:1], 0xdc
	s_bfe_u32 s5, ttmp6, 0x40014
	s_bfe_u32 s8, ttmp6, 0x40010
	;; [unrolled: 1-line block ×3, first 2 shown]
	s_lshr_b32 s4, ttmp7, 16
	s_add_co_i32 s5, s5, 1
	s_and_b32 s7, ttmp7, 0xffff
	s_load_b256 s[20:27], s[0:1], 0x18
	s_add_co_i32 s8, s8, 1
	s_add_co_i32 s11, s11, 1
	s_bfe_u32 s6, ttmp6, 0x40008
	s_mul_i32 s5, s4, s5
	s_bfe_u32 s9, ttmp6, 0x40004
	s_and_b32 s10, ttmp6, 15
	s_mul_i32 s8, s7, s8
	s_mul_i32 s11, ttmp9, s11
	s_add_co_i32 s6, s6, s5
	s_add_co_i32 s9, s9, s8
	;; [unrolled: 1-line block ×3, first 2 shown]
	v_bfe_u32 v1, v0, 20, 10
	s_wait_kmcnt 0x0
	s_lshr_b32 s5, s2, 16
	s_and_b32 s28, s2, 0xffff
	s_getreg_b32 s2, hwreg(HW_REG_IB_STS2, 6, 4)
	s_and_b32 s3, s3, 0xffff
	s_cmp_eq_u32 s2, 0
	v_and_b32_e32 v2, 0x3ff, v0
	s_cselect_b32 s2, s4, s6
	v_bfe_u32 v4, v0, 10, 10
	v_mad_u32 v3, s2, s3, v1
	s_cselect_b32 s2, ttmp9, s10
	s_cselect_b32 s3, s7, s9
	v_mad_u32 v0, s2, s28, v2
	v_mad_u32 v2, s3, s5, v4
	s_delay_alu instid0(VALU_DEP_3) | instskip(NEXT) | instid1(VALU_DEP_3)
	v_mul_hi_u32 v1, v3, s23
	v_cmp_gt_u32_e32 vcc_lo, s20, v0
	s_delay_alu instid0(VALU_DEP_3) | instskip(SKIP_2) | instid1(VALU_DEP_1)
	v_cmp_gt_u32_e64 s2, s21, v2
	s_and_b32 s2, vcc_lo, s2
	v_add_nc_u32_e32 v1, v3, v1
	v_lshrrev_b32_e32 v1, s24, v1
	s_delay_alu instid0(VALU_DEP_1) | instskip(SKIP_3) | instid1(VALU_DEP_1)
	v_mul_lo_u32 v5, v1, s25
	v_cmp_gt_u32_e64 s3, s22, v1
	s_and_b32 s2, s2, s3
	v_sub_nc_u32_e32 v3, v3, v5
	v_cmp_gt_u32_e64 s4, s25, v3
	s_and_b32 s2, s2, s4
	s_delay_alu instid0(SALU_CYCLE_1)
	s_and_saveexec_b32 s3, s2
	s_cbranch_execz .LBB151_6
; %bb.1:
	v_cmp_gt_i32_e32 vcc_lo, s20, v0
	s_and_b32 exec_lo, exec_lo, vcc_lo
	s_cbranch_execz .LBB151_6
; %bb.2:
	s_clause 0x4
	s_load_b256 s[4:11], s[0:1], 0x3c
	s_load_b32 s2, s[0:1], 0x5c
	s_load_b256 s[36:43], s[0:1], 0x60
	s_load_b96 s[44:46], s[0:1], 0x80
	s_load_b64 s[22:23], s[0:1], 0x10
	s_wait_kmcnt 0x0
	v_mul_hi_u32 v4, s10, v3
	v_mul_hi_u32 v5, s7, v1
	;; [unrolled: 1-line block ×3, first 2 shown]
	v_mul_lo_u32 v7, v2, s40
	v_mul_lo_u32 v8, v2, s36
	s_delay_alu instid0(VALU_DEP_4) | instskip(NEXT) | instid1(VALU_DEP_3)
	v_dual_add_nc_u32 v4, v3, v4 :: v_dual_add_nc_u32 v5, v1, v5
	v_mad_u32 v7, v1, s41, v7
	s_delay_alu instid0(VALU_DEP_3) | instskip(NEXT) | instid1(VALU_DEP_3)
	v_mad_u32 v8, v1, s37, v8
	v_dual_lshrrev_b32 v4, s11, v4 :: v_dual_lshrrev_b32 v5, s8, v5
	s_delay_alu instid0(VALU_DEP_1) | instskip(SKIP_1) | instid1(VALU_DEP_3)
	v_mul_lo_u32 v4, v4, s2
	v_add_nc_u32_e32 v6, v2, v6
	v_mul_lo_u32 v5, v5, s9
	s_load_b64 s[2:3], s[0:1], 0x0
	v_mad_u32 v8, v3, s38, v8
	s_delay_alu instid0(VALU_DEP_3) | instskip(NEXT) | instid1(VALU_DEP_3)
	v_dual_sub_nc_u32 v4, v3, v4 :: v_dual_lshrrev_b32 v6, s5, v6
	v_sub_nc_u32_e32 v5, v1, v5
	s_add_nc_u64 s[4:5], s[0:1], 0xd0
	s_load_b32 s21, s[4:5], 0x0
	s_load_b32 s24, s[0:1], 0x38
	v_mul_lo_u32 v9, v4, s46
	v_mul_lo_u32 v6, v6, s6
	v_mad_u32 v4, v3, s42, v7
	s_wait_xcnt 0x0
	s_load_b512 s[4:19], s[0:1], 0x90
	v_mov_b32_e32 v1, 0
	s_wait_xcnt 0x0
	s_mov_b32 s1, 0
	s_wait_kmcnt 0x0
	s_cmp_lg_u64 s[2:3], 0
	s_mov_b32 s0, s26
	v_mad_u32 v7, v5, s45, v9
	v_sub_nc_u32_e32 v2, v2, v6
	v_mul_lo_u32 v6, s39, v0
	v_dual_mov_b32 v5, v1 :: v_dual_mov_b32 v9, v1
	v_mov_b32_e32 v3, v1
	s_delay_alu instid0(VALU_DEP_2) | instskip(NEXT) | instid1(VALU_DEP_3)
	v_lshl_add_u64 v[4:5], v[4:5], 1, s[2:3]
	v_lshl_add_u64 v[8:9], v[8:9], 2, s[22:23]
	s_mul_i32 s2, s21, s28
	v_mad_u32 v2, v2, s44, v7
	s_cselect_b32 s3, -1, 0
	s_mul_i32 s21, s2, s39
	s_sub_co_i32 s22, 0, s24
	s_mov_b32 s23, s1
	s_branch .LBB151_4
.LBB151_3:                              ;   in Loop: Header=BB151_4 Depth=1
	s_wait_xcnt 0x0
	v_mul_u64_e32 v[10:11], s[0:1], v[0:1]
	s_delay_alu instid0(VALU_DEP_1) | instskip(NEXT) | instid1(VALU_DEP_1)
	v_dual_add_nc_u32 v6, s21, v6 :: v_dual_add_nc_u32 v10, v0, v11
	v_dual_mov_b32 v11, v1 :: v_dual_lshrrev_b32 v10, s27, v10
	s_delay_alu instid0(VALU_DEP_1) | instskip(NEXT) | instid1(VALU_DEP_1)
	v_mad_u32 v10, s22, v10, v0
	v_mul_lo_u32 v10, v10, s43
	s_delay_alu instid0(VALU_DEP_1) | instskip(NEXT) | instid1(VALU_DEP_1)
	v_add_nc_u64_e32 v[10:11], v[10:11], v[2:3]
	v_lshlrev_b64_e32 v[10:11], 2, v[10:11]
	s_delay_alu instid0(VALU_DEP_1)
	v_add_nc_u64_e32 v[12:13], s[4:5], v[10:11]
	v_add_nc_u64_e32 v[14:15], s[6:7], v[10:11]
	global_load_b32 v16, v[12:13], off
	s_wait_xcnt 0x0
	v_add_nc_u64_e32 v[12:13], s[8:9], v[10:11]
	global_load_b32 v17, v[14:15], off
	s_wait_xcnt 0x0
	;; [unrolled: 3-line block ×5, first 2 shown]
	v_add_nc_u64_e32 v[12:13], s[16:17], v[10:11]
	global_load_b32 v14, v[14:15], off
	v_add_nc_u64_e32 v[10:11], s[18:19], v[10:11]
	global_load_b32 v15, v[12:13], off
	global_load_b32 v21, v[10:11], off
	s_wait_xcnt 0x0
	v_dual_mov_b32 v10, v0 :: v_dual_ashrrev_i32 v11, 31, v0
	v_add_nc_u32_e32 v0, s2, v0
	s_delay_alu instid0(VALU_DEP_2) | instskip(NEXT) | instid1(VALU_DEP_2)
	v_lshl_add_u64 v[10:11], v[10:11], 2, v[8:9]
	v_cmp_le_i32_e32 vcc_lo, s20, v0
	s_or_b32 s23, vcc_lo, s23
	s_wait_loadcnt 0x7
	v_mul_f32_e32 v7, v7, v16
	s_wait_loadcnt 0x6
	s_delay_alu instid0(VALU_DEP_1) | instskip(SKIP_1) | instid1(VALU_DEP_1)
	v_mul_f32_e32 v7, v7, v17
	s_wait_loadcnt 0x5
	v_mul_f32_e32 v7, v7, v18
	s_wait_loadcnt 0x4
	s_delay_alu instid0(VALU_DEP_1) | instskip(SKIP_1) | instid1(VALU_DEP_1)
	v_mul_f32_e32 v7, v7, v19
	s_wait_loadcnt 0x3
	v_mul_f32_e32 v7, v7, v20
	s_wait_loadcnt 0x2
	s_delay_alu instid0(VALU_DEP_1) | instskip(SKIP_1) | instid1(VALU_DEP_1)
	v_mul_f32_e32 v7, v7, v14
	s_wait_loadcnt 0x1
	v_mul_f32_e32 v7, v7, v15
	s_wait_loadcnt 0x0
	s_delay_alu instid0(VALU_DEP_1)
	v_mul_f32_e32 v7, v7, v21
	global_store_b32 v[10:11], v7, off
	s_wait_xcnt 0x0
	s_and_not1_b32 exec_lo, exec_lo, s23
	s_cbranch_execz .LBB151_6
.LBB151_4:                              ; =>This Inner Loop Header: Depth=1
	v_mov_b32_e32 v7, 0
	s_and_not1_b32 vcc_lo, exec_lo, s3
	s_cbranch_vccnz .LBB151_3
; %bb.5:                                ;   in Loop: Header=BB151_4 Depth=1
	v_ashrrev_i32_e32 v7, 31, v6
	s_delay_alu instid0(VALU_DEP_1)
	v_lshl_add_u64 v[10:11], v[6:7], 1, v[4:5]
	global_load_u16 v7, v[10:11], off
	s_wait_loadcnt 0x0
	v_cvt_f32_f16_e32 v7, v7
	s_branch .LBB151_3
.LBB151_6:
	s_endpgm
	.section	.rodata,"a",@progbits
	.p2align	6, 0x0
	.amdhsa_kernel _ZL11k_bin_bcastIXadL_ZL6op_mulffEE6__halfffJPKfS2_S2_S2_S2_S2_S2_S2_EEvPKT0_PKT1_PT2_iii15HIP_vector_typeIjLj3EESC_SC_SC_SC_iiiiiiiiiiiDpT3_
		.amdhsa_group_segment_fixed_size 0
		.amdhsa_private_segment_fixed_size 0
		.amdhsa_kernarg_size 464
		.amdhsa_user_sgpr_count 2
		.amdhsa_user_sgpr_dispatch_ptr 0
		.amdhsa_user_sgpr_queue_ptr 0
		.amdhsa_user_sgpr_kernarg_segment_ptr 1
		.amdhsa_user_sgpr_dispatch_id 0
		.amdhsa_user_sgpr_kernarg_preload_length 0
		.amdhsa_user_sgpr_kernarg_preload_offset 0
		.amdhsa_user_sgpr_private_segment_size 0
		.amdhsa_wavefront_size32 1
		.amdhsa_uses_dynamic_stack 0
		.amdhsa_enable_private_segment 0
		.amdhsa_system_sgpr_workgroup_id_x 1
		.amdhsa_system_sgpr_workgroup_id_y 1
		.amdhsa_system_sgpr_workgroup_id_z 1
		.amdhsa_system_sgpr_workgroup_info 0
		.amdhsa_system_vgpr_workitem_id 2
		.amdhsa_next_free_vgpr 22
		.amdhsa_next_free_sgpr 47
		.amdhsa_named_barrier_count 0
		.amdhsa_reserve_vcc 1
		.amdhsa_float_round_mode_32 0
		.amdhsa_float_round_mode_16_64 0
		.amdhsa_float_denorm_mode_32 3
		.amdhsa_float_denorm_mode_16_64 3
		.amdhsa_fp16_overflow 0
		.amdhsa_memory_ordered 1
		.amdhsa_forward_progress 1
		.amdhsa_inst_pref_size 9
		.amdhsa_round_robin_scheduling 0
		.amdhsa_exception_fp_ieee_invalid_op 0
		.amdhsa_exception_fp_denorm_src 0
		.amdhsa_exception_fp_ieee_div_zero 0
		.amdhsa_exception_fp_ieee_overflow 0
		.amdhsa_exception_fp_ieee_underflow 0
		.amdhsa_exception_fp_ieee_inexact 0
		.amdhsa_exception_int_div_zero 0
	.end_amdhsa_kernel
	.section	.text._ZL11k_bin_bcastIXadL_ZL6op_mulffEE6__halfffJPKfS2_S2_S2_S2_S2_S2_S2_EEvPKT0_PKT1_PT2_iii15HIP_vector_typeIjLj3EESC_SC_SC_SC_iiiiiiiiiiiDpT3_,"axG",@progbits,_ZL11k_bin_bcastIXadL_ZL6op_mulffEE6__halfffJPKfS2_S2_S2_S2_S2_S2_S2_EEvPKT0_PKT1_PT2_iii15HIP_vector_typeIjLj3EESC_SC_SC_SC_iiiiiiiiiiiDpT3_,comdat
.Lfunc_end151:
	.size	_ZL11k_bin_bcastIXadL_ZL6op_mulffEE6__halfffJPKfS2_S2_S2_S2_S2_S2_S2_EEvPKT0_PKT1_PT2_iii15HIP_vector_typeIjLj3EESC_SC_SC_SC_iiiiiiiiiiiDpT3_, .Lfunc_end151-_ZL11k_bin_bcastIXadL_ZL6op_mulffEE6__halfffJPKfS2_S2_S2_S2_S2_S2_S2_EEvPKT0_PKT1_PT2_iii15HIP_vector_typeIjLj3EESC_SC_SC_SC_iiiiiiiiiiiDpT3_
                                        ; -- End function
	.set _ZL11k_bin_bcastIXadL_ZL6op_mulffEE6__halfffJPKfS2_S2_S2_S2_S2_S2_S2_EEvPKT0_PKT1_PT2_iii15HIP_vector_typeIjLj3EESC_SC_SC_SC_iiiiiiiiiiiDpT3_.num_vgpr, 22
	.set _ZL11k_bin_bcastIXadL_ZL6op_mulffEE6__halfffJPKfS2_S2_S2_S2_S2_S2_S2_EEvPKT0_PKT1_PT2_iii15HIP_vector_typeIjLj3EESC_SC_SC_SC_iiiiiiiiiiiDpT3_.num_agpr, 0
	.set _ZL11k_bin_bcastIXadL_ZL6op_mulffEE6__halfffJPKfS2_S2_S2_S2_S2_S2_S2_EEvPKT0_PKT1_PT2_iii15HIP_vector_typeIjLj3EESC_SC_SC_SC_iiiiiiiiiiiDpT3_.numbered_sgpr, 47
	.set _ZL11k_bin_bcastIXadL_ZL6op_mulffEE6__halfffJPKfS2_S2_S2_S2_S2_S2_S2_EEvPKT0_PKT1_PT2_iii15HIP_vector_typeIjLj3EESC_SC_SC_SC_iiiiiiiiiiiDpT3_.num_named_barrier, 0
	.set _ZL11k_bin_bcastIXadL_ZL6op_mulffEE6__halfffJPKfS2_S2_S2_S2_S2_S2_S2_EEvPKT0_PKT1_PT2_iii15HIP_vector_typeIjLj3EESC_SC_SC_SC_iiiiiiiiiiiDpT3_.private_seg_size, 0
	.set _ZL11k_bin_bcastIXadL_ZL6op_mulffEE6__halfffJPKfS2_S2_S2_S2_S2_S2_S2_EEvPKT0_PKT1_PT2_iii15HIP_vector_typeIjLj3EESC_SC_SC_SC_iiiiiiiiiiiDpT3_.uses_vcc, 1
	.set _ZL11k_bin_bcastIXadL_ZL6op_mulffEE6__halfffJPKfS2_S2_S2_S2_S2_S2_S2_EEvPKT0_PKT1_PT2_iii15HIP_vector_typeIjLj3EESC_SC_SC_SC_iiiiiiiiiiiDpT3_.uses_flat_scratch, 0
	.set _ZL11k_bin_bcastIXadL_ZL6op_mulffEE6__halfffJPKfS2_S2_S2_S2_S2_S2_S2_EEvPKT0_PKT1_PT2_iii15HIP_vector_typeIjLj3EESC_SC_SC_SC_iiiiiiiiiiiDpT3_.has_dyn_sized_stack, 0
	.set _ZL11k_bin_bcastIXadL_ZL6op_mulffEE6__halfffJPKfS2_S2_S2_S2_S2_S2_S2_EEvPKT0_PKT1_PT2_iii15HIP_vector_typeIjLj3EESC_SC_SC_SC_iiiiiiiiiiiDpT3_.has_recursion, 0
	.set _ZL11k_bin_bcastIXadL_ZL6op_mulffEE6__halfffJPKfS2_S2_S2_S2_S2_S2_S2_EEvPKT0_PKT1_PT2_iii15HIP_vector_typeIjLj3EESC_SC_SC_SC_iiiiiiiiiiiDpT3_.has_indirect_call, 0
	.section	.AMDGPU.csdata,"",@progbits
; Kernel info:
; codeLenInByte = 1084
; TotalNumSgprs: 49
; NumVgprs: 22
; ScratchSize: 0
; MemoryBound: 0
; FloatMode: 240
; IeeeMode: 1
; LDSByteSize: 0 bytes/workgroup (compile time only)
; SGPRBlocks: 0
; VGPRBlocks: 1
; NumSGPRsForWavesPerEU: 49
; NumVGPRsForWavesPerEU: 22
; NamedBarCnt: 0
; Occupancy: 16
; WaveLimiterHint : 1
; COMPUTE_PGM_RSRC2:SCRATCH_EN: 0
; COMPUTE_PGM_RSRC2:USER_SGPR: 2
; COMPUTE_PGM_RSRC2:TRAP_HANDLER: 0
; COMPUTE_PGM_RSRC2:TGID_X_EN: 1
; COMPUTE_PGM_RSRC2:TGID_Y_EN: 1
; COMPUTE_PGM_RSRC2:TGID_Z_EN: 1
; COMPUTE_PGM_RSRC2:TIDIG_COMP_CNT: 2
	.section	.text._ZL13k_repeat_backIfEvPKT_PS0_llllmmmmllll,"axG",@progbits,_ZL13k_repeat_backIfEvPKT_PS0_llllmmmmllll,comdat
	.globl	_ZL13k_repeat_backIfEvPKT_PS0_llllmmmmllll ; -- Begin function _ZL13k_repeat_backIfEvPKT_PS0_llllmmmmllll
	.p2align	8
	.type	_ZL13k_repeat_backIfEvPKT_PS0_llllmmmmllll,@function
_ZL13k_repeat_backIfEvPKT_PS0_llllmmmmllll: ; @_ZL13k_repeat_backIfEvPKT_PS0_llllmmmmllll
; %bb.0:
	s_load_b64 s[4:5], s[0:1], 0x7c
	s_bfe_u32 s3, ttmp6, 0x40014
	s_lshr_b32 s2, ttmp7, 16
	s_add_co_i32 s3, s3, 1
	s_load_b256 s[24:31], s[0:1], 0x50
	s_bfe_u32 s6, ttmp6, 0x40008
	s_mul_i32 s3, s2, s3
	s_getreg_b32 s33, hwreg(HW_REG_IB_STS2, 6, 4)
	v_mov_b32_e32 v7, 0
	v_bfe_u32 v6, v0, 20, 10
	s_add_co_i32 s6, s6, s3
	s_wait_kmcnt 0x0
	s_and_b32 s3, s5, 0xffff
	s_cmp_eq_u32 s33, 0
	s_cselect_b32 s2, s2, s6
	s_delay_alu instid0(SALU_CYCLE_1) | instskip(SKIP_1) | instid1(VALU_DEP_1)
	v_mad_nc_u64_u32 v[2:3], s3, s2, v[6:7]
	s_mov_b32 s3, 0
	v_dual_mov_b32 v4, v7 :: v_dual_bitop2_b32 v5, s29, v3 bitop3:0x54
	s_delay_alu instid0(VALU_DEP_1) | instskip(SKIP_1) | instid1(SALU_CYCLE_1)
	v_cmp_ne_u64_e32 vcc_lo, 0, v[4:5]
                                        ; implicit-def: $vgpr4_vgpr5
	s_and_saveexec_b32 s2, vcc_lo
	s_xor_b32 s5, exec_lo, s2
	s_cbranch_execz .LBB152_2
; %bb.1:
	s_ashr_i32 s6, s29, 31
	v_dual_mov_b32 v11, v7 :: v_dual_ashrrev_i32 v4, 31, v3
	s_mov_b32 s7, s6
	v_mov_b32_e32 v17, v7
	s_add_nc_u64 s[8:9], s[28:29], s[6:7]
	s_delay_alu instid0(VALU_DEP_2) | instskip(SKIP_1) | instid1(SALU_CYCLE_1)
	v_mov_b32_e32 v5, v4
	s_xor_b64 s[8:9], s[8:9], s[6:7]
	s_cvt_f32_u32 s2, s8
	s_cvt_f32_u32 s7, s9
	s_sub_nc_u64 s[12:13], 0, s[8:9]
	v_add_nc_u64_e32 v[8:9], v[2:3], v[4:5]
	s_delay_alu instid0(SALU_CYCLE_1) | instskip(NEXT) | instid1(SALU_CYCLE_3)
	s_fmamk_f32 s2, s7, 0x4f800000, s2
	v_s_rcp_f32 s2, s2
	s_delay_alu instid0(VALU_DEP_1) | instskip(NEXT) | instid1(VALU_DEP_2)
	v_xor_b32_e32 v6, v8, v4
	v_xor_b32_e32 v10, v9, v4
	;; [unrolled: 1-line block ×3, first 2 shown]
	s_delay_alu instid0(TRANS32_DEP_1) | instskip(NEXT) | instid1(SALU_CYCLE_3)
	s_mul_f32 s2, s2, 0x5f7ffffc
	s_mul_f32 s7, s2, 0x2f800000
	s_delay_alu instid0(SALU_CYCLE_3) | instskip(NEXT) | instid1(SALU_CYCLE_3)
	s_trunc_f32 s7, s7
	s_fmamk_f32 s2, s7, 0xcf800000, s2
	s_cvt_u32_f32 s11, s7
	s_delay_alu instid0(SALU_CYCLE_2) | instskip(NEXT) | instid1(SALU_CYCLE_3)
	s_cvt_u32_f32 s10, s2
	s_mul_u64 s[14:15], s[12:13], s[10:11]
	s_delay_alu instid0(SALU_CYCLE_1)
	s_mul_hi_u32 s17, s10, s15
	s_mul_i32 s16, s10, s15
	s_mul_hi_u32 s2, s10, s14
	s_mul_i32 s18, s11, s14
	s_add_nc_u64 s[16:17], s[2:3], s[16:17]
	s_mul_hi_u32 s7, s11, s14
	s_mul_hi_u32 s19, s11, s15
	s_add_co_u32 s2, s16, s18
	s_add_co_ci_u32 s2, s17, s7
	s_mul_i32 s14, s11, s15
	s_add_co_ci_u32 s15, s19, 0
	s_delay_alu instid0(SALU_CYCLE_1) | instskip(NEXT) | instid1(SALU_CYCLE_1)
	s_add_nc_u64 s[14:15], s[2:3], s[14:15]
	s_add_co_u32 s10, s10, s14
	s_cselect_b32 s2, -1, 0
	s_delay_alu instid0(SALU_CYCLE_1) | instskip(SKIP_1) | instid1(SALU_CYCLE_1)
	s_cmp_lg_u32 s2, 0
	s_add_co_ci_u32 s11, s11, s15
	s_mul_u64 s[12:13], s[12:13], s[10:11]
	s_delay_alu instid0(SALU_CYCLE_1)
	s_mul_hi_u32 s15, s10, s13
	s_mul_i32 s14, s10, s13
	s_mul_hi_u32 s2, s10, s12
	s_mul_i32 s16, s11, s12
	s_add_nc_u64 s[14:15], s[2:3], s[14:15]
	s_mul_hi_u32 s7, s11, s12
	s_mul_hi_u32 s17, s11, s13
	s_add_co_u32 s2, s14, s16
	s_add_co_ci_u32 s2, s15, s7
	s_mul_i32 s12, s11, s13
	s_add_co_ci_u32 s13, s17, 0
	s_delay_alu instid0(SALU_CYCLE_1) | instskip(NEXT) | instid1(SALU_CYCLE_1)
	s_add_nc_u64 s[12:13], s[2:3], s[12:13]
	s_add_co_u32 s10, s10, s12
	s_cselect_b32 s2, -1, 0
	v_mul_hi_u32 v16, v6, s10
	s_cmp_lg_u32 s2, 0
	s_add_co_ci_u32 s2, s11, s13
	s_mov_b64 s[12:13], 0xffffffff
	v_mul_u64_e32 v[12:13], s[2:3], v[6:7]
	s_and_b64 s[12:13], s[10:11], s[12:13]
	v_mul_u64_e32 v[14:15], s[2:3], v[10:11]
	v_mul_u64_e32 v[8:9], s[12:13], v[10:11]
	s_delay_alu instid0(VALU_DEP_3) | instskip(NEXT) | instid1(VALU_DEP_1)
	v_add_nc_u64_e32 v[12:13], v[16:17], v[12:13]
	v_add_co_u32 v1, vcc_lo, v12, v8
	s_delay_alu instid0(VALU_DEP_2) | instskip(SKIP_1) | instid1(VALU_DEP_1)
	v_add_co_ci_u32_e32 v16, vcc_lo, v13, v9, vcc_lo
	v_add_co_ci_u32_e32 v15, vcc_lo, 0, v15, vcc_lo
	v_add_nc_u64_e32 v[8:9], v[16:17], v[14:15]
	s_delay_alu instid0(VALU_DEP_1) | instskip(NEXT) | instid1(VALU_DEP_1)
	v_mul_u64_e32 v[12:13], s[8:9], v[8:9]
	v_sub_nc_u32_e32 v1, v10, v13
	s_delay_alu instid0(VALU_DEP_2) | instskip(NEXT) | instid1(VALU_DEP_1)
	v_sub_co_u32 v5, vcc_lo, v6, v12
	v_sub_co_ci_u32_e64 v12, null, v10, v13, vcc_lo
	s_delay_alu instid0(VALU_DEP_3) | instskip(NEXT) | instid1(VALU_DEP_3)
	v_subrev_co_ci_u32_e64 v1, null, s9, v1, vcc_lo
	v_sub_co_u32 v6, s2, v5, s8
	v_add_nc_u64_e32 v[10:11], 1, v[8:9]
	s_delay_alu instid0(VALU_DEP_3) | instskip(NEXT) | instid1(VALU_DEP_3)
	v_subrev_co_ci_u32_e64 v1, null, 0, v1, s2
	v_cmp_le_u32_e32 vcc_lo, s8, v6
	v_cndmask_b32_e64 v6, 0, -1, vcc_lo
	s_delay_alu instid0(VALU_DEP_3)
	v_cmp_le_u32_e32 vcc_lo, s9, v1
	v_cndmask_b32_e64 v7, 0, -1, vcc_lo
	v_cmp_le_u32_e32 vcc_lo, s8, v5
	v_cndmask_b32_e64 v5, 0, -1, vcc_lo
	;; [unrolled: 2-line block ×3, first 2 shown]
	v_cmp_eq_u32_e32 vcc_lo, s9, v1
	v_cndmask_b32_e32 v1, v7, v6, vcc_lo
	v_cmp_eq_u32_e32 vcc_lo, s9, v12
	v_add_nc_u64_e32 v[6:7], 2, v[8:9]
	v_cndmask_b32_e32 v5, v13, v5, vcc_lo
	s_delay_alu instid0(VALU_DEP_4) | instskip(NEXT) | instid1(VALU_DEP_2)
	v_cmp_ne_u32_e32 vcc_lo, 0, v1
	v_cmp_ne_u32_e64 s2, 0, v5
	s_delay_alu instid0(VALU_DEP_4) | instskip(NEXT) | instid1(VALU_DEP_1)
	v_dual_cndmask_b32 v1, v11, v7, vcc_lo :: v_dual_cndmask_b32 v5, v10, v6, vcc_lo
	v_cndmask_b32_e64 v1, v9, v1, s2
	s_delay_alu instid0(VALU_DEP_2) | instskip(NEXT) | instid1(VALU_DEP_2)
	v_cndmask_b32_e64 v6, v8, v5, s2
	v_dual_mov_b32 v5, v4 :: v_dual_bitop2_b32 v7, v1, v4 bitop3:0x14
	s_delay_alu instid0(VALU_DEP_2) | instskip(NEXT) | instid1(VALU_DEP_1)
	v_xor_b32_e32 v6, v6, v4
	v_sub_nc_u64_e32 v[4:5], v[6:7], v[4:5]
.LBB152_2:
	s_and_not1_saveexec_b32 s2, s5
	s_cbranch_execz .LBB152_4
; %bb.3:
	v_cvt_f32_u32_e32 v1, s28
	s_sub_co_i32 s3, 0, s28
	s_delay_alu instid0(VALU_DEP_1) | instskip(SKIP_1) | instid1(TRANS32_DEP_1)
	v_rcp_iflag_f32_e32 v1, v1
	v_nop
	v_mul_f32_e32 v1, 0x4f7ffffe, v1
	s_delay_alu instid0(VALU_DEP_1) | instskip(NEXT) | instid1(VALU_DEP_1)
	v_cvt_u32_f32_e32 v1, v1
	v_mul_lo_u32 v4, s3, v1
	s_delay_alu instid0(VALU_DEP_1) | instskip(NEXT) | instid1(VALU_DEP_1)
	v_mul_hi_u32 v4, v1, v4
	v_add_nc_u32_e32 v1, v1, v4
	s_delay_alu instid0(VALU_DEP_1) | instskip(NEXT) | instid1(VALU_DEP_1)
	v_mul_hi_u32 v1, v2, v1
	v_mul_lo_u32 v4, v1, s28
	s_delay_alu instid0(VALU_DEP_1) | instskip(NEXT) | instid1(VALU_DEP_1)
	v_dual_add_nc_u32 v5, 1, v1 :: v_dual_sub_nc_u32 v4, v2, v4
	v_subrev_nc_u32_e32 v6, s28, v4
	v_cmp_le_u32_e32 vcc_lo, s28, v4
	s_delay_alu instid0(VALU_DEP_2) | instskip(NEXT) | instid1(VALU_DEP_1)
	v_dual_cndmask_b32 v4, v4, v6 :: v_dual_cndmask_b32 v1, v1, v5
	v_cmp_le_u32_e32 vcc_lo, s28, v4
	s_delay_alu instid0(VALU_DEP_2) | instskip(NEXT) | instid1(VALU_DEP_1)
	v_add_nc_u32_e32 v5, 1, v1
	v_dual_cndmask_b32 v4, v1, v5 :: v_dual_mov_b32 v5, 0
.LBB152_4:
	s_or_b32 exec_lo, exec_lo, s2
	s_bfe_u32 s2, ttmp6, 0x4000c
	s_and_b32 s3, ttmp6, 15
	s_add_co_i32 s2, s2, 1
	v_and_b32_e32 v8, 0x3ff, v0
	s_mul_i32 s2, ttmp9, s2
	v_mov_b32_e32 v9, 0
	s_and_b32 s5, s4, 0xffff
	s_add_co_i32 s3, s3, s2
	s_cmp_eq_u32 s33, 0
	s_cselect_b32 s2, ttmp9, s3
	s_delay_alu instid0(SALU_CYCLE_1) | instskip(SKIP_1) | instid1(VALU_DEP_1)
	v_mad_nc_u64_u32 v[6:7], s5, s2, v[8:9]
	s_mov_b32 s2, exec_lo
	v_cmpx_gt_i64_e64 s[24:25], v[6:7]
	s_cbranch_execz .LBB152_22
; %bb.5:
	s_bfe_u32 s2, ttmp6, 0x40010
	s_load_b512 s[8:23], s[0:1], 0x10
	s_and_b32 s3, ttmp7, 0xffff
	s_add_co_i32 s2, s2, 1
	s_bfe_u32 s5, ttmp6, 0x40004
	s_mul_i32 s2, s3, s2
	s_lshr_b32 s4, s4, 16
	v_bfe_u32 v8, v0, 10, 10
	s_add_co_i32 s5, s5, s2
	s_cmp_eq_u32 s33, 0
	s_cselect_b32 s2, s3, s5
	s_mov_b32 s5, exec_lo
	v_mad_nc_u64_u32 v[0:1], s4, s2, v[8:9]
	s_wait_kmcnt 0x0
	v_cmpx_gt_i64_e64 s[14:15], v[4:5]
	s_cbranch_execz .LBB152_21
; %bb.6:
	v_mul_u64_e32 v[8:9], s[28:29], v[4:5]
	v_mul_u64_e32 v[12:13], s[22:23], v[4:5]
	s_delay_alu instid0(VALU_DEP_4)
	v_mul_u64_e32 v[14:15], s[18:19], v[0:1]
	v_mul_u64_e32 v[16:17], s[16:17], v[6:7]
	s_load_b64 s[34:35], s[0:1], 0x0
	v_cmp_gt_i64_e64 s2, s[8:9], v[6:7]
	s_mul_u64 s[6:7], s[30:31], s[22:23]
	s_mul_u64 s[18:19], s[26:27], s[18:19]
	;; [unrolled: 1-line block ×3, first 2 shown]
	s_lshl_b64 s[6:7], s[6:7], 2
	s_lshl_b64 s[16:17], s[18:19], 2
	;; [unrolled: 1-line block ×3, first 2 shown]
	s_mov_b32 s22, 0
	v_cmp_gt_i64_e32 vcc_lo, s[10:11], v[0:1]
	v_sub_nc_u64_e32 v[10:11], v[2:3], v[8:9]
	s_delay_alu instid0(VALU_DEP_1) | instskip(SKIP_2) | instid1(SALU_CYCLE_1)
	v_mul_u64_e32 v[8:9], s[20:21], v[10:11]
	v_cmp_gt_i64_e64 s3, s[12:13], v[10:11]
	s_mul_u64 s[20:21], s[28:29], s[20:21]
	s_lshl_b64 s[20:21], s[20:21], 2
	v_lshlrev_b64_e32 v[8:9], 2, v[8:9]
	s_delay_alu instid0(VALU_DEP_1) | instskip(NEXT) | instid1(VALU_DEP_1)
	v_lshl_add_u64 v[8:9], v[12:13], 2, v[8:9]
	v_lshl_add_u64 v[8:9], v[14:15], 2, v[8:9]
	s_delay_alu instid0(VALU_DEP_1) | instskip(SKIP_1) | instid1(VALU_DEP_1)
	v_lshl_add_u64 v[8:9], v[16:17], 2, v[8:9]
	s_wait_kmcnt 0x0
	v_add_nc_u64_e32 v[12:13], s[34:35], v[8:9]
	v_mov_b32_e32 v9, 0
	s_branch .LBB152_9
.LBB152_7:                              ;   in Loop: Header=BB152_9 Depth=1
	s_or_b32 exec_lo, exec_lo, s33
.LBB152_8:                              ;   in Loop: Header=BB152_9 Depth=1
	s_delay_alu instid0(SALU_CYCLE_1) | instskip(SKIP_2) | instid1(VALU_DEP_2)
	s_or_b32 exec_lo, exec_lo, s23
	v_add_nc_u64_e32 v[4:5], s[30:31], v[4:5]
	v_add_nc_u64_e32 v[12:13], s[6:7], v[12:13]
	v_cmp_le_i64_e64 s4, s[14:15], v[4:5]
	s_or_b32 s22, s4, s22
	s_delay_alu instid0(SALU_CYCLE_1)
	s_and_not1_b32 exec_lo, exec_lo, s22
	s_cbranch_execz .LBB152_20
.LBB152_9:                              ; =>This Loop Header: Depth=1
                                        ;     Child Loop BB152_13 Depth 2
                                        ;       Child Loop BB152_16 Depth 3
                                        ;         Child Loop BB152_18 Depth 4
	s_and_saveexec_b32 s23, s3
	s_cbranch_execz .LBB152_8
; %bb.10:                               ;   in Loop: Header=BB152_9 Depth=1
	s_delay_alu instid0(VALU_DEP_2)
	v_mov_b64_e32 v[14:15], v[12:13]
	v_mov_b64_e32 v[16:17], v[10:11]
	s_mov_b32 s33, 0
	s_branch .LBB152_13
.LBB152_11:                             ;   in Loop: Header=BB152_13 Depth=2
	s_or_b32 exec_lo, exec_lo, s35
.LBB152_12:                             ;   in Loop: Header=BB152_13 Depth=2
	s_delay_alu instid0(SALU_CYCLE_1) | instskip(NEXT) | instid1(VALU_DEP_1)
	s_or_b32 exec_lo, exec_lo, s34
	v_add_nc_u64_e32 v[16:17], s[28:29], v[16:17]
	v_add_nc_u64_e32 v[14:15], s[20:21], v[14:15]
	s_delay_alu instid0(VALU_DEP_2) | instskip(SKIP_1) | instid1(SALU_CYCLE_1)
	v_cmp_le_i64_e64 s4, s[12:13], v[16:17]
	s_or_b32 s33, s4, s33
	s_and_not1_b32 exec_lo, exec_lo, s33
	s_cbranch_execz .LBB152_7
.LBB152_13:                             ;   Parent Loop BB152_9 Depth=1
                                        ; =>  This Loop Header: Depth=2
                                        ;       Child Loop BB152_16 Depth 3
                                        ;         Child Loop BB152_18 Depth 4
	s_and_saveexec_b32 s34, vcc_lo
	s_cbranch_execz .LBB152_12
; %bb.14:                               ;   in Loop: Header=BB152_13 Depth=2
	s_delay_alu instid0(VALU_DEP_2)
	v_mov_b64_e32 v[18:19], v[14:15]
	v_mov_b64_e32 v[20:21], v[0:1]
	s_mov_b32 s35, 0
	s_branch .LBB152_16
.LBB152_15:                             ;   in Loop: Header=BB152_16 Depth=3
	s_or_b32 exec_lo, exec_lo, s36
	s_delay_alu instid0(VALU_DEP_1) | instskip(SKIP_1) | instid1(VALU_DEP_2)
	v_add_nc_u64_e32 v[20:21], s[26:27], v[20:21]
	v_add_nc_u64_e32 v[18:19], s[16:17], v[18:19]
	v_cmp_le_i64_e64 s4, s[10:11], v[20:21]
	s_or_b32 s35, s4, s35
	s_delay_alu instid0(SALU_CYCLE_1)
	s_and_not1_b32 exec_lo, exec_lo, s35
	s_cbranch_execz .LBB152_11
.LBB152_16:                             ;   Parent Loop BB152_9 Depth=1
                                        ;     Parent Loop BB152_13 Depth=2
                                        ; =>    This Loop Header: Depth=3
                                        ;         Child Loop BB152_18 Depth 4
	s_and_saveexec_b32 s36, s2
	s_cbranch_execz .LBB152_15
; %bb.17:                               ;   in Loop: Header=BB152_16 Depth=3
	s_delay_alu instid0(VALU_DEP_2)
	v_mov_b64_e32 v[22:23], v[18:19]
	v_mov_b64_e32 v[24:25], v[6:7]
	s_mov_b32 s37, 0
.LBB152_18:                             ;   Parent Loop BB152_9 Depth=1
                                        ;     Parent Loop BB152_13 Depth=2
                                        ;       Parent Loop BB152_16 Depth=3
                                        ; =>      This Inner Loop Header: Depth=4
	global_load_b32 v8, v[22:23], off
	v_add_nc_u64_e32 v[24:25], s[24:25], v[24:25]
	s_wait_xcnt 0x0
	v_add_nc_u64_e32 v[22:23], s[18:19], v[22:23]
	s_delay_alu instid0(VALU_DEP_2)
	v_cmp_le_i64_e64 s4, s[8:9], v[24:25]
	s_or_b32 s37, s4, s37
	s_wait_loadcnt 0x0
	v_add_f32_e32 v9, v9, v8
	s_and_not1_b32 exec_lo, exec_lo, s37
	s_cbranch_execnz .LBB152_18
; %bb.19:                               ;   in Loop: Header=BB152_16 Depth=3
	s_or_b32 exec_lo, exec_lo, s37
	s_branch .LBB152_15
.LBB152_20:
	s_or_b32 exec_lo, exec_lo, s22
.LBB152_21:
	s_delay_alu instid0(SALU_CYCLE_1) | instskip(NEXT) | instid1(VALU_DEP_2)
	s_or_b32 exec_lo, exec_lo, s5
	v_mad_nc_u64_u32 v[0:1], v2, s26, v[0:1]
	s_load_b64 s[0:1], s[0:1], 0x8
	s_delay_alu instid0(VALU_DEP_1) | instskip(NEXT) | instid1(VALU_DEP_1)
	v_mad_u32 v1, v3, s26, v1
	v_mad_u32 v1, v2, s27, v1
	s_delay_alu instid0(VALU_DEP_1) | instskip(SKIP_1) | instid1(VALU_DEP_1)
	v_mul_u64_e32 v[0:1], s[24:25], v[0:1]
	s_wait_kmcnt 0x0
	v_lshl_add_u64 v[0:1], v[0:1], 2, s[0:1]
	s_delay_alu instid0(VALU_DEP_1)
	v_lshl_add_u64 v[0:1], v[6:7], 2, v[0:1]
	global_store_b32 v[0:1], v9, off
.LBB152_22:
	s_endpgm
	.section	.rodata,"a",@progbits
	.p2align	6, 0x0
	.amdhsa_kernel _ZL13k_repeat_backIfEvPKT_PS0_llllmmmmllll
		.amdhsa_group_segment_fixed_size 0
		.amdhsa_private_segment_fixed_size 0
		.amdhsa_kernarg_size 368
		.amdhsa_user_sgpr_count 2
		.amdhsa_user_sgpr_dispatch_ptr 0
		.amdhsa_user_sgpr_queue_ptr 0
		.amdhsa_user_sgpr_kernarg_segment_ptr 1
		.amdhsa_user_sgpr_dispatch_id 0
		.amdhsa_user_sgpr_kernarg_preload_length 0
		.amdhsa_user_sgpr_kernarg_preload_offset 0
		.amdhsa_user_sgpr_private_segment_size 0
		.amdhsa_wavefront_size32 1
		.amdhsa_uses_dynamic_stack 0
		.amdhsa_enable_private_segment 0
		.amdhsa_system_sgpr_workgroup_id_x 1
		.amdhsa_system_sgpr_workgroup_id_y 1
		.amdhsa_system_sgpr_workgroup_id_z 1
		.amdhsa_system_sgpr_workgroup_info 0
		.amdhsa_system_vgpr_workitem_id 2
		.amdhsa_next_free_vgpr 26
		.amdhsa_next_free_sgpr 38
		.amdhsa_named_barrier_count 0
		.amdhsa_reserve_vcc 1
		.amdhsa_float_round_mode_32 0
		.amdhsa_float_round_mode_16_64 0
		.amdhsa_float_denorm_mode_32 3
		.amdhsa_float_denorm_mode_16_64 3
		.amdhsa_fp16_overflow 0
		.amdhsa_memory_ordered 1
		.amdhsa_forward_progress 1
		.amdhsa_inst_pref_size 13
		.amdhsa_round_robin_scheduling 0
		.amdhsa_exception_fp_ieee_invalid_op 0
		.amdhsa_exception_fp_denorm_src 0
		.amdhsa_exception_fp_ieee_div_zero 0
		.amdhsa_exception_fp_ieee_overflow 0
		.amdhsa_exception_fp_ieee_underflow 0
		.amdhsa_exception_fp_ieee_inexact 0
		.amdhsa_exception_int_div_zero 0
	.end_amdhsa_kernel
	.section	.text._ZL13k_repeat_backIfEvPKT_PS0_llllmmmmllll,"axG",@progbits,_ZL13k_repeat_backIfEvPKT_PS0_llllmmmmllll,comdat
.Lfunc_end152:
	.size	_ZL13k_repeat_backIfEvPKT_PS0_llllmmmmllll, .Lfunc_end152-_ZL13k_repeat_backIfEvPKT_PS0_llllmmmmllll
                                        ; -- End function
	.set _ZL13k_repeat_backIfEvPKT_PS0_llllmmmmllll.num_vgpr, 26
	.set _ZL13k_repeat_backIfEvPKT_PS0_llllmmmmllll.num_agpr, 0
	.set _ZL13k_repeat_backIfEvPKT_PS0_llllmmmmllll.numbered_sgpr, 38
	.set _ZL13k_repeat_backIfEvPKT_PS0_llllmmmmllll.num_named_barrier, 0
	.set _ZL13k_repeat_backIfEvPKT_PS0_llllmmmmllll.private_seg_size, 0
	.set _ZL13k_repeat_backIfEvPKT_PS0_llllmmmmllll.uses_vcc, 1
	.set _ZL13k_repeat_backIfEvPKT_PS0_llllmmmmllll.uses_flat_scratch, 0
	.set _ZL13k_repeat_backIfEvPKT_PS0_llllmmmmllll.has_dyn_sized_stack, 0
	.set _ZL13k_repeat_backIfEvPKT_PS0_llllmmmmllll.has_recursion, 0
	.set _ZL13k_repeat_backIfEvPKT_PS0_llllmmmmllll.has_indirect_call, 0
	.section	.AMDGPU.csdata,"",@progbits
; Kernel info:
; codeLenInByte = 1540
; TotalNumSgprs: 40
; NumVgprs: 26
; ScratchSize: 0
; MemoryBound: 0
; FloatMode: 240
; IeeeMode: 1
; LDSByteSize: 0 bytes/workgroup (compile time only)
; SGPRBlocks: 0
; VGPRBlocks: 1
; NumSGPRsForWavesPerEU: 40
; NumVGPRsForWavesPerEU: 26
; NamedBarCnt: 0
; Occupancy: 16
; WaveLimiterHint : 0
; COMPUTE_PGM_RSRC2:SCRATCH_EN: 0
; COMPUTE_PGM_RSRC2:USER_SGPR: 2
; COMPUTE_PGM_RSRC2:TRAP_HANDLER: 0
; COMPUTE_PGM_RSRC2:TGID_X_EN: 1
; COMPUTE_PGM_RSRC2:TGID_Y_EN: 1
; COMPUTE_PGM_RSRC2:TGID_Z_EN: 1
; COMPUTE_PGM_RSRC2:TIDIG_COMP_CNT: 2
	.section	.AMDGPU.gpr_maximums,"",@progbits
	.set amdgpu.max_num_vgpr, 0
	.set amdgpu.max_num_agpr, 0
	.set amdgpu.max_num_sgpr, 0
	.section	.AMDGPU.csdata,"",@progbits
	.type	__hip_cuid_ac84c6b2527a3927,@object ; @__hip_cuid_ac84c6b2527a3927
	.section	.bss,"aw",@nobits
	.globl	__hip_cuid_ac84c6b2527a3927
__hip_cuid_ac84c6b2527a3927:
	.byte	0                               ; 0x0
	.size	__hip_cuid_ac84c6b2527a3927, 1

	.ident	"AMD clang version 22.0.0git (https://github.com/RadeonOpenCompute/llvm-project roc-7.2.4 26084 f58b06dce1f9c15707c5f808fd002e18c2accf7e)"
	.section	".note.GNU-stack","",@progbits
	.addrsig
	.addrsig_sym __hip_cuid_ac84c6b2527a3927
	.amdgpu_metadata
---
amdhsa.kernels:
  - .args:
      - .address_space:  global
        .offset:         0
        .size:           8
        .value_kind:     global_buffer
      - .address_space:  global
        .offset:         8
        .size:           8
        .value_kind:     global_buffer
      - .address_space:  global
        .offset:         16
        .size:           8
        .value_kind:     global_buffer
      - .offset:         24
        .size:           12
        .value_kind:     by_value
      - .offset:         36
        .size:           12
        .value_kind:     by_value
      - .offset:         48
        .size:           12
        .value_kind:     by_value
      - .offset:         60
        .size:           4
        .value_kind:     by_value
      - .offset:         64
        .size:           12
        .value_kind:     by_value
      - .offset:         76
        .size:           12
        .value_kind:     by_value
      - .offset:         88
        .size:           12
        .value_kind:     by_value
      - .offset:         100
        .size:           12
        .value_kind:     by_value
      - .offset:         112
        .size:           12
        .value_kind:     by_value
      - .offset:         124
        .size:           12
        .value_kind:     by_value
      - .offset:         136
        .size:           4
        .value_kind:     by_value
      - .offset:         140
        .size:           4
        .value_kind:     by_value
      - .offset:         144
        .size:           4
        .value_kind:     by_value
      - .offset:         148
        .size:           4
        .value_kind:     by_value
      - .offset:         152
        .size:           4
        .value_kind:     by_value
      - .offset:         156
        .size:           4
        .value_kind:     by_value
      - .offset:         160
        .size:           4
        .value_kind:     by_value
      - .offset:         164
        .size:           4
        .value_kind:     by_value
      - .offset:         168
        .size:           4
        .value_kind:     by_value
      - .offset:         172
        .size:           4
        .value_kind:     by_value
      - .offset:         176
        .size:           4
        .value_kind:     by_value
      - .offset:         184
        .size:           4
        .value_kind:     hidden_block_count_x
      - .offset:         188
        .size:           4
        .value_kind:     hidden_block_count_y
      - .offset:         192
        .size:           4
        .value_kind:     hidden_block_count_z
      - .offset:         196
        .size:           2
        .value_kind:     hidden_group_size_x
      - .offset:         198
        .size:           2
        .value_kind:     hidden_group_size_y
      - .offset:         200
        .size:           2
        .value_kind:     hidden_group_size_z
      - .offset:         202
        .size:           2
        .value_kind:     hidden_remainder_x
      - .offset:         204
        .size:           2
        .value_kind:     hidden_remainder_y
      - .offset:         206
        .size:           2
        .value_kind:     hidden_remainder_z
      - .offset:         224
        .size:           8
        .value_kind:     hidden_global_offset_x
      - .offset:         232
        .size:           8
        .value_kind:     hidden_global_offset_y
      - .offset:         240
        .size:           8
        .value_kind:     hidden_global_offset_z
      - .offset:         248
        .size:           2
        .value_kind:     hidden_grid_dims
    .group_segment_fixed_size: 0
    .kernarg_segment_align: 8
    .kernarg_segment_size: 440
    .language:       OpenCL C
    .language_version:
      - 2
      - 0
    .max_flat_workgroup_size: 1024
    .name:           _ZL19k_bin_bcast_unravelIXadL_ZL9op_repeatffEEfffJEEvPKT0_PKT1_PT2_15HIP_vector_typeIjLj3EES9_S9_jS9_S9_S9_S9_S9_S9_iiiiiiiiiiiDpT3_
    .private_segment_fixed_size: 0
    .sgpr_count:     22
    .sgpr_spill_count: 0
    .symbol:         _ZL19k_bin_bcast_unravelIXadL_ZL9op_repeatffEEfffJEEvPKT0_PKT1_PT2_15HIP_vector_typeIjLj3EES9_S9_jS9_S9_S9_S9_S9_S9_iiiiiiiiiiiDpT3_.kd
    .uniform_work_group_size: 1
    .uses_dynamic_stack: false
    .vgpr_count:     10
    .vgpr_spill_count: 0
    .wavefront_size: 32
  - .args:
      - .address_space:  global
        .offset:         0
        .size:           8
        .value_kind:     global_buffer
      - .address_space:  global
        .offset:         8
        .size:           8
        .value_kind:     global_buffer
      - .address_space:  global
        .offset:         16
        .size:           8
        .value_kind:     global_buffer
      - .offset:         24
        .size:           4
        .value_kind:     by_value
      - .offset:         28
        .size:           4
        .value_kind:     by_value
      - .offset:         32
        .size:           4
        .value_kind:     by_value
      - .offset:         36
        .size:           12
        .value_kind:     by_value
      - .offset:         48
        .size:           12
        .value_kind:     by_value
      - .offset:         60
        .size:           12
        .value_kind:     by_value
      - .offset:         72
        .size:           12
        .value_kind:     by_value
      - .offset:         84
        .size:           12
        .value_kind:     by_value
      - .offset:         96
        .size:           4
        .value_kind:     by_value
      - .offset:         100
        .size:           4
        .value_kind:     by_value
      - .offset:         104
        .size:           4
        .value_kind:     by_value
      - .offset:         108
        .size:           4
        .value_kind:     by_value
      - .offset:         112
        .size:           4
        .value_kind:     by_value
      - .offset:         116
        .size:           4
        .value_kind:     by_value
      - .offset:         120
        .size:           4
        .value_kind:     by_value
      - .offset:         124
        .size:           4
        .value_kind:     by_value
      - .offset:         128
        .size:           4
        .value_kind:     by_value
      - .offset:         132
        .size:           4
        .value_kind:     by_value
      - .offset:         136
        .size:           4
        .value_kind:     by_value
      - .offset:         144
        .size:           4
        .value_kind:     hidden_block_count_x
      - .offset:         148
        .size:           4
        .value_kind:     hidden_block_count_y
      - .offset:         152
        .size:           4
        .value_kind:     hidden_block_count_z
      - .offset:         156
        .size:           2
        .value_kind:     hidden_group_size_x
      - .offset:         158
        .size:           2
        .value_kind:     hidden_group_size_y
      - .offset:         160
        .size:           2
        .value_kind:     hidden_group_size_z
      - .offset:         162
        .size:           2
        .value_kind:     hidden_remainder_x
      - .offset:         164
        .size:           2
        .value_kind:     hidden_remainder_y
      - .offset:         166
        .size:           2
        .value_kind:     hidden_remainder_z
      - .offset:         184
        .size:           8
        .value_kind:     hidden_global_offset_x
      - .offset:         192
        .size:           8
        .value_kind:     hidden_global_offset_y
      - .offset:         200
        .size:           8
        .value_kind:     hidden_global_offset_z
      - .offset:         208
        .size:           2
        .value_kind:     hidden_grid_dims
    .group_segment_fixed_size: 0
    .kernarg_segment_align: 8
    .kernarg_segment_size: 400
    .language:       OpenCL C
    .language_version:
      - 2
      - 0
    .max_flat_workgroup_size: 1024
    .name:           _ZL11k_bin_bcastIXadL_ZL9op_repeatffEEfffJEEvPKT0_PKT1_PT2_iii15HIP_vector_typeIjLj3EES9_S9_S9_S9_iiiiiiiiiiiDpT3_
    .private_segment_fixed_size: 0
    .sgpr_count:     33
    .sgpr_spill_count: 0
    .symbol:         _ZL11k_bin_bcastIXadL_ZL9op_repeatffEEfffJEEvPKT0_PKT1_PT2_iii15HIP_vector_typeIjLj3EES9_S9_S9_S9_iiiiiiiiiiiDpT3_.kd
    .uniform_work_group_size: 1
    .uses_dynamic_stack: false
    .vgpr_count:     9
    .vgpr_spill_count: 0
    .wavefront_size: 32
  - .args:
      - .address_space:  global
        .offset:         0
        .size:           8
        .value_kind:     global_buffer
      - .address_space:  global
        .offset:         8
        .size:           8
        .value_kind:     global_buffer
      - .address_space:  global
        .offset:         16
        .size:           8
        .value_kind:     global_buffer
      - .offset:         24
        .size:           12
        .value_kind:     by_value
      - .offset:         36
        .size:           12
        .value_kind:     by_value
      - .offset:         48
        .size:           12
        .value_kind:     by_value
      - .offset:         60
        .size:           4
        .value_kind:     by_value
      - .offset:         64
        .size:           12
        .value_kind:     by_value
      - .offset:         76
        .size:           12
        .value_kind:     by_value
      - .offset:         88
        .size:           12
        .value_kind:     by_value
      - .offset:         100
        .size:           12
        .value_kind:     by_value
      - .offset:         112
        .size:           12
        .value_kind:     by_value
      - .offset:         124
        .size:           12
        .value_kind:     by_value
      - .offset:         136
        .size:           4
        .value_kind:     by_value
      - .offset:         140
        .size:           4
        .value_kind:     by_value
      - .offset:         144
        .size:           4
        .value_kind:     by_value
      - .offset:         148
        .size:           4
        .value_kind:     by_value
      - .offset:         152
        .size:           4
        .value_kind:     by_value
      - .offset:         156
        .size:           4
        .value_kind:     by_value
      - .offset:         160
        .size:           4
        .value_kind:     by_value
      - .offset:         164
        .size:           4
        .value_kind:     by_value
      - .offset:         168
        .size:           4
        .value_kind:     by_value
      - .offset:         172
        .size:           4
        .value_kind:     by_value
      - .offset:         176
        .size:           4
        .value_kind:     by_value
      - .offset:         184
        .size:           4
        .value_kind:     hidden_block_count_x
      - .offset:         188
        .size:           4
        .value_kind:     hidden_block_count_y
      - .offset:         192
        .size:           4
        .value_kind:     hidden_block_count_z
      - .offset:         196
        .size:           2
        .value_kind:     hidden_group_size_x
      - .offset:         198
        .size:           2
        .value_kind:     hidden_group_size_y
      - .offset:         200
        .size:           2
        .value_kind:     hidden_group_size_z
      - .offset:         202
        .size:           2
        .value_kind:     hidden_remainder_x
      - .offset:         204
        .size:           2
        .value_kind:     hidden_remainder_y
      - .offset:         206
        .size:           2
        .value_kind:     hidden_remainder_z
      - .offset:         224
        .size:           8
        .value_kind:     hidden_global_offset_x
      - .offset:         232
        .size:           8
        .value_kind:     hidden_global_offset_y
      - .offset:         240
        .size:           8
        .value_kind:     hidden_global_offset_z
      - .offset:         248
        .size:           2
        .value_kind:     hidden_grid_dims
    .group_segment_fixed_size: 0
    .kernarg_segment_align: 8
    .kernarg_segment_size: 440
    .language:       OpenCL C
    .language_version:
      - 2
      - 0
    .max_flat_workgroup_size: 1024
    .name:           _ZL19k_bin_bcast_unravelIXadL_ZL9op_repeatffEE6__halfS0_S0_JEEvPKT0_PKT1_PT2_15HIP_vector_typeIjLj3EESA_SA_jSA_SA_SA_SA_SA_SA_iiiiiiiiiiiDpT3_
    .private_segment_fixed_size: 0
    .sgpr_count:     22
    .sgpr_spill_count: 0
    .symbol:         _ZL19k_bin_bcast_unravelIXadL_ZL9op_repeatffEE6__halfS0_S0_JEEvPKT0_PKT1_PT2_15HIP_vector_typeIjLj3EESA_SA_jSA_SA_SA_SA_SA_SA_iiiiiiiiiiiDpT3_.kd
    .uniform_work_group_size: 1
    .uses_dynamic_stack: false
    .vgpr_count:     10
    .vgpr_spill_count: 0
    .wavefront_size: 32
  - .args:
      - .address_space:  global
        .offset:         0
        .size:           8
        .value_kind:     global_buffer
      - .address_space:  global
        .offset:         8
        .size:           8
        .value_kind:     global_buffer
      - .address_space:  global
        .offset:         16
        .size:           8
        .value_kind:     global_buffer
      - .offset:         24
        .size:           4
        .value_kind:     by_value
      - .offset:         28
        .size:           4
        .value_kind:     by_value
      - .offset:         32
        .size:           4
        .value_kind:     by_value
      - .offset:         36
        .size:           12
        .value_kind:     by_value
      - .offset:         48
        .size:           12
        .value_kind:     by_value
      - .offset:         60
        .size:           12
        .value_kind:     by_value
      - .offset:         72
        .size:           12
        .value_kind:     by_value
      - .offset:         84
        .size:           12
        .value_kind:     by_value
      - .offset:         96
        .size:           4
        .value_kind:     by_value
      - .offset:         100
        .size:           4
        .value_kind:     by_value
      - .offset:         104
        .size:           4
        .value_kind:     by_value
      - .offset:         108
        .size:           4
        .value_kind:     by_value
      - .offset:         112
        .size:           4
        .value_kind:     by_value
      - .offset:         116
        .size:           4
        .value_kind:     by_value
      - .offset:         120
        .size:           4
        .value_kind:     by_value
      - .offset:         124
        .size:           4
        .value_kind:     by_value
      - .offset:         128
        .size:           4
        .value_kind:     by_value
      - .offset:         132
        .size:           4
        .value_kind:     by_value
      - .offset:         136
        .size:           4
        .value_kind:     by_value
      - .offset:         144
        .size:           4
        .value_kind:     hidden_block_count_x
      - .offset:         148
        .size:           4
        .value_kind:     hidden_block_count_y
      - .offset:         152
        .size:           4
        .value_kind:     hidden_block_count_z
      - .offset:         156
        .size:           2
        .value_kind:     hidden_group_size_x
      - .offset:         158
        .size:           2
        .value_kind:     hidden_group_size_y
      - .offset:         160
        .size:           2
        .value_kind:     hidden_group_size_z
      - .offset:         162
        .size:           2
        .value_kind:     hidden_remainder_x
      - .offset:         164
        .size:           2
        .value_kind:     hidden_remainder_y
      - .offset:         166
        .size:           2
        .value_kind:     hidden_remainder_z
      - .offset:         184
        .size:           8
        .value_kind:     hidden_global_offset_x
      - .offset:         192
        .size:           8
        .value_kind:     hidden_global_offset_y
      - .offset:         200
        .size:           8
        .value_kind:     hidden_global_offset_z
      - .offset:         208
        .size:           2
        .value_kind:     hidden_grid_dims
    .group_segment_fixed_size: 0
    .kernarg_segment_align: 8
    .kernarg_segment_size: 400
    .language:       OpenCL C
    .language_version:
      - 2
      - 0
    .max_flat_workgroup_size: 1024
    .name:           _ZL11k_bin_bcastIXadL_ZL9op_repeatffEE6__halfS0_S0_JEEvPKT0_PKT1_PT2_iii15HIP_vector_typeIjLj3EESA_SA_SA_SA_iiiiiiiiiiiDpT3_
    .private_segment_fixed_size: 0
    .sgpr_count:     33
    .sgpr_spill_count: 0
    .symbol:         _ZL11k_bin_bcastIXadL_ZL9op_repeatffEE6__halfS0_S0_JEEvPKT0_PKT1_PT2_iii15HIP_vector_typeIjLj3EESA_SA_SA_SA_iiiiiiiiiiiDpT3_.kd
    .uniform_work_group_size: 1
    .uses_dynamic_stack: false
    .vgpr_count:     9
    .vgpr_spill_count: 0
    .wavefront_size: 32
  - .args:
      - .address_space:  global
        .offset:         0
        .size:           8
        .value_kind:     global_buffer
      - .address_space:  global
        .offset:         8
        .size:           8
        .value_kind:     global_buffer
      - .address_space:  global
        .offset:         16
        .size:           8
        .value_kind:     global_buffer
      - .offset:         24
        .size:           12
        .value_kind:     by_value
      - .offset:         36
        .size:           12
        .value_kind:     by_value
      - .offset:         48
        .size:           12
        .value_kind:     by_value
      - .offset:         60
        .size:           4
        .value_kind:     by_value
      - .offset:         64
        .size:           12
        .value_kind:     by_value
      - .offset:         76
        .size:           12
        .value_kind:     by_value
      - .offset:         88
        .size:           12
        .value_kind:     by_value
      - .offset:         100
        .size:           12
        .value_kind:     by_value
      - .offset:         112
        .size:           12
        .value_kind:     by_value
      - .offset:         124
        .size:           12
        .value_kind:     by_value
      - .offset:         136
        .size:           4
        .value_kind:     by_value
      - .offset:         140
        .size:           4
        .value_kind:     by_value
      - .offset:         144
        .size:           4
        .value_kind:     by_value
      - .offset:         148
        .size:           4
        .value_kind:     by_value
      - .offset:         152
        .size:           4
        .value_kind:     by_value
      - .offset:         156
        .size:           4
        .value_kind:     by_value
      - .offset:         160
        .size:           4
        .value_kind:     by_value
      - .offset:         164
        .size:           4
        .value_kind:     by_value
      - .offset:         168
        .size:           4
        .value_kind:     by_value
      - .offset:         172
        .size:           4
        .value_kind:     by_value
      - .offset:         176
        .size:           4
        .value_kind:     by_value
      - .offset:         184
        .size:           4
        .value_kind:     hidden_block_count_x
      - .offset:         188
        .size:           4
        .value_kind:     hidden_block_count_y
      - .offset:         192
        .size:           4
        .value_kind:     hidden_block_count_z
      - .offset:         196
        .size:           2
        .value_kind:     hidden_group_size_x
      - .offset:         198
        .size:           2
        .value_kind:     hidden_group_size_y
      - .offset:         200
        .size:           2
        .value_kind:     hidden_group_size_z
      - .offset:         202
        .size:           2
        .value_kind:     hidden_remainder_x
      - .offset:         204
        .size:           2
        .value_kind:     hidden_remainder_y
      - .offset:         206
        .size:           2
        .value_kind:     hidden_remainder_z
      - .offset:         224
        .size:           8
        .value_kind:     hidden_global_offset_x
      - .offset:         232
        .size:           8
        .value_kind:     hidden_global_offset_y
      - .offset:         240
        .size:           8
        .value_kind:     hidden_global_offset_z
      - .offset:         248
        .size:           2
        .value_kind:     hidden_grid_dims
    .group_segment_fixed_size: 0
    .kernarg_segment_align: 8
    .kernarg_segment_size: 440
    .language:       OpenCL C
    .language_version:
      - 2
      - 0
    .max_flat_workgroup_size: 1024
    .name:           _ZL19k_bin_bcast_unravelIXadL_ZL9op_repeatffEE6__halffS0_JEEvPKT0_PKT1_PT2_15HIP_vector_typeIjLj3EESA_SA_jSA_SA_SA_SA_SA_SA_iiiiiiiiiiiDpT3_
    .private_segment_fixed_size: 0
    .sgpr_count:     22
    .sgpr_spill_count: 0
    .symbol:         _ZL19k_bin_bcast_unravelIXadL_ZL9op_repeatffEE6__halffS0_JEEvPKT0_PKT1_PT2_15HIP_vector_typeIjLj3EESA_SA_jSA_SA_SA_SA_SA_SA_iiiiiiiiiiiDpT3_.kd
    .uniform_work_group_size: 1
    .uses_dynamic_stack: false
    .vgpr_count:     10
    .vgpr_spill_count: 0
    .wavefront_size: 32
  - .args:
      - .address_space:  global
        .offset:         0
        .size:           8
        .value_kind:     global_buffer
      - .address_space:  global
        .offset:         8
        .size:           8
        .value_kind:     global_buffer
      - .address_space:  global
        .offset:         16
        .size:           8
        .value_kind:     global_buffer
      - .offset:         24
        .size:           4
        .value_kind:     by_value
      - .offset:         28
        .size:           4
        .value_kind:     by_value
      - .offset:         32
        .size:           4
        .value_kind:     by_value
      - .offset:         36
        .size:           12
        .value_kind:     by_value
      - .offset:         48
        .size:           12
        .value_kind:     by_value
      - .offset:         60
        .size:           12
        .value_kind:     by_value
      - .offset:         72
        .size:           12
        .value_kind:     by_value
      - .offset:         84
        .size:           12
        .value_kind:     by_value
      - .offset:         96
        .size:           4
        .value_kind:     by_value
      - .offset:         100
        .size:           4
        .value_kind:     by_value
      - .offset:         104
        .size:           4
        .value_kind:     by_value
      - .offset:         108
        .size:           4
        .value_kind:     by_value
      - .offset:         112
        .size:           4
        .value_kind:     by_value
      - .offset:         116
        .size:           4
        .value_kind:     by_value
      - .offset:         120
        .size:           4
        .value_kind:     by_value
      - .offset:         124
        .size:           4
        .value_kind:     by_value
      - .offset:         128
        .size:           4
        .value_kind:     by_value
      - .offset:         132
        .size:           4
        .value_kind:     by_value
      - .offset:         136
        .size:           4
        .value_kind:     by_value
      - .offset:         144
        .size:           4
        .value_kind:     hidden_block_count_x
      - .offset:         148
        .size:           4
        .value_kind:     hidden_block_count_y
      - .offset:         152
        .size:           4
        .value_kind:     hidden_block_count_z
      - .offset:         156
        .size:           2
        .value_kind:     hidden_group_size_x
      - .offset:         158
        .size:           2
        .value_kind:     hidden_group_size_y
      - .offset:         160
        .size:           2
        .value_kind:     hidden_group_size_z
      - .offset:         162
        .size:           2
        .value_kind:     hidden_remainder_x
      - .offset:         164
        .size:           2
        .value_kind:     hidden_remainder_y
      - .offset:         166
        .size:           2
        .value_kind:     hidden_remainder_z
      - .offset:         184
        .size:           8
        .value_kind:     hidden_global_offset_x
      - .offset:         192
        .size:           8
        .value_kind:     hidden_global_offset_y
      - .offset:         200
        .size:           8
        .value_kind:     hidden_global_offset_z
      - .offset:         208
        .size:           2
        .value_kind:     hidden_grid_dims
    .group_segment_fixed_size: 0
    .kernarg_segment_align: 8
    .kernarg_segment_size: 400
    .language:       OpenCL C
    .language_version:
      - 2
      - 0
    .max_flat_workgroup_size: 1024
    .name:           _ZL11k_bin_bcastIXadL_ZL9op_repeatffEE6__halffS0_JEEvPKT0_PKT1_PT2_iii15HIP_vector_typeIjLj3EESA_SA_SA_SA_iiiiiiiiiiiDpT3_
    .private_segment_fixed_size: 0
    .sgpr_count:     33
    .sgpr_spill_count: 0
    .symbol:         _ZL11k_bin_bcastIXadL_ZL9op_repeatffEE6__halffS0_JEEvPKT0_PKT1_PT2_iii15HIP_vector_typeIjLj3EESA_SA_SA_SA_iiiiiiiiiiiDpT3_.kd
    .uniform_work_group_size: 1
    .uses_dynamic_stack: false
    .vgpr_count:     9
    .vgpr_spill_count: 0
    .wavefront_size: 32
  - .args:
      - .address_space:  global
        .offset:         0
        .size:           8
        .value_kind:     global_buffer
      - .address_space:  global
        .offset:         8
        .size:           8
        .value_kind:     global_buffer
      - .address_space:  global
        .offset:         16
        .size:           8
        .value_kind:     global_buffer
      - .offset:         24
        .size:           12
        .value_kind:     by_value
      - .offset:         36
        .size:           12
        .value_kind:     by_value
      - .offset:         48
        .size:           12
        .value_kind:     by_value
      - .offset:         60
        .size:           4
        .value_kind:     by_value
      - .offset:         64
        .size:           12
        .value_kind:     by_value
      - .offset:         76
        .size:           12
        .value_kind:     by_value
      - .offset:         88
        .size:           12
        .value_kind:     by_value
      - .offset:         100
        .size:           12
        .value_kind:     by_value
      - .offset:         112
        .size:           12
        .value_kind:     by_value
      - .offset:         124
        .size:           12
        .value_kind:     by_value
      - .offset:         136
        .size:           4
        .value_kind:     by_value
      - .offset:         140
        .size:           4
        .value_kind:     by_value
      - .offset:         144
        .size:           4
        .value_kind:     by_value
      - .offset:         148
        .size:           4
        .value_kind:     by_value
      - .offset:         152
        .size:           4
        .value_kind:     by_value
      - .offset:         156
        .size:           4
        .value_kind:     by_value
      - .offset:         160
        .size:           4
        .value_kind:     by_value
      - .offset:         164
        .size:           4
        .value_kind:     by_value
      - .offset:         168
        .size:           4
        .value_kind:     by_value
      - .offset:         172
        .size:           4
        .value_kind:     by_value
      - .offset:         176
        .size:           4
        .value_kind:     by_value
      - .offset:         184
        .size:           4
        .value_kind:     hidden_block_count_x
      - .offset:         188
        .size:           4
        .value_kind:     hidden_block_count_y
      - .offset:         192
        .size:           4
        .value_kind:     hidden_block_count_z
      - .offset:         196
        .size:           2
        .value_kind:     hidden_group_size_x
      - .offset:         198
        .size:           2
        .value_kind:     hidden_group_size_y
      - .offset:         200
        .size:           2
        .value_kind:     hidden_group_size_z
      - .offset:         202
        .size:           2
        .value_kind:     hidden_remainder_x
      - .offset:         204
        .size:           2
        .value_kind:     hidden_remainder_y
      - .offset:         206
        .size:           2
        .value_kind:     hidden_remainder_z
      - .offset:         224
        .size:           8
        .value_kind:     hidden_global_offset_x
      - .offset:         232
        .size:           8
        .value_kind:     hidden_global_offset_y
      - .offset:         240
        .size:           8
        .value_kind:     hidden_global_offset_z
      - .offset:         248
        .size:           2
        .value_kind:     hidden_grid_dims
    .group_segment_fixed_size: 0
    .kernarg_segment_align: 8
    .kernarg_segment_size: 440
    .language:       OpenCL C
    .language_version:
      - 2
      - 0
    .max_flat_workgroup_size: 1024
    .name:           _ZL19k_bin_bcast_unravelIXadL_ZL9op_repeatffEE6__halfffJEEvPKT0_PKT1_PT2_15HIP_vector_typeIjLj3EESA_SA_jSA_SA_SA_SA_SA_SA_iiiiiiiiiiiDpT3_
    .private_segment_fixed_size: 0
    .sgpr_count:     22
    .sgpr_spill_count: 0
    .symbol:         _ZL19k_bin_bcast_unravelIXadL_ZL9op_repeatffEE6__halfffJEEvPKT0_PKT1_PT2_15HIP_vector_typeIjLj3EESA_SA_jSA_SA_SA_SA_SA_SA_iiiiiiiiiiiDpT3_.kd
    .uniform_work_group_size: 1
    .uses_dynamic_stack: false
    .vgpr_count:     10
    .vgpr_spill_count: 0
    .wavefront_size: 32
  - .args:
      - .address_space:  global
        .offset:         0
        .size:           8
        .value_kind:     global_buffer
      - .address_space:  global
        .offset:         8
        .size:           8
        .value_kind:     global_buffer
      - .address_space:  global
        .offset:         16
        .size:           8
        .value_kind:     global_buffer
      - .offset:         24
        .size:           4
        .value_kind:     by_value
      - .offset:         28
        .size:           4
        .value_kind:     by_value
      - .offset:         32
        .size:           4
        .value_kind:     by_value
      - .offset:         36
        .size:           12
        .value_kind:     by_value
      - .offset:         48
        .size:           12
        .value_kind:     by_value
      - .offset:         60
        .size:           12
        .value_kind:     by_value
      - .offset:         72
        .size:           12
        .value_kind:     by_value
      - .offset:         84
        .size:           12
        .value_kind:     by_value
      - .offset:         96
        .size:           4
        .value_kind:     by_value
      - .offset:         100
        .size:           4
        .value_kind:     by_value
      - .offset:         104
        .size:           4
        .value_kind:     by_value
      - .offset:         108
        .size:           4
        .value_kind:     by_value
      - .offset:         112
        .size:           4
        .value_kind:     by_value
      - .offset:         116
        .size:           4
        .value_kind:     by_value
      - .offset:         120
        .size:           4
        .value_kind:     by_value
      - .offset:         124
        .size:           4
        .value_kind:     by_value
      - .offset:         128
        .size:           4
        .value_kind:     by_value
      - .offset:         132
        .size:           4
        .value_kind:     by_value
      - .offset:         136
        .size:           4
        .value_kind:     by_value
      - .offset:         144
        .size:           4
        .value_kind:     hidden_block_count_x
      - .offset:         148
        .size:           4
        .value_kind:     hidden_block_count_y
      - .offset:         152
        .size:           4
        .value_kind:     hidden_block_count_z
      - .offset:         156
        .size:           2
        .value_kind:     hidden_group_size_x
      - .offset:         158
        .size:           2
        .value_kind:     hidden_group_size_y
      - .offset:         160
        .size:           2
        .value_kind:     hidden_group_size_z
      - .offset:         162
        .size:           2
        .value_kind:     hidden_remainder_x
      - .offset:         164
        .size:           2
        .value_kind:     hidden_remainder_y
      - .offset:         166
        .size:           2
        .value_kind:     hidden_remainder_z
      - .offset:         184
        .size:           8
        .value_kind:     hidden_global_offset_x
      - .offset:         192
        .size:           8
        .value_kind:     hidden_global_offset_y
      - .offset:         200
        .size:           8
        .value_kind:     hidden_global_offset_z
      - .offset:         208
        .size:           2
        .value_kind:     hidden_grid_dims
    .group_segment_fixed_size: 0
    .kernarg_segment_align: 8
    .kernarg_segment_size: 400
    .language:       OpenCL C
    .language_version:
      - 2
      - 0
    .max_flat_workgroup_size: 1024
    .name:           _ZL11k_bin_bcastIXadL_ZL9op_repeatffEE6__halfffJEEvPKT0_PKT1_PT2_iii15HIP_vector_typeIjLj3EESA_SA_SA_SA_iiiiiiiiiiiDpT3_
    .private_segment_fixed_size: 0
    .sgpr_count:     33
    .sgpr_spill_count: 0
    .symbol:         _ZL11k_bin_bcastIXadL_ZL9op_repeatffEE6__halfffJEEvPKT0_PKT1_PT2_iii15HIP_vector_typeIjLj3EESA_SA_SA_SA_iiiiiiiiiiiDpT3_.kd
    .uniform_work_group_size: 1
    .uses_dynamic_stack: false
    .vgpr_count:     9
    .vgpr_spill_count: 0
    .wavefront_size: 32
  - .args:
      - .address_space:  global
        .offset:         0
        .size:           8
        .value_kind:     global_buffer
      - .address_space:  global
        .offset:         8
        .size:           8
        .value_kind:     global_buffer
      - .address_space:  global
        .offset:         16
        .size:           8
        .value_kind:     global_buffer
      - .offset:         24
        .size:           12
        .value_kind:     by_value
      - .offset:         36
        .size:           12
        .value_kind:     by_value
      - .offset:         48
        .size:           12
        .value_kind:     by_value
      - .offset:         60
        .size:           4
        .value_kind:     by_value
      - .offset:         64
        .size:           12
        .value_kind:     by_value
      - .offset:         76
        .size:           12
        .value_kind:     by_value
      - .offset:         88
        .size:           12
        .value_kind:     by_value
      - .offset:         100
        .size:           12
        .value_kind:     by_value
      - .offset:         112
        .size:           12
        .value_kind:     by_value
      - .offset:         124
        .size:           12
        .value_kind:     by_value
      - .offset:         136
        .size:           4
        .value_kind:     by_value
      - .offset:         140
        .size:           4
        .value_kind:     by_value
      - .offset:         144
        .size:           4
        .value_kind:     by_value
      - .offset:         148
        .size:           4
        .value_kind:     by_value
      - .offset:         152
        .size:           4
        .value_kind:     by_value
      - .offset:         156
        .size:           4
        .value_kind:     by_value
      - .offset:         160
        .size:           4
        .value_kind:     by_value
      - .offset:         164
        .size:           4
        .value_kind:     by_value
      - .offset:         168
        .size:           4
        .value_kind:     by_value
      - .offset:         172
        .size:           4
        .value_kind:     by_value
      - .offset:         176
        .size:           4
        .value_kind:     by_value
      - .address_space:  global
        .offset:         184
        .size:           8
        .value_kind:     global_buffer
      - .offset:         192
        .size:           4
        .value_kind:     hidden_block_count_x
      - .offset:         196
        .size:           4
        .value_kind:     hidden_block_count_y
      - .offset:         200
        .size:           4
        .value_kind:     hidden_block_count_z
      - .offset:         204
        .size:           2
        .value_kind:     hidden_group_size_x
      - .offset:         206
        .size:           2
        .value_kind:     hidden_group_size_y
      - .offset:         208
        .size:           2
        .value_kind:     hidden_group_size_z
      - .offset:         210
        .size:           2
        .value_kind:     hidden_remainder_x
      - .offset:         212
        .size:           2
        .value_kind:     hidden_remainder_y
      - .offset:         214
        .size:           2
        .value_kind:     hidden_remainder_z
      - .offset:         232
        .size:           8
        .value_kind:     hidden_global_offset_x
      - .offset:         240
        .size:           8
        .value_kind:     hidden_global_offset_y
      - .offset:         248
        .size:           8
        .value_kind:     hidden_global_offset_z
      - .offset:         256
        .size:           2
        .value_kind:     hidden_grid_dims
    .group_segment_fixed_size: 0
    .kernarg_segment_align: 8
    .kernarg_segment_size: 448
    .language:       OpenCL C
    .language_version:
      - 2
      - 0
    .max_flat_workgroup_size: 1024
    .name:           _ZL19k_bin_bcast_unravelIXadL_ZL6op_addffEEfffJPKfEEvPKT0_PKT1_PT2_15HIP_vector_typeIjLj3EESB_SB_jSB_SB_SB_SB_SB_SB_iiiiiiiiiiiDpT3_
    .private_segment_fixed_size: 0
    .sgpr_count:     29
    .sgpr_spill_count: 0
    .symbol:         _ZL19k_bin_bcast_unravelIXadL_ZL6op_addffEEfffJPKfEEvPKT0_PKT1_PT2_15HIP_vector_typeIjLj3EESB_SB_jSB_SB_SB_SB_SB_SB_iiiiiiiiiiiDpT3_.kd
    .uniform_work_group_size: 1
    .uses_dynamic_stack: false
    .vgpr_count:     10
    .vgpr_spill_count: 0
    .wavefront_size: 32
  - .args:
      - .address_space:  global
        .offset:         0
        .size:           8
        .value_kind:     global_buffer
      - .address_space:  global
        .offset:         8
        .size:           8
        .value_kind:     global_buffer
      - .address_space:  global
        .offset:         16
        .size:           8
        .value_kind:     global_buffer
      - .offset:         24
        .size:           4
        .value_kind:     by_value
      - .offset:         28
        .size:           4
        .value_kind:     by_value
      - .offset:         32
        .size:           4
        .value_kind:     by_value
      - .offset:         36
        .size:           12
        .value_kind:     by_value
      - .offset:         48
        .size:           12
        .value_kind:     by_value
      - .offset:         60
        .size:           12
        .value_kind:     by_value
      - .offset:         72
        .size:           12
        .value_kind:     by_value
      - .offset:         84
        .size:           12
        .value_kind:     by_value
      - .offset:         96
        .size:           4
        .value_kind:     by_value
      - .offset:         100
        .size:           4
        .value_kind:     by_value
      - .offset:         104
        .size:           4
        .value_kind:     by_value
      - .offset:         108
        .size:           4
        .value_kind:     by_value
      - .offset:         112
        .size:           4
        .value_kind:     by_value
      - .offset:         116
        .size:           4
        .value_kind:     by_value
      - .offset:         120
        .size:           4
        .value_kind:     by_value
      - .offset:         124
        .size:           4
        .value_kind:     by_value
      - .offset:         128
        .size:           4
        .value_kind:     by_value
      - .offset:         132
        .size:           4
        .value_kind:     by_value
      - .offset:         136
        .size:           4
        .value_kind:     by_value
      - .address_space:  global
        .offset:         144
        .size:           8
        .value_kind:     global_buffer
      - .offset:         152
        .size:           4
        .value_kind:     hidden_block_count_x
      - .offset:         156
        .size:           4
        .value_kind:     hidden_block_count_y
      - .offset:         160
        .size:           4
        .value_kind:     hidden_block_count_z
      - .offset:         164
        .size:           2
        .value_kind:     hidden_group_size_x
      - .offset:         166
        .size:           2
        .value_kind:     hidden_group_size_y
      - .offset:         168
        .size:           2
        .value_kind:     hidden_group_size_z
      - .offset:         170
        .size:           2
        .value_kind:     hidden_remainder_x
      - .offset:         172
        .size:           2
        .value_kind:     hidden_remainder_y
      - .offset:         174
        .size:           2
        .value_kind:     hidden_remainder_z
      - .offset:         192
        .size:           8
        .value_kind:     hidden_global_offset_x
      - .offset:         200
        .size:           8
        .value_kind:     hidden_global_offset_y
      - .offset:         208
        .size:           8
        .value_kind:     hidden_global_offset_z
      - .offset:         216
        .size:           2
        .value_kind:     hidden_grid_dims
    .group_segment_fixed_size: 0
    .kernarg_segment_align: 8
    .kernarg_segment_size: 408
    .language:       OpenCL C
    .language_version:
      - 2
      - 0
    .max_flat_workgroup_size: 1024
    .name:           _ZL11k_bin_bcastIXadL_ZL6op_addffEEfffJPKfEEvPKT0_PKT1_PT2_iii15HIP_vector_typeIjLj3EESB_SB_SB_SB_iiiiiiiiiiiDpT3_
    .private_segment_fixed_size: 0
    .sgpr_count:     41
    .sgpr_spill_count: 0
    .symbol:         _ZL11k_bin_bcastIXadL_ZL6op_addffEEfffJPKfEEvPKT0_PKT1_PT2_iii15HIP_vector_typeIjLj3EESB_SB_SB_SB_iiiiiiiiiiiDpT3_.kd
    .uniform_work_group_size: 1
    .uses_dynamic_stack: false
    .vgpr_count:     13
    .vgpr_spill_count: 0
    .wavefront_size: 32
  - .args:
      - .address_space:  global
        .offset:         0
        .size:           8
        .value_kind:     global_buffer
      - .address_space:  global
        .offset:         8
        .size:           8
        .value_kind:     global_buffer
      - .address_space:  global
        .offset:         16
        .size:           8
        .value_kind:     global_buffer
      - .offset:         24
        .size:           12
        .value_kind:     by_value
      - .offset:         36
        .size:           12
        .value_kind:     by_value
      - .offset:         48
        .size:           12
        .value_kind:     by_value
      - .offset:         60
        .size:           4
        .value_kind:     by_value
      - .offset:         64
        .size:           12
        .value_kind:     by_value
      - .offset:         76
        .size:           12
        .value_kind:     by_value
      - .offset:         88
        .size:           12
        .value_kind:     by_value
      - .offset:         100
        .size:           12
        .value_kind:     by_value
      - .offset:         112
        .size:           12
        .value_kind:     by_value
      - .offset:         124
        .size:           12
        .value_kind:     by_value
      - .offset:         136
        .size:           4
        .value_kind:     by_value
      - .offset:         140
        .size:           4
        .value_kind:     by_value
      - .offset:         144
        .size:           4
        .value_kind:     by_value
      - .offset:         148
        .size:           4
        .value_kind:     by_value
      - .offset:         152
        .size:           4
        .value_kind:     by_value
      - .offset:         156
        .size:           4
        .value_kind:     by_value
      - .offset:         160
        .size:           4
        .value_kind:     by_value
      - .offset:         164
        .size:           4
        .value_kind:     by_value
      - .offset:         168
        .size:           4
        .value_kind:     by_value
      - .offset:         172
        .size:           4
        .value_kind:     by_value
      - .offset:         176
        .size:           4
        .value_kind:     by_value
      - .address_space:  global
        .offset:         184
        .size:           8
        .value_kind:     global_buffer
      - .offset:         192
        .size:           4
        .value_kind:     hidden_block_count_x
      - .offset:         196
        .size:           4
        .value_kind:     hidden_block_count_y
      - .offset:         200
        .size:           4
        .value_kind:     hidden_block_count_z
      - .offset:         204
        .size:           2
        .value_kind:     hidden_group_size_x
      - .offset:         206
        .size:           2
        .value_kind:     hidden_group_size_y
      - .offset:         208
        .size:           2
        .value_kind:     hidden_group_size_z
      - .offset:         210
        .size:           2
        .value_kind:     hidden_remainder_x
      - .offset:         212
        .size:           2
        .value_kind:     hidden_remainder_y
      - .offset:         214
        .size:           2
        .value_kind:     hidden_remainder_z
      - .offset:         232
        .size:           8
        .value_kind:     hidden_global_offset_x
      - .offset:         240
        .size:           8
        .value_kind:     hidden_global_offset_y
      - .offset:         248
        .size:           8
        .value_kind:     hidden_global_offset_z
      - .offset:         256
        .size:           2
        .value_kind:     hidden_grid_dims
    .group_segment_fixed_size: 0
    .kernarg_segment_align: 8
    .kernarg_segment_size: 448
    .language:       OpenCL C
    .language_version:
      - 2
      - 0
    .max_flat_workgroup_size: 1024
    .name:           _ZL19k_bin_bcast_unravelIXadL_ZL6op_addffEE6__halfS0_S0_JPKS0_EEvPKT0_PKT1_PT2_15HIP_vector_typeIjLj3EESC_SC_jSC_SC_SC_SC_SC_SC_iiiiiiiiiiiDpT3_
    .private_segment_fixed_size: 0
    .sgpr_count:     29
    .sgpr_spill_count: 0
    .symbol:         _ZL19k_bin_bcast_unravelIXadL_ZL6op_addffEE6__halfS0_S0_JPKS0_EEvPKT0_PKT1_PT2_15HIP_vector_typeIjLj3EESC_SC_jSC_SC_SC_SC_SC_SC_iiiiiiiiiiiDpT3_.kd
    .uniform_work_group_size: 1
    .uses_dynamic_stack: false
    .vgpr_count:     10
    .vgpr_spill_count: 0
    .wavefront_size: 32
  - .args:
      - .address_space:  global
        .offset:         0
        .size:           8
        .value_kind:     global_buffer
      - .address_space:  global
        .offset:         8
        .size:           8
        .value_kind:     global_buffer
      - .address_space:  global
        .offset:         16
        .size:           8
        .value_kind:     global_buffer
      - .offset:         24
        .size:           4
        .value_kind:     by_value
      - .offset:         28
        .size:           4
        .value_kind:     by_value
      - .offset:         32
        .size:           4
        .value_kind:     by_value
      - .offset:         36
        .size:           12
        .value_kind:     by_value
      - .offset:         48
        .size:           12
        .value_kind:     by_value
      - .offset:         60
        .size:           12
        .value_kind:     by_value
      - .offset:         72
        .size:           12
        .value_kind:     by_value
      - .offset:         84
        .size:           12
        .value_kind:     by_value
      - .offset:         96
        .size:           4
        .value_kind:     by_value
      - .offset:         100
        .size:           4
        .value_kind:     by_value
      - .offset:         104
        .size:           4
        .value_kind:     by_value
      - .offset:         108
        .size:           4
        .value_kind:     by_value
      - .offset:         112
        .size:           4
        .value_kind:     by_value
      - .offset:         116
        .size:           4
        .value_kind:     by_value
      - .offset:         120
        .size:           4
        .value_kind:     by_value
      - .offset:         124
        .size:           4
        .value_kind:     by_value
      - .offset:         128
        .size:           4
        .value_kind:     by_value
      - .offset:         132
        .size:           4
        .value_kind:     by_value
      - .offset:         136
        .size:           4
        .value_kind:     by_value
      - .address_space:  global
        .offset:         144
        .size:           8
        .value_kind:     global_buffer
      - .offset:         152
        .size:           4
        .value_kind:     hidden_block_count_x
      - .offset:         156
        .size:           4
        .value_kind:     hidden_block_count_y
      - .offset:         160
        .size:           4
        .value_kind:     hidden_block_count_z
      - .offset:         164
        .size:           2
        .value_kind:     hidden_group_size_x
      - .offset:         166
        .size:           2
        .value_kind:     hidden_group_size_y
      - .offset:         168
        .size:           2
        .value_kind:     hidden_group_size_z
      - .offset:         170
        .size:           2
        .value_kind:     hidden_remainder_x
      - .offset:         172
        .size:           2
        .value_kind:     hidden_remainder_y
      - .offset:         174
        .size:           2
        .value_kind:     hidden_remainder_z
      - .offset:         192
        .size:           8
        .value_kind:     hidden_global_offset_x
      - .offset:         200
        .size:           8
        .value_kind:     hidden_global_offset_y
      - .offset:         208
        .size:           8
        .value_kind:     hidden_global_offset_z
      - .offset:         216
        .size:           2
        .value_kind:     hidden_grid_dims
    .group_segment_fixed_size: 0
    .kernarg_segment_align: 8
    .kernarg_segment_size: 408
    .language:       OpenCL C
    .language_version:
      - 2
      - 0
    .max_flat_workgroup_size: 1024
    .name:           _ZL11k_bin_bcastIXadL_ZL6op_addffEE6__halfS0_S0_JPKS0_EEvPKT0_PKT1_PT2_iii15HIP_vector_typeIjLj3EESC_SC_SC_SC_iiiiiiiiiiiDpT3_
    .private_segment_fixed_size: 0
    .sgpr_count:     41
    .sgpr_spill_count: 0
    .symbol:         _ZL11k_bin_bcastIXadL_ZL6op_addffEE6__halfS0_S0_JPKS0_EEvPKT0_PKT1_PT2_iii15HIP_vector_typeIjLj3EESC_SC_SC_SC_iiiiiiiiiiiDpT3_.kd
    .uniform_work_group_size: 1
    .uses_dynamic_stack: false
    .vgpr_count:     13
    .vgpr_spill_count: 0
    .wavefront_size: 32
  - .args:
      - .address_space:  global
        .offset:         0
        .size:           8
        .value_kind:     global_buffer
      - .address_space:  global
        .offset:         8
        .size:           8
        .value_kind:     global_buffer
      - .address_space:  global
        .offset:         16
        .size:           8
        .value_kind:     global_buffer
      - .offset:         24
        .size:           12
        .value_kind:     by_value
      - .offset:         36
        .size:           12
        .value_kind:     by_value
      - .offset:         48
        .size:           12
        .value_kind:     by_value
      - .offset:         60
        .size:           4
        .value_kind:     by_value
      - .offset:         64
        .size:           12
        .value_kind:     by_value
      - .offset:         76
        .size:           12
        .value_kind:     by_value
      - .offset:         88
        .size:           12
        .value_kind:     by_value
      - .offset:         100
        .size:           12
        .value_kind:     by_value
      - .offset:         112
        .size:           12
        .value_kind:     by_value
      - .offset:         124
        .size:           12
        .value_kind:     by_value
      - .offset:         136
        .size:           4
        .value_kind:     by_value
      - .offset:         140
        .size:           4
        .value_kind:     by_value
      - .offset:         144
        .size:           4
        .value_kind:     by_value
      - .offset:         148
        .size:           4
        .value_kind:     by_value
      - .offset:         152
        .size:           4
        .value_kind:     by_value
      - .offset:         156
        .size:           4
        .value_kind:     by_value
      - .offset:         160
        .size:           4
        .value_kind:     by_value
      - .offset:         164
        .size:           4
        .value_kind:     by_value
      - .offset:         168
        .size:           4
        .value_kind:     by_value
      - .offset:         172
        .size:           4
        .value_kind:     by_value
      - .offset:         176
        .size:           4
        .value_kind:     by_value
      - .address_space:  global
        .offset:         184
        .size:           8
        .value_kind:     global_buffer
      - .offset:         192
        .size:           4
        .value_kind:     hidden_block_count_x
      - .offset:         196
        .size:           4
        .value_kind:     hidden_block_count_y
      - .offset:         200
        .size:           4
        .value_kind:     hidden_block_count_z
      - .offset:         204
        .size:           2
        .value_kind:     hidden_group_size_x
      - .offset:         206
        .size:           2
        .value_kind:     hidden_group_size_y
      - .offset:         208
        .size:           2
        .value_kind:     hidden_group_size_z
      - .offset:         210
        .size:           2
        .value_kind:     hidden_remainder_x
      - .offset:         212
        .size:           2
        .value_kind:     hidden_remainder_y
      - .offset:         214
        .size:           2
        .value_kind:     hidden_remainder_z
      - .offset:         232
        .size:           8
        .value_kind:     hidden_global_offset_x
      - .offset:         240
        .size:           8
        .value_kind:     hidden_global_offset_y
      - .offset:         248
        .size:           8
        .value_kind:     hidden_global_offset_z
      - .offset:         256
        .size:           2
        .value_kind:     hidden_grid_dims
    .group_segment_fixed_size: 0
    .kernarg_segment_align: 8
    .kernarg_segment_size: 448
    .language:       OpenCL C
    .language_version:
      - 2
      - 0
    .max_flat_workgroup_size: 1024
    .name:           _ZL19k_bin_bcast_unravelIXadL_ZL6op_addffEE6__halffS0_JPKfEEvPKT0_PKT1_PT2_15HIP_vector_typeIjLj3EESC_SC_jSC_SC_SC_SC_SC_SC_iiiiiiiiiiiDpT3_
    .private_segment_fixed_size: 0
    .sgpr_count:     29
    .sgpr_spill_count: 0
    .symbol:         _ZL19k_bin_bcast_unravelIXadL_ZL6op_addffEE6__halffS0_JPKfEEvPKT0_PKT1_PT2_15HIP_vector_typeIjLj3EESC_SC_jSC_SC_SC_SC_SC_SC_iiiiiiiiiiiDpT3_.kd
    .uniform_work_group_size: 1
    .uses_dynamic_stack: false
    .vgpr_count:     10
    .vgpr_spill_count: 0
    .wavefront_size: 32
  - .args:
      - .address_space:  global
        .offset:         0
        .size:           8
        .value_kind:     global_buffer
      - .address_space:  global
        .offset:         8
        .size:           8
        .value_kind:     global_buffer
      - .address_space:  global
        .offset:         16
        .size:           8
        .value_kind:     global_buffer
      - .offset:         24
        .size:           4
        .value_kind:     by_value
      - .offset:         28
        .size:           4
        .value_kind:     by_value
      - .offset:         32
        .size:           4
        .value_kind:     by_value
      - .offset:         36
        .size:           12
        .value_kind:     by_value
      - .offset:         48
        .size:           12
        .value_kind:     by_value
      - .offset:         60
        .size:           12
        .value_kind:     by_value
      - .offset:         72
        .size:           12
        .value_kind:     by_value
      - .offset:         84
        .size:           12
        .value_kind:     by_value
      - .offset:         96
        .size:           4
        .value_kind:     by_value
      - .offset:         100
        .size:           4
        .value_kind:     by_value
      - .offset:         104
        .size:           4
        .value_kind:     by_value
      - .offset:         108
        .size:           4
        .value_kind:     by_value
      - .offset:         112
        .size:           4
        .value_kind:     by_value
      - .offset:         116
        .size:           4
        .value_kind:     by_value
      - .offset:         120
        .size:           4
        .value_kind:     by_value
      - .offset:         124
        .size:           4
        .value_kind:     by_value
      - .offset:         128
        .size:           4
        .value_kind:     by_value
      - .offset:         132
        .size:           4
        .value_kind:     by_value
      - .offset:         136
        .size:           4
        .value_kind:     by_value
      - .address_space:  global
        .offset:         144
        .size:           8
        .value_kind:     global_buffer
      - .offset:         152
        .size:           4
        .value_kind:     hidden_block_count_x
      - .offset:         156
        .size:           4
        .value_kind:     hidden_block_count_y
      - .offset:         160
        .size:           4
        .value_kind:     hidden_block_count_z
      - .offset:         164
        .size:           2
        .value_kind:     hidden_group_size_x
      - .offset:         166
        .size:           2
        .value_kind:     hidden_group_size_y
      - .offset:         168
        .size:           2
        .value_kind:     hidden_group_size_z
      - .offset:         170
        .size:           2
        .value_kind:     hidden_remainder_x
      - .offset:         172
        .size:           2
        .value_kind:     hidden_remainder_y
      - .offset:         174
        .size:           2
        .value_kind:     hidden_remainder_z
      - .offset:         192
        .size:           8
        .value_kind:     hidden_global_offset_x
      - .offset:         200
        .size:           8
        .value_kind:     hidden_global_offset_y
      - .offset:         208
        .size:           8
        .value_kind:     hidden_global_offset_z
      - .offset:         216
        .size:           2
        .value_kind:     hidden_grid_dims
    .group_segment_fixed_size: 0
    .kernarg_segment_align: 8
    .kernarg_segment_size: 408
    .language:       OpenCL C
    .language_version:
      - 2
      - 0
    .max_flat_workgroup_size: 1024
    .name:           _ZL11k_bin_bcastIXadL_ZL6op_addffEE6__halffS0_JPKfEEvPKT0_PKT1_PT2_iii15HIP_vector_typeIjLj3EESC_SC_SC_SC_iiiiiiiiiiiDpT3_
    .private_segment_fixed_size: 0
    .sgpr_count:     41
    .sgpr_spill_count: 0
    .symbol:         _ZL11k_bin_bcastIXadL_ZL6op_addffEE6__halffS0_JPKfEEvPKT0_PKT1_PT2_iii15HIP_vector_typeIjLj3EESC_SC_SC_SC_iiiiiiiiiiiDpT3_.kd
    .uniform_work_group_size: 1
    .uses_dynamic_stack: false
    .vgpr_count:     13
    .vgpr_spill_count: 0
    .wavefront_size: 32
  - .args:
      - .address_space:  global
        .offset:         0
        .size:           8
        .value_kind:     global_buffer
      - .address_space:  global
        .offset:         8
        .size:           8
        .value_kind:     global_buffer
      - .address_space:  global
        .offset:         16
        .size:           8
        .value_kind:     global_buffer
      - .offset:         24
        .size:           12
        .value_kind:     by_value
      - .offset:         36
        .size:           12
        .value_kind:     by_value
      - .offset:         48
        .size:           12
        .value_kind:     by_value
      - .offset:         60
        .size:           4
        .value_kind:     by_value
      - .offset:         64
        .size:           12
        .value_kind:     by_value
      - .offset:         76
        .size:           12
        .value_kind:     by_value
      - .offset:         88
        .size:           12
        .value_kind:     by_value
      - .offset:         100
        .size:           12
        .value_kind:     by_value
      - .offset:         112
        .size:           12
        .value_kind:     by_value
      - .offset:         124
        .size:           12
        .value_kind:     by_value
      - .offset:         136
        .size:           4
        .value_kind:     by_value
      - .offset:         140
        .size:           4
        .value_kind:     by_value
      - .offset:         144
        .size:           4
        .value_kind:     by_value
      - .offset:         148
        .size:           4
        .value_kind:     by_value
      - .offset:         152
        .size:           4
        .value_kind:     by_value
      - .offset:         156
        .size:           4
        .value_kind:     by_value
      - .offset:         160
        .size:           4
        .value_kind:     by_value
      - .offset:         164
        .size:           4
        .value_kind:     by_value
      - .offset:         168
        .size:           4
        .value_kind:     by_value
      - .offset:         172
        .size:           4
        .value_kind:     by_value
      - .offset:         176
        .size:           4
        .value_kind:     by_value
      - .address_space:  global
        .offset:         184
        .size:           8
        .value_kind:     global_buffer
      - .offset:         192
        .size:           4
        .value_kind:     hidden_block_count_x
      - .offset:         196
        .size:           4
        .value_kind:     hidden_block_count_y
      - .offset:         200
        .size:           4
        .value_kind:     hidden_block_count_z
      - .offset:         204
        .size:           2
        .value_kind:     hidden_group_size_x
      - .offset:         206
        .size:           2
        .value_kind:     hidden_group_size_y
      - .offset:         208
        .size:           2
        .value_kind:     hidden_group_size_z
      - .offset:         210
        .size:           2
        .value_kind:     hidden_remainder_x
      - .offset:         212
        .size:           2
        .value_kind:     hidden_remainder_y
      - .offset:         214
        .size:           2
        .value_kind:     hidden_remainder_z
      - .offset:         232
        .size:           8
        .value_kind:     hidden_global_offset_x
      - .offset:         240
        .size:           8
        .value_kind:     hidden_global_offset_y
      - .offset:         248
        .size:           8
        .value_kind:     hidden_global_offset_z
      - .offset:         256
        .size:           2
        .value_kind:     hidden_grid_dims
    .group_segment_fixed_size: 0
    .kernarg_segment_align: 8
    .kernarg_segment_size: 448
    .language:       OpenCL C
    .language_version:
      - 2
      - 0
    .max_flat_workgroup_size: 1024
    .name:           _ZL19k_bin_bcast_unravelIXadL_ZL6op_addffEE6__halfffJPKfEEvPKT0_PKT1_PT2_15HIP_vector_typeIjLj3EESC_SC_jSC_SC_SC_SC_SC_SC_iiiiiiiiiiiDpT3_
    .private_segment_fixed_size: 0
    .sgpr_count:     29
    .sgpr_spill_count: 0
    .symbol:         _ZL19k_bin_bcast_unravelIXadL_ZL6op_addffEE6__halfffJPKfEEvPKT0_PKT1_PT2_15HIP_vector_typeIjLj3EESC_SC_jSC_SC_SC_SC_SC_SC_iiiiiiiiiiiDpT3_.kd
    .uniform_work_group_size: 1
    .uses_dynamic_stack: false
    .vgpr_count:     10
    .vgpr_spill_count: 0
    .wavefront_size: 32
  - .args:
      - .address_space:  global
        .offset:         0
        .size:           8
        .value_kind:     global_buffer
      - .address_space:  global
        .offset:         8
        .size:           8
        .value_kind:     global_buffer
      - .address_space:  global
        .offset:         16
        .size:           8
        .value_kind:     global_buffer
      - .offset:         24
        .size:           4
        .value_kind:     by_value
      - .offset:         28
        .size:           4
        .value_kind:     by_value
      - .offset:         32
        .size:           4
        .value_kind:     by_value
      - .offset:         36
        .size:           12
        .value_kind:     by_value
      - .offset:         48
        .size:           12
        .value_kind:     by_value
      - .offset:         60
        .size:           12
        .value_kind:     by_value
      - .offset:         72
        .size:           12
        .value_kind:     by_value
      - .offset:         84
        .size:           12
        .value_kind:     by_value
      - .offset:         96
        .size:           4
        .value_kind:     by_value
      - .offset:         100
        .size:           4
        .value_kind:     by_value
      - .offset:         104
        .size:           4
        .value_kind:     by_value
      - .offset:         108
        .size:           4
        .value_kind:     by_value
      - .offset:         112
        .size:           4
        .value_kind:     by_value
      - .offset:         116
        .size:           4
        .value_kind:     by_value
      - .offset:         120
        .size:           4
        .value_kind:     by_value
      - .offset:         124
        .size:           4
        .value_kind:     by_value
      - .offset:         128
        .size:           4
        .value_kind:     by_value
      - .offset:         132
        .size:           4
        .value_kind:     by_value
      - .offset:         136
        .size:           4
        .value_kind:     by_value
      - .address_space:  global
        .offset:         144
        .size:           8
        .value_kind:     global_buffer
      - .offset:         152
        .size:           4
        .value_kind:     hidden_block_count_x
      - .offset:         156
        .size:           4
        .value_kind:     hidden_block_count_y
      - .offset:         160
        .size:           4
        .value_kind:     hidden_block_count_z
      - .offset:         164
        .size:           2
        .value_kind:     hidden_group_size_x
      - .offset:         166
        .size:           2
        .value_kind:     hidden_group_size_y
      - .offset:         168
        .size:           2
        .value_kind:     hidden_group_size_z
      - .offset:         170
        .size:           2
        .value_kind:     hidden_remainder_x
      - .offset:         172
        .size:           2
        .value_kind:     hidden_remainder_y
      - .offset:         174
        .size:           2
        .value_kind:     hidden_remainder_z
      - .offset:         192
        .size:           8
        .value_kind:     hidden_global_offset_x
      - .offset:         200
        .size:           8
        .value_kind:     hidden_global_offset_y
      - .offset:         208
        .size:           8
        .value_kind:     hidden_global_offset_z
      - .offset:         216
        .size:           2
        .value_kind:     hidden_grid_dims
    .group_segment_fixed_size: 0
    .kernarg_segment_align: 8
    .kernarg_segment_size: 408
    .language:       OpenCL C
    .language_version:
      - 2
      - 0
    .max_flat_workgroup_size: 1024
    .name:           _ZL11k_bin_bcastIXadL_ZL6op_addffEE6__halfffJPKfEEvPKT0_PKT1_PT2_iii15HIP_vector_typeIjLj3EESC_SC_SC_SC_iiiiiiiiiiiDpT3_
    .private_segment_fixed_size: 0
    .sgpr_count:     41
    .sgpr_spill_count: 0
    .symbol:         _ZL11k_bin_bcastIXadL_ZL6op_addffEE6__halfffJPKfEEvPKT0_PKT1_PT2_iii15HIP_vector_typeIjLj3EESC_SC_SC_SC_iiiiiiiiiiiDpT3_.kd
    .uniform_work_group_size: 1
    .uses_dynamic_stack: false
    .vgpr_count:     13
    .vgpr_spill_count: 0
    .wavefront_size: 32
  - .args:
      - .address_space:  global
        .offset:         0
        .size:           8
        .value_kind:     global_buffer
      - .address_space:  global
        .offset:         8
        .size:           8
        .value_kind:     global_buffer
      - .address_space:  global
        .offset:         16
        .size:           8
        .value_kind:     global_buffer
      - .offset:         24
        .size:           12
        .value_kind:     by_value
      - .offset:         36
        .size:           12
        .value_kind:     by_value
      - .offset:         48
        .size:           12
        .value_kind:     by_value
      - .offset:         60
        .size:           4
        .value_kind:     by_value
      - .offset:         64
        .size:           12
        .value_kind:     by_value
      - .offset:         76
        .size:           12
        .value_kind:     by_value
      - .offset:         88
        .size:           12
        .value_kind:     by_value
      - .offset:         100
        .size:           12
        .value_kind:     by_value
      - .offset:         112
        .size:           12
        .value_kind:     by_value
      - .offset:         124
        .size:           12
        .value_kind:     by_value
      - .offset:         136
        .size:           4
        .value_kind:     by_value
      - .offset:         140
        .size:           4
        .value_kind:     by_value
      - .offset:         144
        .size:           4
        .value_kind:     by_value
      - .offset:         148
        .size:           4
        .value_kind:     by_value
      - .offset:         152
        .size:           4
        .value_kind:     by_value
      - .offset:         156
        .size:           4
        .value_kind:     by_value
      - .offset:         160
        .size:           4
        .value_kind:     by_value
      - .offset:         164
        .size:           4
        .value_kind:     by_value
      - .offset:         168
        .size:           4
        .value_kind:     by_value
      - .offset:         172
        .size:           4
        .value_kind:     by_value
      - .offset:         176
        .size:           4
        .value_kind:     by_value
      - .address_space:  global
        .offset:         184
        .size:           8
        .value_kind:     global_buffer
      - .offset:         192
        .size:           4
        .value_kind:     hidden_block_count_x
      - .offset:         196
        .size:           4
        .value_kind:     hidden_block_count_y
      - .offset:         200
        .size:           4
        .value_kind:     hidden_block_count_z
      - .offset:         204
        .size:           2
        .value_kind:     hidden_group_size_x
      - .offset:         206
        .size:           2
        .value_kind:     hidden_group_size_y
      - .offset:         208
        .size:           2
        .value_kind:     hidden_group_size_z
      - .offset:         210
        .size:           2
        .value_kind:     hidden_remainder_x
      - .offset:         212
        .size:           2
        .value_kind:     hidden_remainder_y
      - .offset:         214
        .size:           2
        .value_kind:     hidden_remainder_z
      - .offset:         232
        .size:           8
        .value_kind:     hidden_global_offset_x
      - .offset:         240
        .size:           8
        .value_kind:     hidden_global_offset_y
      - .offset:         248
        .size:           8
        .value_kind:     hidden_global_offset_z
      - .offset:         256
        .size:           2
        .value_kind:     hidden_grid_dims
    .group_segment_fixed_size: 0
    .kernarg_segment_align: 8
    .kernarg_segment_size: 448
    .language:       OpenCL C
    .language_version:
      - 2
      - 0
    .max_flat_workgroup_size: 1024
    .name:           _ZL19k_bin_bcast_unravelIXadL_ZL6op_subffEEfffJPKfEEvPKT0_PKT1_PT2_15HIP_vector_typeIjLj3EESB_SB_jSB_SB_SB_SB_SB_SB_iiiiiiiiiiiDpT3_
    .private_segment_fixed_size: 0
    .sgpr_count:     29
    .sgpr_spill_count: 0
    .symbol:         _ZL19k_bin_bcast_unravelIXadL_ZL6op_subffEEfffJPKfEEvPKT0_PKT1_PT2_15HIP_vector_typeIjLj3EESB_SB_jSB_SB_SB_SB_SB_SB_iiiiiiiiiiiDpT3_.kd
    .uniform_work_group_size: 1
    .uses_dynamic_stack: false
    .vgpr_count:     10
    .vgpr_spill_count: 0
    .wavefront_size: 32
  - .args:
      - .address_space:  global
        .offset:         0
        .size:           8
        .value_kind:     global_buffer
      - .address_space:  global
        .offset:         8
        .size:           8
        .value_kind:     global_buffer
      - .address_space:  global
        .offset:         16
        .size:           8
        .value_kind:     global_buffer
      - .offset:         24
        .size:           4
        .value_kind:     by_value
      - .offset:         28
        .size:           4
        .value_kind:     by_value
      - .offset:         32
        .size:           4
        .value_kind:     by_value
      - .offset:         36
        .size:           12
        .value_kind:     by_value
      - .offset:         48
        .size:           12
        .value_kind:     by_value
      - .offset:         60
        .size:           12
        .value_kind:     by_value
      - .offset:         72
        .size:           12
        .value_kind:     by_value
      - .offset:         84
        .size:           12
        .value_kind:     by_value
      - .offset:         96
        .size:           4
        .value_kind:     by_value
      - .offset:         100
        .size:           4
        .value_kind:     by_value
      - .offset:         104
        .size:           4
        .value_kind:     by_value
      - .offset:         108
        .size:           4
        .value_kind:     by_value
      - .offset:         112
        .size:           4
        .value_kind:     by_value
      - .offset:         116
        .size:           4
        .value_kind:     by_value
      - .offset:         120
        .size:           4
        .value_kind:     by_value
      - .offset:         124
        .size:           4
        .value_kind:     by_value
      - .offset:         128
        .size:           4
        .value_kind:     by_value
      - .offset:         132
        .size:           4
        .value_kind:     by_value
      - .offset:         136
        .size:           4
        .value_kind:     by_value
      - .address_space:  global
        .offset:         144
        .size:           8
        .value_kind:     global_buffer
      - .offset:         152
        .size:           4
        .value_kind:     hidden_block_count_x
      - .offset:         156
        .size:           4
        .value_kind:     hidden_block_count_y
      - .offset:         160
        .size:           4
        .value_kind:     hidden_block_count_z
      - .offset:         164
        .size:           2
        .value_kind:     hidden_group_size_x
      - .offset:         166
        .size:           2
        .value_kind:     hidden_group_size_y
      - .offset:         168
        .size:           2
        .value_kind:     hidden_group_size_z
      - .offset:         170
        .size:           2
        .value_kind:     hidden_remainder_x
      - .offset:         172
        .size:           2
        .value_kind:     hidden_remainder_y
      - .offset:         174
        .size:           2
        .value_kind:     hidden_remainder_z
      - .offset:         192
        .size:           8
        .value_kind:     hidden_global_offset_x
      - .offset:         200
        .size:           8
        .value_kind:     hidden_global_offset_y
      - .offset:         208
        .size:           8
        .value_kind:     hidden_global_offset_z
      - .offset:         216
        .size:           2
        .value_kind:     hidden_grid_dims
    .group_segment_fixed_size: 0
    .kernarg_segment_align: 8
    .kernarg_segment_size: 408
    .language:       OpenCL C
    .language_version:
      - 2
      - 0
    .max_flat_workgroup_size: 1024
    .name:           _ZL11k_bin_bcastIXadL_ZL6op_subffEEfffJPKfEEvPKT0_PKT1_PT2_iii15HIP_vector_typeIjLj3EESB_SB_SB_SB_iiiiiiiiiiiDpT3_
    .private_segment_fixed_size: 0
    .sgpr_count:     41
    .sgpr_spill_count: 0
    .symbol:         _ZL11k_bin_bcastIXadL_ZL6op_subffEEfffJPKfEEvPKT0_PKT1_PT2_iii15HIP_vector_typeIjLj3EESB_SB_SB_SB_iiiiiiiiiiiDpT3_.kd
    .uniform_work_group_size: 1
    .uses_dynamic_stack: false
    .vgpr_count:     13
    .vgpr_spill_count: 0
    .wavefront_size: 32
  - .args:
      - .address_space:  global
        .offset:         0
        .size:           8
        .value_kind:     global_buffer
      - .address_space:  global
        .offset:         8
        .size:           8
        .value_kind:     global_buffer
      - .address_space:  global
        .offset:         16
        .size:           8
        .value_kind:     global_buffer
      - .offset:         24
        .size:           12
        .value_kind:     by_value
      - .offset:         36
        .size:           12
        .value_kind:     by_value
      - .offset:         48
        .size:           12
        .value_kind:     by_value
      - .offset:         60
        .size:           4
        .value_kind:     by_value
      - .offset:         64
        .size:           12
        .value_kind:     by_value
      - .offset:         76
        .size:           12
        .value_kind:     by_value
      - .offset:         88
        .size:           12
        .value_kind:     by_value
      - .offset:         100
        .size:           12
        .value_kind:     by_value
      - .offset:         112
        .size:           12
        .value_kind:     by_value
      - .offset:         124
        .size:           12
        .value_kind:     by_value
      - .offset:         136
        .size:           4
        .value_kind:     by_value
      - .offset:         140
        .size:           4
        .value_kind:     by_value
      - .offset:         144
        .size:           4
        .value_kind:     by_value
      - .offset:         148
        .size:           4
        .value_kind:     by_value
      - .offset:         152
        .size:           4
        .value_kind:     by_value
      - .offset:         156
        .size:           4
        .value_kind:     by_value
      - .offset:         160
        .size:           4
        .value_kind:     by_value
      - .offset:         164
        .size:           4
        .value_kind:     by_value
      - .offset:         168
        .size:           4
        .value_kind:     by_value
      - .offset:         172
        .size:           4
        .value_kind:     by_value
      - .offset:         176
        .size:           4
        .value_kind:     by_value
      - .address_space:  global
        .offset:         184
        .size:           8
        .value_kind:     global_buffer
      - .offset:         192
        .size:           4
        .value_kind:     hidden_block_count_x
      - .offset:         196
        .size:           4
        .value_kind:     hidden_block_count_y
      - .offset:         200
        .size:           4
        .value_kind:     hidden_block_count_z
      - .offset:         204
        .size:           2
        .value_kind:     hidden_group_size_x
      - .offset:         206
        .size:           2
        .value_kind:     hidden_group_size_y
      - .offset:         208
        .size:           2
        .value_kind:     hidden_group_size_z
      - .offset:         210
        .size:           2
        .value_kind:     hidden_remainder_x
      - .offset:         212
        .size:           2
        .value_kind:     hidden_remainder_y
      - .offset:         214
        .size:           2
        .value_kind:     hidden_remainder_z
      - .offset:         232
        .size:           8
        .value_kind:     hidden_global_offset_x
      - .offset:         240
        .size:           8
        .value_kind:     hidden_global_offset_y
      - .offset:         248
        .size:           8
        .value_kind:     hidden_global_offset_z
      - .offset:         256
        .size:           2
        .value_kind:     hidden_grid_dims
    .group_segment_fixed_size: 0
    .kernarg_segment_align: 8
    .kernarg_segment_size: 448
    .language:       OpenCL C
    .language_version:
      - 2
      - 0
    .max_flat_workgroup_size: 1024
    .name:           _ZL19k_bin_bcast_unravelIXadL_ZL6op_subffEE6__halfS0_S0_JPKS0_EEvPKT0_PKT1_PT2_15HIP_vector_typeIjLj3EESC_SC_jSC_SC_SC_SC_SC_SC_iiiiiiiiiiiDpT3_
    .private_segment_fixed_size: 0
    .sgpr_count:     29
    .sgpr_spill_count: 0
    .symbol:         _ZL19k_bin_bcast_unravelIXadL_ZL6op_subffEE6__halfS0_S0_JPKS0_EEvPKT0_PKT1_PT2_15HIP_vector_typeIjLj3EESC_SC_jSC_SC_SC_SC_SC_SC_iiiiiiiiiiiDpT3_.kd
    .uniform_work_group_size: 1
    .uses_dynamic_stack: false
    .vgpr_count:     10
    .vgpr_spill_count: 0
    .wavefront_size: 32
  - .args:
      - .address_space:  global
        .offset:         0
        .size:           8
        .value_kind:     global_buffer
      - .address_space:  global
        .offset:         8
        .size:           8
        .value_kind:     global_buffer
      - .address_space:  global
        .offset:         16
        .size:           8
        .value_kind:     global_buffer
      - .offset:         24
        .size:           4
        .value_kind:     by_value
      - .offset:         28
        .size:           4
        .value_kind:     by_value
      - .offset:         32
        .size:           4
        .value_kind:     by_value
      - .offset:         36
        .size:           12
        .value_kind:     by_value
      - .offset:         48
        .size:           12
        .value_kind:     by_value
      - .offset:         60
        .size:           12
        .value_kind:     by_value
      - .offset:         72
        .size:           12
        .value_kind:     by_value
      - .offset:         84
        .size:           12
        .value_kind:     by_value
      - .offset:         96
        .size:           4
        .value_kind:     by_value
      - .offset:         100
        .size:           4
        .value_kind:     by_value
      - .offset:         104
        .size:           4
        .value_kind:     by_value
      - .offset:         108
        .size:           4
        .value_kind:     by_value
      - .offset:         112
        .size:           4
        .value_kind:     by_value
      - .offset:         116
        .size:           4
        .value_kind:     by_value
      - .offset:         120
        .size:           4
        .value_kind:     by_value
      - .offset:         124
        .size:           4
        .value_kind:     by_value
      - .offset:         128
        .size:           4
        .value_kind:     by_value
      - .offset:         132
        .size:           4
        .value_kind:     by_value
      - .offset:         136
        .size:           4
        .value_kind:     by_value
      - .address_space:  global
        .offset:         144
        .size:           8
        .value_kind:     global_buffer
      - .offset:         152
        .size:           4
        .value_kind:     hidden_block_count_x
      - .offset:         156
        .size:           4
        .value_kind:     hidden_block_count_y
      - .offset:         160
        .size:           4
        .value_kind:     hidden_block_count_z
      - .offset:         164
        .size:           2
        .value_kind:     hidden_group_size_x
      - .offset:         166
        .size:           2
        .value_kind:     hidden_group_size_y
      - .offset:         168
        .size:           2
        .value_kind:     hidden_group_size_z
      - .offset:         170
        .size:           2
        .value_kind:     hidden_remainder_x
      - .offset:         172
        .size:           2
        .value_kind:     hidden_remainder_y
      - .offset:         174
        .size:           2
        .value_kind:     hidden_remainder_z
      - .offset:         192
        .size:           8
        .value_kind:     hidden_global_offset_x
      - .offset:         200
        .size:           8
        .value_kind:     hidden_global_offset_y
      - .offset:         208
        .size:           8
        .value_kind:     hidden_global_offset_z
      - .offset:         216
        .size:           2
        .value_kind:     hidden_grid_dims
    .group_segment_fixed_size: 0
    .kernarg_segment_align: 8
    .kernarg_segment_size: 408
    .language:       OpenCL C
    .language_version:
      - 2
      - 0
    .max_flat_workgroup_size: 1024
    .name:           _ZL11k_bin_bcastIXadL_ZL6op_subffEE6__halfS0_S0_JPKS0_EEvPKT0_PKT1_PT2_iii15HIP_vector_typeIjLj3EESC_SC_SC_SC_iiiiiiiiiiiDpT3_
    .private_segment_fixed_size: 0
    .sgpr_count:     41
    .sgpr_spill_count: 0
    .symbol:         _ZL11k_bin_bcastIXadL_ZL6op_subffEE6__halfS0_S0_JPKS0_EEvPKT0_PKT1_PT2_iii15HIP_vector_typeIjLj3EESC_SC_SC_SC_iiiiiiiiiiiDpT3_.kd
    .uniform_work_group_size: 1
    .uses_dynamic_stack: false
    .vgpr_count:     13
    .vgpr_spill_count: 0
    .wavefront_size: 32
  - .args:
      - .address_space:  global
        .offset:         0
        .size:           8
        .value_kind:     global_buffer
      - .address_space:  global
        .offset:         8
        .size:           8
        .value_kind:     global_buffer
      - .address_space:  global
        .offset:         16
        .size:           8
        .value_kind:     global_buffer
      - .offset:         24
        .size:           12
        .value_kind:     by_value
      - .offset:         36
        .size:           12
        .value_kind:     by_value
      - .offset:         48
        .size:           12
        .value_kind:     by_value
      - .offset:         60
        .size:           4
        .value_kind:     by_value
      - .offset:         64
        .size:           12
        .value_kind:     by_value
      - .offset:         76
        .size:           12
        .value_kind:     by_value
      - .offset:         88
        .size:           12
        .value_kind:     by_value
      - .offset:         100
        .size:           12
        .value_kind:     by_value
      - .offset:         112
        .size:           12
        .value_kind:     by_value
      - .offset:         124
        .size:           12
        .value_kind:     by_value
      - .offset:         136
        .size:           4
        .value_kind:     by_value
      - .offset:         140
        .size:           4
        .value_kind:     by_value
      - .offset:         144
        .size:           4
        .value_kind:     by_value
      - .offset:         148
        .size:           4
        .value_kind:     by_value
      - .offset:         152
        .size:           4
        .value_kind:     by_value
      - .offset:         156
        .size:           4
        .value_kind:     by_value
      - .offset:         160
        .size:           4
        .value_kind:     by_value
      - .offset:         164
        .size:           4
        .value_kind:     by_value
      - .offset:         168
        .size:           4
        .value_kind:     by_value
      - .offset:         172
        .size:           4
        .value_kind:     by_value
      - .offset:         176
        .size:           4
        .value_kind:     by_value
      - .address_space:  global
        .offset:         184
        .size:           8
        .value_kind:     global_buffer
      - .offset:         192
        .size:           4
        .value_kind:     hidden_block_count_x
      - .offset:         196
        .size:           4
        .value_kind:     hidden_block_count_y
      - .offset:         200
        .size:           4
        .value_kind:     hidden_block_count_z
      - .offset:         204
        .size:           2
        .value_kind:     hidden_group_size_x
      - .offset:         206
        .size:           2
        .value_kind:     hidden_group_size_y
      - .offset:         208
        .size:           2
        .value_kind:     hidden_group_size_z
      - .offset:         210
        .size:           2
        .value_kind:     hidden_remainder_x
      - .offset:         212
        .size:           2
        .value_kind:     hidden_remainder_y
      - .offset:         214
        .size:           2
        .value_kind:     hidden_remainder_z
      - .offset:         232
        .size:           8
        .value_kind:     hidden_global_offset_x
      - .offset:         240
        .size:           8
        .value_kind:     hidden_global_offset_y
      - .offset:         248
        .size:           8
        .value_kind:     hidden_global_offset_z
      - .offset:         256
        .size:           2
        .value_kind:     hidden_grid_dims
    .group_segment_fixed_size: 0
    .kernarg_segment_align: 8
    .kernarg_segment_size: 448
    .language:       OpenCL C
    .language_version:
      - 2
      - 0
    .max_flat_workgroup_size: 1024
    .name:           _ZL19k_bin_bcast_unravelIXadL_ZL6op_subffEE6__halffS0_JPKfEEvPKT0_PKT1_PT2_15HIP_vector_typeIjLj3EESC_SC_jSC_SC_SC_SC_SC_SC_iiiiiiiiiiiDpT3_
    .private_segment_fixed_size: 0
    .sgpr_count:     29
    .sgpr_spill_count: 0
    .symbol:         _ZL19k_bin_bcast_unravelIXadL_ZL6op_subffEE6__halffS0_JPKfEEvPKT0_PKT1_PT2_15HIP_vector_typeIjLj3EESC_SC_jSC_SC_SC_SC_SC_SC_iiiiiiiiiiiDpT3_.kd
    .uniform_work_group_size: 1
    .uses_dynamic_stack: false
    .vgpr_count:     10
    .vgpr_spill_count: 0
    .wavefront_size: 32
  - .args:
      - .address_space:  global
        .offset:         0
        .size:           8
        .value_kind:     global_buffer
      - .address_space:  global
        .offset:         8
        .size:           8
        .value_kind:     global_buffer
      - .address_space:  global
        .offset:         16
        .size:           8
        .value_kind:     global_buffer
      - .offset:         24
        .size:           4
        .value_kind:     by_value
      - .offset:         28
        .size:           4
        .value_kind:     by_value
      - .offset:         32
        .size:           4
        .value_kind:     by_value
      - .offset:         36
        .size:           12
        .value_kind:     by_value
      - .offset:         48
        .size:           12
        .value_kind:     by_value
      - .offset:         60
        .size:           12
        .value_kind:     by_value
      - .offset:         72
        .size:           12
        .value_kind:     by_value
      - .offset:         84
        .size:           12
        .value_kind:     by_value
      - .offset:         96
        .size:           4
        .value_kind:     by_value
      - .offset:         100
        .size:           4
        .value_kind:     by_value
      - .offset:         104
        .size:           4
        .value_kind:     by_value
      - .offset:         108
        .size:           4
        .value_kind:     by_value
      - .offset:         112
        .size:           4
        .value_kind:     by_value
      - .offset:         116
        .size:           4
        .value_kind:     by_value
      - .offset:         120
        .size:           4
        .value_kind:     by_value
      - .offset:         124
        .size:           4
        .value_kind:     by_value
      - .offset:         128
        .size:           4
        .value_kind:     by_value
      - .offset:         132
        .size:           4
        .value_kind:     by_value
      - .offset:         136
        .size:           4
        .value_kind:     by_value
      - .address_space:  global
        .offset:         144
        .size:           8
        .value_kind:     global_buffer
      - .offset:         152
        .size:           4
        .value_kind:     hidden_block_count_x
      - .offset:         156
        .size:           4
        .value_kind:     hidden_block_count_y
      - .offset:         160
        .size:           4
        .value_kind:     hidden_block_count_z
      - .offset:         164
        .size:           2
        .value_kind:     hidden_group_size_x
      - .offset:         166
        .size:           2
        .value_kind:     hidden_group_size_y
      - .offset:         168
        .size:           2
        .value_kind:     hidden_group_size_z
      - .offset:         170
        .size:           2
        .value_kind:     hidden_remainder_x
      - .offset:         172
        .size:           2
        .value_kind:     hidden_remainder_y
      - .offset:         174
        .size:           2
        .value_kind:     hidden_remainder_z
      - .offset:         192
        .size:           8
        .value_kind:     hidden_global_offset_x
      - .offset:         200
        .size:           8
        .value_kind:     hidden_global_offset_y
      - .offset:         208
        .size:           8
        .value_kind:     hidden_global_offset_z
      - .offset:         216
        .size:           2
        .value_kind:     hidden_grid_dims
    .group_segment_fixed_size: 0
    .kernarg_segment_align: 8
    .kernarg_segment_size: 408
    .language:       OpenCL C
    .language_version:
      - 2
      - 0
    .max_flat_workgroup_size: 1024
    .name:           _ZL11k_bin_bcastIXadL_ZL6op_subffEE6__halffS0_JPKfEEvPKT0_PKT1_PT2_iii15HIP_vector_typeIjLj3EESC_SC_SC_SC_iiiiiiiiiiiDpT3_
    .private_segment_fixed_size: 0
    .sgpr_count:     41
    .sgpr_spill_count: 0
    .symbol:         _ZL11k_bin_bcastIXadL_ZL6op_subffEE6__halffS0_JPKfEEvPKT0_PKT1_PT2_iii15HIP_vector_typeIjLj3EESC_SC_SC_SC_iiiiiiiiiiiDpT3_.kd
    .uniform_work_group_size: 1
    .uses_dynamic_stack: false
    .vgpr_count:     13
    .vgpr_spill_count: 0
    .wavefront_size: 32
  - .args:
      - .address_space:  global
        .offset:         0
        .size:           8
        .value_kind:     global_buffer
      - .address_space:  global
        .offset:         8
        .size:           8
        .value_kind:     global_buffer
      - .address_space:  global
        .offset:         16
        .size:           8
        .value_kind:     global_buffer
      - .offset:         24
        .size:           12
        .value_kind:     by_value
      - .offset:         36
        .size:           12
        .value_kind:     by_value
      - .offset:         48
        .size:           12
        .value_kind:     by_value
      - .offset:         60
        .size:           4
        .value_kind:     by_value
      - .offset:         64
        .size:           12
        .value_kind:     by_value
      - .offset:         76
        .size:           12
        .value_kind:     by_value
      - .offset:         88
        .size:           12
        .value_kind:     by_value
      - .offset:         100
        .size:           12
        .value_kind:     by_value
      - .offset:         112
        .size:           12
        .value_kind:     by_value
      - .offset:         124
        .size:           12
        .value_kind:     by_value
      - .offset:         136
        .size:           4
        .value_kind:     by_value
      - .offset:         140
        .size:           4
        .value_kind:     by_value
      - .offset:         144
        .size:           4
        .value_kind:     by_value
      - .offset:         148
        .size:           4
        .value_kind:     by_value
      - .offset:         152
        .size:           4
        .value_kind:     by_value
      - .offset:         156
        .size:           4
        .value_kind:     by_value
      - .offset:         160
        .size:           4
        .value_kind:     by_value
      - .offset:         164
        .size:           4
        .value_kind:     by_value
      - .offset:         168
        .size:           4
        .value_kind:     by_value
      - .offset:         172
        .size:           4
        .value_kind:     by_value
      - .offset:         176
        .size:           4
        .value_kind:     by_value
      - .address_space:  global
        .offset:         184
        .size:           8
        .value_kind:     global_buffer
      - .offset:         192
        .size:           4
        .value_kind:     hidden_block_count_x
      - .offset:         196
        .size:           4
        .value_kind:     hidden_block_count_y
      - .offset:         200
        .size:           4
        .value_kind:     hidden_block_count_z
      - .offset:         204
        .size:           2
        .value_kind:     hidden_group_size_x
      - .offset:         206
        .size:           2
        .value_kind:     hidden_group_size_y
      - .offset:         208
        .size:           2
        .value_kind:     hidden_group_size_z
      - .offset:         210
        .size:           2
        .value_kind:     hidden_remainder_x
      - .offset:         212
        .size:           2
        .value_kind:     hidden_remainder_y
      - .offset:         214
        .size:           2
        .value_kind:     hidden_remainder_z
      - .offset:         232
        .size:           8
        .value_kind:     hidden_global_offset_x
      - .offset:         240
        .size:           8
        .value_kind:     hidden_global_offset_y
      - .offset:         248
        .size:           8
        .value_kind:     hidden_global_offset_z
      - .offset:         256
        .size:           2
        .value_kind:     hidden_grid_dims
    .group_segment_fixed_size: 0
    .kernarg_segment_align: 8
    .kernarg_segment_size: 448
    .language:       OpenCL C
    .language_version:
      - 2
      - 0
    .max_flat_workgroup_size: 1024
    .name:           _ZL19k_bin_bcast_unravelIXadL_ZL6op_subffEE6__halfffJPKfEEvPKT0_PKT1_PT2_15HIP_vector_typeIjLj3EESC_SC_jSC_SC_SC_SC_SC_SC_iiiiiiiiiiiDpT3_
    .private_segment_fixed_size: 0
    .sgpr_count:     29
    .sgpr_spill_count: 0
    .symbol:         _ZL19k_bin_bcast_unravelIXadL_ZL6op_subffEE6__halfffJPKfEEvPKT0_PKT1_PT2_15HIP_vector_typeIjLj3EESC_SC_jSC_SC_SC_SC_SC_SC_iiiiiiiiiiiDpT3_.kd
    .uniform_work_group_size: 1
    .uses_dynamic_stack: false
    .vgpr_count:     10
    .vgpr_spill_count: 0
    .wavefront_size: 32
  - .args:
      - .address_space:  global
        .offset:         0
        .size:           8
        .value_kind:     global_buffer
      - .address_space:  global
        .offset:         8
        .size:           8
        .value_kind:     global_buffer
      - .address_space:  global
        .offset:         16
        .size:           8
        .value_kind:     global_buffer
      - .offset:         24
        .size:           4
        .value_kind:     by_value
      - .offset:         28
        .size:           4
        .value_kind:     by_value
      - .offset:         32
        .size:           4
        .value_kind:     by_value
      - .offset:         36
        .size:           12
        .value_kind:     by_value
      - .offset:         48
        .size:           12
        .value_kind:     by_value
      - .offset:         60
        .size:           12
        .value_kind:     by_value
      - .offset:         72
        .size:           12
        .value_kind:     by_value
      - .offset:         84
        .size:           12
        .value_kind:     by_value
      - .offset:         96
        .size:           4
        .value_kind:     by_value
      - .offset:         100
        .size:           4
        .value_kind:     by_value
      - .offset:         104
        .size:           4
        .value_kind:     by_value
      - .offset:         108
        .size:           4
        .value_kind:     by_value
      - .offset:         112
        .size:           4
        .value_kind:     by_value
      - .offset:         116
        .size:           4
        .value_kind:     by_value
      - .offset:         120
        .size:           4
        .value_kind:     by_value
      - .offset:         124
        .size:           4
        .value_kind:     by_value
      - .offset:         128
        .size:           4
        .value_kind:     by_value
      - .offset:         132
        .size:           4
        .value_kind:     by_value
      - .offset:         136
        .size:           4
        .value_kind:     by_value
      - .address_space:  global
        .offset:         144
        .size:           8
        .value_kind:     global_buffer
      - .offset:         152
        .size:           4
        .value_kind:     hidden_block_count_x
      - .offset:         156
        .size:           4
        .value_kind:     hidden_block_count_y
      - .offset:         160
        .size:           4
        .value_kind:     hidden_block_count_z
      - .offset:         164
        .size:           2
        .value_kind:     hidden_group_size_x
      - .offset:         166
        .size:           2
        .value_kind:     hidden_group_size_y
      - .offset:         168
        .size:           2
        .value_kind:     hidden_group_size_z
      - .offset:         170
        .size:           2
        .value_kind:     hidden_remainder_x
      - .offset:         172
        .size:           2
        .value_kind:     hidden_remainder_y
      - .offset:         174
        .size:           2
        .value_kind:     hidden_remainder_z
      - .offset:         192
        .size:           8
        .value_kind:     hidden_global_offset_x
      - .offset:         200
        .size:           8
        .value_kind:     hidden_global_offset_y
      - .offset:         208
        .size:           8
        .value_kind:     hidden_global_offset_z
      - .offset:         216
        .size:           2
        .value_kind:     hidden_grid_dims
    .group_segment_fixed_size: 0
    .kernarg_segment_align: 8
    .kernarg_segment_size: 408
    .language:       OpenCL C
    .language_version:
      - 2
      - 0
    .max_flat_workgroup_size: 1024
    .name:           _ZL11k_bin_bcastIXadL_ZL6op_subffEE6__halfffJPKfEEvPKT0_PKT1_PT2_iii15HIP_vector_typeIjLj3EESC_SC_SC_SC_iiiiiiiiiiiDpT3_
    .private_segment_fixed_size: 0
    .sgpr_count:     41
    .sgpr_spill_count: 0
    .symbol:         _ZL11k_bin_bcastIXadL_ZL6op_subffEE6__halfffJPKfEEvPKT0_PKT1_PT2_iii15HIP_vector_typeIjLj3EESC_SC_SC_SC_iiiiiiiiiiiDpT3_.kd
    .uniform_work_group_size: 1
    .uses_dynamic_stack: false
    .vgpr_count:     13
    .vgpr_spill_count: 0
    .wavefront_size: 32
  - .args:
      - .address_space:  global
        .offset:         0
        .size:           8
        .value_kind:     global_buffer
      - .address_space:  global
        .offset:         8
        .size:           8
        .value_kind:     global_buffer
      - .address_space:  global
        .offset:         16
        .size:           8
        .value_kind:     global_buffer
      - .offset:         24
        .size:           12
        .value_kind:     by_value
      - .offset:         36
        .size:           12
        .value_kind:     by_value
      - .offset:         48
        .size:           12
        .value_kind:     by_value
      - .offset:         60
        .size:           4
        .value_kind:     by_value
      - .offset:         64
        .size:           12
        .value_kind:     by_value
      - .offset:         76
        .size:           12
        .value_kind:     by_value
      - .offset:         88
        .size:           12
        .value_kind:     by_value
      - .offset:         100
        .size:           12
        .value_kind:     by_value
      - .offset:         112
        .size:           12
        .value_kind:     by_value
      - .offset:         124
        .size:           12
        .value_kind:     by_value
      - .offset:         136
        .size:           4
        .value_kind:     by_value
      - .offset:         140
        .size:           4
        .value_kind:     by_value
      - .offset:         144
        .size:           4
        .value_kind:     by_value
      - .offset:         148
        .size:           4
        .value_kind:     by_value
      - .offset:         152
        .size:           4
        .value_kind:     by_value
      - .offset:         156
        .size:           4
        .value_kind:     by_value
      - .offset:         160
        .size:           4
        .value_kind:     by_value
      - .offset:         164
        .size:           4
        .value_kind:     by_value
      - .offset:         168
        .size:           4
        .value_kind:     by_value
      - .offset:         172
        .size:           4
        .value_kind:     by_value
      - .offset:         176
        .size:           4
        .value_kind:     by_value
      - .address_space:  global
        .offset:         184
        .size:           8
        .value_kind:     global_buffer
      - .offset:         192
        .size:           4
        .value_kind:     hidden_block_count_x
      - .offset:         196
        .size:           4
        .value_kind:     hidden_block_count_y
      - .offset:         200
        .size:           4
        .value_kind:     hidden_block_count_z
      - .offset:         204
        .size:           2
        .value_kind:     hidden_group_size_x
      - .offset:         206
        .size:           2
        .value_kind:     hidden_group_size_y
      - .offset:         208
        .size:           2
        .value_kind:     hidden_group_size_z
      - .offset:         210
        .size:           2
        .value_kind:     hidden_remainder_x
      - .offset:         212
        .size:           2
        .value_kind:     hidden_remainder_y
      - .offset:         214
        .size:           2
        .value_kind:     hidden_remainder_z
      - .offset:         232
        .size:           8
        .value_kind:     hidden_global_offset_x
      - .offset:         240
        .size:           8
        .value_kind:     hidden_global_offset_y
      - .offset:         248
        .size:           8
        .value_kind:     hidden_global_offset_z
      - .offset:         256
        .size:           2
        .value_kind:     hidden_grid_dims
    .group_segment_fixed_size: 0
    .kernarg_segment_align: 8
    .kernarg_segment_size: 448
    .language:       OpenCL C
    .language_version:
      - 2
      - 0
    .max_flat_workgroup_size: 1024
    .name:           _ZL19k_bin_bcast_unravelIXadL_ZL6op_mulffEEfffJPKfEEvPKT0_PKT1_PT2_15HIP_vector_typeIjLj3EESB_SB_jSB_SB_SB_SB_SB_SB_iiiiiiiiiiiDpT3_
    .private_segment_fixed_size: 0
    .sgpr_count:     29
    .sgpr_spill_count: 0
    .symbol:         _ZL19k_bin_bcast_unravelIXadL_ZL6op_mulffEEfffJPKfEEvPKT0_PKT1_PT2_15HIP_vector_typeIjLj3EESB_SB_jSB_SB_SB_SB_SB_SB_iiiiiiiiiiiDpT3_.kd
    .uniform_work_group_size: 1
    .uses_dynamic_stack: false
    .vgpr_count:     10
    .vgpr_spill_count: 0
    .wavefront_size: 32
  - .args:
      - .address_space:  global
        .offset:         0
        .size:           8
        .value_kind:     global_buffer
      - .address_space:  global
        .offset:         8
        .size:           8
        .value_kind:     global_buffer
      - .address_space:  global
        .offset:         16
        .size:           8
        .value_kind:     global_buffer
      - .offset:         24
        .size:           4
        .value_kind:     by_value
      - .offset:         28
        .size:           4
        .value_kind:     by_value
      - .offset:         32
        .size:           4
        .value_kind:     by_value
      - .offset:         36
        .size:           12
        .value_kind:     by_value
      - .offset:         48
        .size:           12
        .value_kind:     by_value
      - .offset:         60
        .size:           12
        .value_kind:     by_value
      - .offset:         72
        .size:           12
        .value_kind:     by_value
      - .offset:         84
        .size:           12
        .value_kind:     by_value
      - .offset:         96
        .size:           4
        .value_kind:     by_value
      - .offset:         100
        .size:           4
        .value_kind:     by_value
      - .offset:         104
        .size:           4
        .value_kind:     by_value
      - .offset:         108
        .size:           4
        .value_kind:     by_value
      - .offset:         112
        .size:           4
        .value_kind:     by_value
      - .offset:         116
        .size:           4
        .value_kind:     by_value
      - .offset:         120
        .size:           4
        .value_kind:     by_value
      - .offset:         124
        .size:           4
        .value_kind:     by_value
      - .offset:         128
        .size:           4
        .value_kind:     by_value
      - .offset:         132
        .size:           4
        .value_kind:     by_value
      - .offset:         136
        .size:           4
        .value_kind:     by_value
      - .address_space:  global
        .offset:         144
        .size:           8
        .value_kind:     global_buffer
      - .offset:         152
        .size:           4
        .value_kind:     hidden_block_count_x
      - .offset:         156
        .size:           4
        .value_kind:     hidden_block_count_y
      - .offset:         160
        .size:           4
        .value_kind:     hidden_block_count_z
      - .offset:         164
        .size:           2
        .value_kind:     hidden_group_size_x
      - .offset:         166
        .size:           2
        .value_kind:     hidden_group_size_y
      - .offset:         168
        .size:           2
        .value_kind:     hidden_group_size_z
      - .offset:         170
        .size:           2
        .value_kind:     hidden_remainder_x
      - .offset:         172
        .size:           2
        .value_kind:     hidden_remainder_y
      - .offset:         174
        .size:           2
        .value_kind:     hidden_remainder_z
      - .offset:         192
        .size:           8
        .value_kind:     hidden_global_offset_x
      - .offset:         200
        .size:           8
        .value_kind:     hidden_global_offset_y
      - .offset:         208
        .size:           8
        .value_kind:     hidden_global_offset_z
      - .offset:         216
        .size:           2
        .value_kind:     hidden_grid_dims
    .group_segment_fixed_size: 0
    .kernarg_segment_align: 8
    .kernarg_segment_size: 408
    .language:       OpenCL C
    .language_version:
      - 2
      - 0
    .max_flat_workgroup_size: 1024
    .name:           _ZL11k_bin_bcastIXadL_ZL6op_mulffEEfffJPKfEEvPKT0_PKT1_PT2_iii15HIP_vector_typeIjLj3EESB_SB_SB_SB_iiiiiiiiiiiDpT3_
    .private_segment_fixed_size: 0
    .sgpr_count:     41
    .sgpr_spill_count: 0
    .symbol:         _ZL11k_bin_bcastIXadL_ZL6op_mulffEEfffJPKfEEvPKT0_PKT1_PT2_iii15HIP_vector_typeIjLj3EESB_SB_SB_SB_iiiiiiiiiiiDpT3_.kd
    .uniform_work_group_size: 1
    .uses_dynamic_stack: false
    .vgpr_count:     13
    .vgpr_spill_count: 0
    .wavefront_size: 32
  - .args:
      - .address_space:  global
        .offset:         0
        .size:           8
        .value_kind:     global_buffer
      - .address_space:  global
        .offset:         8
        .size:           8
        .value_kind:     global_buffer
      - .address_space:  global
        .offset:         16
        .size:           8
        .value_kind:     global_buffer
      - .offset:         24
        .size:           12
        .value_kind:     by_value
      - .offset:         36
        .size:           12
        .value_kind:     by_value
      - .offset:         48
        .size:           12
        .value_kind:     by_value
      - .offset:         60
        .size:           4
        .value_kind:     by_value
      - .offset:         64
        .size:           12
        .value_kind:     by_value
      - .offset:         76
        .size:           12
        .value_kind:     by_value
      - .offset:         88
        .size:           12
        .value_kind:     by_value
      - .offset:         100
        .size:           12
        .value_kind:     by_value
      - .offset:         112
        .size:           12
        .value_kind:     by_value
      - .offset:         124
        .size:           12
        .value_kind:     by_value
      - .offset:         136
        .size:           4
        .value_kind:     by_value
      - .offset:         140
        .size:           4
        .value_kind:     by_value
      - .offset:         144
        .size:           4
        .value_kind:     by_value
      - .offset:         148
        .size:           4
        .value_kind:     by_value
      - .offset:         152
        .size:           4
        .value_kind:     by_value
      - .offset:         156
        .size:           4
        .value_kind:     by_value
      - .offset:         160
        .size:           4
        .value_kind:     by_value
      - .offset:         164
        .size:           4
        .value_kind:     by_value
      - .offset:         168
        .size:           4
        .value_kind:     by_value
      - .offset:         172
        .size:           4
        .value_kind:     by_value
      - .offset:         176
        .size:           4
        .value_kind:     by_value
      - .address_space:  global
        .offset:         184
        .size:           8
        .value_kind:     global_buffer
      - .offset:         192
        .size:           4
        .value_kind:     hidden_block_count_x
      - .offset:         196
        .size:           4
        .value_kind:     hidden_block_count_y
      - .offset:         200
        .size:           4
        .value_kind:     hidden_block_count_z
      - .offset:         204
        .size:           2
        .value_kind:     hidden_group_size_x
      - .offset:         206
        .size:           2
        .value_kind:     hidden_group_size_y
      - .offset:         208
        .size:           2
        .value_kind:     hidden_group_size_z
      - .offset:         210
        .size:           2
        .value_kind:     hidden_remainder_x
      - .offset:         212
        .size:           2
        .value_kind:     hidden_remainder_y
      - .offset:         214
        .size:           2
        .value_kind:     hidden_remainder_z
      - .offset:         232
        .size:           8
        .value_kind:     hidden_global_offset_x
      - .offset:         240
        .size:           8
        .value_kind:     hidden_global_offset_y
      - .offset:         248
        .size:           8
        .value_kind:     hidden_global_offset_z
      - .offset:         256
        .size:           2
        .value_kind:     hidden_grid_dims
    .group_segment_fixed_size: 0
    .kernarg_segment_align: 8
    .kernarg_segment_size: 448
    .language:       OpenCL C
    .language_version:
      - 2
      - 0
    .max_flat_workgroup_size: 1024
    .name:           _ZL19k_bin_bcast_unravelIXadL_ZL6op_mulffEE6__halfS0_S0_JPKS0_EEvPKT0_PKT1_PT2_15HIP_vector_typeIjLj3EESC_SC_jSC_SC_SC_SC_SC_SC_iiiiiiiiiiiDpT3_
    .private_segment_fixed_size: 0
    .sgpr_count:     29
    .sgpr_spill_count: 0
    .symbol:         _ZL19k_bin_bcast_unravelIXadL_ZL6op_mulffEE6__halfS0_S0_JPKS0_EEvPKT0_PKT1_PT2_15HIP_vector_typeIjLj3EESC_SC_jSC_SC_SC_SC_SC_SC_iiiiiiiiiiiDpT3_.kd
    .uniform_work_group_size: 1
    .uses_dynamic_stack: false
    .vgpr_count:     10
    .vgpr_spill_count: 0
    .wavefront_size: 32
  - .args:
      - .address_space:  global
        .offset:         0
        .size:           8
        .value_kind:     global_buffer
      - .address_space:  global
        .offset:         8
        .size:           8
        .value_kind:     global_buffer
      - .address_space:  global
        .offset:         16
        .size:           8
        .value_kind:     global_buffer
      - .offset:         24
        .size:           4
        .value_kind:     by_value
      - .offset:         28
        .size:           4
        .value_kind:     by_value
      - .offset:         32
        .size:           4
        .value_kind:     by_value
      - .offset:         36
        .size:           12
        .value_kind:     by_value
      - .offset:         48
        .size:           12
        .value_kind:     by_value
      - .offset:         60
        .size:           12
        .value_kind:     by_value
      - .offset:         72
        .size:           12
        .value_kind:     by_value
      - .offset:         84
        .size:           12
        .value_kind:     by_value
      - .offset:         96
        .size:           4
        .value_kind:     by_value
      - .offset:         100
        .size:           4
        .value_kind:     by_value
      - .offset:         104
        .size:           4
        .value_kind:     by_value
      - .offset:         108
        .size:           4
        .value_kind:     by_value
      - .offset:         112
        .size:           4
        .value_kind:     by_value
      - .offset:         116
        .size:           4
        .value_kind:     by_value
      - .offset:         120
        .size:           4
        .value_kind:     by_value
      - .offset:         124
        .size:           4
        .value_kind:     by_value
      - .offset:         128
        .size:           4
        .value_kind:     by_value
      - .offset:         132
        .size:           4
        .value_kind:     by_value
      - .offset:         136
        .size:           4
        .value_kind:     by_value
      - .address_space:  global
        .offset:         144
        .size:           8
        .value_kind:     global_buffer
      - .offset:         152
        .size:           4
        .value_kind:     hidden_block_count_x
      - .offset:         156
        .size:           4
        .value_kind:     hidden_block_count_y
      - .offset:         160
        .size:           4
        .value_kind:     hidden_block_count_z
      - .offset:         164
        .size:           2
        .value_kind:     hidden_group_size_x
      - .offset:         166
        .size:           2
        .value_kind:     hidden_group_size_y
      - .offset:         168
        .size:           2
        .value_kind:     hidden_group_size_z
      - .offset:         170
        .size:           2
        .value_kind:     hidden_remainder_x
      - .offset:         172
        .size:           2
        .value_kind:     hidden_remainder_y
      - .offset:         174
        .size:           2
        .value_kind:     hidden_remainder_z
      - .offset:         192
        .size:           8
        .value_kind:     hidden_global_offset_x
      - .offset:         200
        .size:           8
        .value_kind:     hidden_global_offset_y
      - .offset:         208
        .size:           8
        .value_kind:     hidden_global_offset_z
      - .offset:         216
        .size:           2
        .value_kind:     hidden_grid_dims
    .group_segment_fixed_size: 0
    .kernarg_segment_align: 8
    .kernarg_segment_size: 408
    .language:       OpenCL C
    .language_version:
      - 2
      - 0
    .max_flat_workgroup_size: 1024
    .name:           _ZL11k_bin_bcastIXadL_ZL6op_mulffEE6__halfS0_S0_JPKS0_EEvPKT0_PKT1_PT2_iii15HIP_vector_typeIjLj3EESC_SC_SC_SC_iiiiiiiiiiiDpT3_
    .private_segment_fixed_size: 0
    .sgpr_count:     41
    .sgpr_spill_count: 0
    .symbol:         _ZL11k_bin_bcastIXadL_ZL6op_mulffEE6__halfS0_S0_JPKS0_EEvPKT0_PKT1_PT2_iii15HIP_vector_typeIjLj3EESC_SC_SC_SC_iiiiiiiiiiiDpT3_.kd
    .uniform_work_group_size: 1
    .uses_dynamic_stack: false
    .vgpr_count:     13
    .vgpr_spill_count: 0
    .wavefront_size: 32
  - .args:
      - .address_space:  global
        .offset:         0
        .size:           8
        .value_kind:     global_buffer
      - .address_space:  global
        .offset:         8
        .size:           8
        .value_kind:     global_buffer
      - .address_space:  global
        .offset:         16
        .size:           8
        .value_kind:     global_buffer
      - .offset:         24
        .size:           12
        .value_kind:     by_value
      - .offset:         36
        .size:           12
        .value_kind:     by_value
      - .offset:         48
        .size:           12
        .value_kind:     by_value
      - .offset:         60
        .size:           4
        .value_kind:     by_value
      - .offset:         64
        .size:           12
        .value_kind:     by_value
      - .offset:         76
        .size:           12
        .value_kind:     by_value
      - .offset:         88
        .size:           12
        .value_kind:     by_value
      - .offset:         100
        .size:           12
        .value_kind:     by_value
      - .offset:         112
        .size:           12
        .value_kind:     by_value
      - .offset:         124
        .size:           12
        .value_kind:     by_value
      - .offset:         136
        .size:           4
        .value_kind:     by_value
      - .offset:         140
        .size:           4
        .value_kind:     by_value
      - .offset:         144
        .size:           4
        .value_kind:     by_value
      - .offset:         148
        .size:           4
        .value_kind:     by_value
      - .offset:         152
        .size:           4
        .value_kind:     by_value
      - .offset:         156
        .size:           4
        .value_kind:     by_value
      - .offset:         160
        .size:           4
        .value_kind:     by_value
      - .offset:         164
        .size:           4
        .value_kind:     by_value
      - .offset:         168
        .size:           4
        .value_kind:     by_value
      - .offset:         172
        .size:           4
        .value_kind:     by_value
      - .offset:         176
        .size:           4
        .value_kind:     by_value
      - .address_space:  global
        .offset:         184
        .size:           8
        .value_kind:     global_buffer
      - .offset:         192
        .size:           4
        .value_kind:     hidden_block_count_x
      - .offset:         196
        .size:           4
        .value_kind:     hidden_block_count_y
      - .offset:         200
        .size:           4
        .value_kind:     hidden_block_count_z
      - .offset:         204
        .size:           2
        .value_kind:     hidden_group_size_x
      - .offset:         206
        .size:           2
        .value_kind:     hidden_group_size_y
      - .offset:         208
        .size:           2
        .value_kind:     hidden_group_size_z
      - .offset:         210
        .size:           2
        .value_kind:     hidden_remainder_x
      - .offset:         212
        .size:           2
        .value_kind:     hidden_remainder_y
      - .offset:         214
        .size:           2
        .value_kind:     hidden_remainder_z
      - .offset:         232
        .size:           8
        .value_kind:     hidden_global_offset_x
      - .offset:         240
        .size:           8
        .value_kind:     hidden_global_offset_y
      - .offset:         248
        .size:           8
        .value_kind:     hidden_global_offset_z
      - .offset:         256
        .size:           2
        .value_kind:     hidden_grid_dims
    .group_segment_fixed_size: 0
    .kernarg_segment_align: 8
    .kernarg_segment_size: 448
    .language:       OpenCL C
    .language_version:
      - 2
      - 0
    .max_flat_workgroup_size: 1024
    .name:           _ZL19k_bin_bcast_unravelIXadL_ZL6op_mulffEE6__halffS0_JPKfEEvPKT0_PKT1_PT2_15HIP_vector_typeIjLj3EESC_SC_jSC_SC_SC_SC_SC_SC_iiiiiiiiiiiDpT3_
    .private_segment_fixed_size: 0
    .sgpr_count:     29
    .sgpr_spill_count: 0
    .symbol:         _ZL19k_bin_bcast_unravelIXadL_ZL6op_mulffEE6__halffS0_JPKfEEvPKT0_PKT1_PT2_15HIP_vector_typeIjLj3EESC_SC_jSC_SC_SC_SC_SC_SC_iiiiiiiiiiiDpT3_.kd
    .uniform_work_group_size: 1
    .uses_dynamic_stack: false
    .vgpr_count:     10
    .vgpr_spill_count: 0
    .wavefront_size: 32
  - .args:
      - .address_space:  global
        .offset:         0
        .size:           8
        .value_kind:     global_buffer
      - .address_space:  global
        .offset:         8
        .size:           8
        .value_kind:     global_buffer
      - .address_space:  global
        .offset:         16
        .size:           8
        .value_kind:     global_buffer
      - .offset:         24
        .size:           4
        .value_kind:     by_value
      - .offset:         28
        .size:           4
        .value_kind:     by_value
      - .offset:         32
        .size:           4
        .value_kind:     by_value
      - .offset:         36
        .size:           12
        .value_kind:     by_value
      - .offset:         48
        .size:           12
        .value_kind:     by_value
      - .offset:         60
        .size:           12
        .value_kind:     by_value
      - .offset:         72
        .size:           12
        .value_kind:     by_value
      - .offset:         84
        .size:           12
        .value_kind:     by_value
      - .offset:         96
        .size:           4
        .value_kind:     by_value
      - .offset:         100
        .size:           4
        .value_kind:     by_value
      - .offset:         104
        .size:           4
        .value_kind:     by_value
      - .offset:         108
        .size:           4
        .value_kind:     by_value
      - .offset:         112
        .size:           4
        .value_kind:     by_value
      - .offset:         116
        .size:           4
        .value_kind:     by_value
      - .offset:         120
        .size:           4
        .value_kind:     by_value
      - .offset:         124
        .size:           4
        .value_kind:     by_value
      - .offset:         128
        .size:           4
        .value_kind:     by_value
      - .offset:         132
        .size:           4
        .value_kind:     by_value
      - .offset:         136
        .size:           4
        .value_kind:     by_value
      - .address_space:  global
        .offset:         144
        .size:           8
        .value_kind:     global_buffer
      - .offset:         152
        .size:           4
        .value_kind:     hidden_block_count_x
      - .offset:         156
        .size:           4
        .value_kind:     hidden_block_count_y
      - .offset:         160
        .size:           4
        .value_kind:     hidden_block_count_z
      - .offset:         164
        .size:           2
        .value_kind:     hidden_group_size_x
      - .offset:         166
        .size:           2
        .value_kind:     hidden_group_size_y
      - .offset:         168
        .size:           2
        .value_kind:     hidden_group_size_z
      - .offset:         170
        .size:           2
        .value_kind:     hidden_remainder_x
      - .offset:         172
        .size:           2
        .value_kind:     hidden_remainder_y
      - .offset:         174
        .size:           2
        .value_kind:     hidden_remainder_z
      - .offset:         192
        .size:           8
        .value_kind:     hidden_global_offset_x
      - .offset:         200
        .size:           8
        .value_kind:     hidden_global_offset_y
      - .offset:         208
        .size:           8
        .value_kind:     hidden_global_offset_z
      - .offset:         216
        .size:           2
        .value_kind:     hidden_grid_dims
    .group_segment_fixed_size: 0
    .kernarg_segment_align: 8
    .kernarg_segment_size: 408
    .language:       OpenCL C
    .language_version:
      - 2
      - 0
    .max_flat_workgroup_size: 1024
    .name:           _ZL11k_bin_bcastIXadL_ZL6op_mulffEE6__halffS0_JPKfEEvPKT0_PKT1_PT2_iii15HIP_vector_typeIjLj3EESC_SC_SC_SC_iiiiiiiiiiiDpT3_
    .private_segment_fixed_size: 0
    .sgpr_count:     41
    .sgpr_spill_count: 0
    .symbol:         _ZL11k_bin_bcastIXadL_ZL6op_mulffEE6__halffS0_JPKfEEvPKT0_PKT1_PT2_iii15HIP_vector_typeIjLj3EESC_SC_SC_SC_iiiiiiiiiiiDpT3_.kd
    .uniform_work_group_size: 1
    .uses_dynamic_stack: false
    .vgpr_count:     13
    .vgpr_spill_count: 0
    .wavefront_size: 32
  - .args:
      - .address_space:  global
        .offset:         0
        .size:           8
        .value_kind:     global_buffer
      - .address_space:  global
        .offset:         8
        .size:           8
        .value_kind:     global_buffer
      - .address_space:  global
        .offset:         16
        .size:           8
        .value_kind:     global_buffer
      - .offset:         24
        .size:           12
        .value_kind:     by_value
      - .offset:         36
        .size:           12
        .value_kind:     by_value
      - .offset:         48
        .size:           12
        .value_kind:     by_value
      - .offset:         60
        .size:           4
        .value_kind:     by_value
      - .offset:         64
        .size:           12
        .value_kind:     by_value
      - .offset:         76
        .size:           12
        .value_kind:     by_value
      - .offset:         88
        .size:           12
        .value_kind:     by_value
      - .offset:         100
        .size:           12
        .value_kind:     by_value
      - .offset:         112
        .size:           12
        .value_kind:     by_value
      - .offset:         124
        .size:           12
        .value_kind:     by_value
      - .offset:         136
        .size:           4
        .value_kind:     by_value
      - .offset:         140
        .size:           4
        .value_kind:     by_value
      - .offset:         144
        .size:           4
        .value_kind:     by_value
      - .offset:         148
        .size:           4
        .value_kind:     by_value
      - .offset:         152
        .size:           4
        .value_kind:     by_value
      - .offset:         156
        .size:           4
        .value_kind:     by_value
      - .offset:         160
        .size:           4
        .value_kind:     by_value
      - .offset:         164
        .size:           4
        .value_kind:     by_value
      - .offset:         168
        .size:           4
        .value_kind:     by_value
      - .offset:         172
        .size:           4
        .value_kind:     by_value
      - .offset:         176
        .size:           4
        .value_kind:     by_value
      - .address_space:  global
        .offset:         184
        .size:           8
        .value_kind:     global_buffer
      - .offset:         192
        .size:           4
        .value_kind:     hidden_block_count_x
      - .offset:         196
        .size:           4
        .value_kind:     hidden_block_count_y
      - .offset:         200
        .size:           4
        .value_kind:     hidden_block_count_z
      - .offset:         204
        .size:           2
        .value_kind:     hidden_group_size_x
      - .offset:         206
        .size:           2
        .value_kind:     hidden_group_size_y
      - .offset:         208
        .size:           2
        .value_kind:     hidden_group_size_z
      - .offset:         210
        .size:           2
        .value_kind:     hidden_remainder_x
      - .offset:         212
        .size:           2
        .value_kind:     hidden_remainder_y
      - .offset:         214
        .size:           2
        .value_kind:     hidden_remainder_z
      - .offset:         232
        .size:           8
        .value_kind:     hidden_global_offset_x
      - .offset:         240
        .size:           8
        .value_kind:     hidden_global_offset_y
      - .offset:         248
        .size:           8
        .value_kind:     hidden_global_offset_z
      - .offset:         256
        .size:           2
        .value_kind:     hidden_grid_dims
    .group_segment_fixed_size: 0
    .kernarg_segment_align: 8
    .kernarg_segment_size: 448
    .language:       OpenCL C
    .language_version:
      - 2
      - 0
    .max_flat_workgroup_size: 1024
    .name:           _ZL19k_bin_bcast_unravelIXadL_ZL6op_mulffEE6__halfffJPKfEEvPKT0_PKT1_PT2_15HIP_vector_typeIjLj3EESC_SC_jSC_SC_SC_SC_SC_SC_iiiiiiiiiiiDpT3_
    .private_segment_fixed_size: 0
    .sgpr_count:     29
    .sgpr_spill_count: 0
    .symbol:         _ZL19k_bin_bcast_unravelIXadL_ZL6op_mulffEE6__halfffJPKfEEvPKT0_PKT1_PT2_15HIP_vector_typeIjLj3EESC_SC_jSC_SC_SC_SC_SC_SC_iiiiiiiiiiiDpT3_.kd
    .uniform_work_group_size: 1
    .uses_dynamic_stack: false
    .vgpr_count:     10
    .vgpr_spill_count: 0
    .wavefront_size: 32
  - .args:
      - .address_space:  global
        .offset:         0
        .size:           8
        .value_kind:     global_buffer
      - .address_space:  global
        .offset:         8
        .size:           8
        .value_kind:     global_buffer
      - .address_space:  global
        .offset:         16
        .size:           8
        .value_kind:     global_buffer
      - .offset:         24
        .size:           4
        .value_kind:     by_value
      - .offset:         28
        .size:           4
        .value_kind:     by_value
      - .offset:         32
        .size:           4
        .value_kind:     by_value
      - .offset:         36
        .size:           12
        .value_kind:     by_value
      - .offset:         48
        .size:           12
        .value_kind:     by_value
      - .offset:         60
        .size:           12
        .value_kind:     by_value
      - .offset:         72
        .size:           12
        .value_kind:     by_value
      - .offset:         84
        .size:           12
        .value_kind:     by_value
      - .offset:         96
        .size:           4
        .value_kind:     by_value
      - .offset:         100
        .size:           4
        .value_kind:     by_value
      - .offset:         104
        .size:           4
        .value_kind:     by_value
      - .offset:         108
        .size:           4
        .value_kind:     by_value
      - .offset:         112
        .size:           4
        .value_kind:     by_value
      - .offset:         116
        .size:           4
        .value_kind:     by_value
      - .offset:         120
        .size:           4
        .value_kind:     by_value
      - .offset:         124
        .size:           4
        .value_kind:     by_value
      - .offset:         128
        .size:           4
        .value_kind:     by_value
      - .offset:         132
        .size:           4
        .value_kind:     by_value
      - .offset:         136
        .size:           4
        .value_kind:     by_value
      - .address_space:  global
        .offset:         144
        .size:           8
        .value_kind:     global_buffer
      - .offset:         152
        .size:           4
        .value_kind:     hidden_block_count_x
      - .offset:         156
        .size:           4
        .value_kind:     hidden_block_count_y
      - .offset:         160
        .size:           4
        .value_kind:     hidden_block_count_z
      - .offset:         164
        .size:           2
        .value_kind:     hidden_group_size_x
      - .offset:         166
        .size:           2
        .value_kind:     hidden_group_size_y
      - .offset:         168
        .size:           2
        .value_kind:     hidden_group_size_z
      - .offset:         170
        .size:           2
        .value_kind:     hidden_remainder_x
      - .offset:         172
        .size:           2
        .value_kind:     hidden_remainder_y
      - .offset:         174
        .size:           2
        .value_kind:     hidden_remainder_z
      - .offset:         192
        .size:           8
        .value_kind:     hidden_global_offset_x
      - .offset:         200
        .size:           8
        .value_kind:     hidden_global_offset_y
      - .offset:         208
        .size:           8
        .value_kind:     hidden_global_offset_z
      - .offset:         216
        .size:           2
        .value_kind:     hidden_grid_dims
    .group_segment_fixed_size: 0
    .kernarg_segment_align: 8
    .kernarg_segment_size: 408
    .language:       OpenCL C
    .language_version:
      - 2
      - 0
    .max_flat_workgroup_size: 1024
    .name:           _ZL11k_bin_bcastIXadL_ZL6op_mulffEE6__halfffJPKfEEvPKT0_PKT1_PT2_iii15HIP_vector_typeIjLj3EESC_SC_SC_SC_iiiiiiiiiiiDpT3_
    .private_segment_fixed_size: 0
    .sgpr_count:     41
    .sgpr_spill_count: 0
    .symbol:         _ZL11k_bin_bcastIXadL_ZL6op_mulffEE6__halfffJPKfEEvPKT0_PKT1_PT2_iii15HIP_vector_typeIjLj3EESC_SC_SC_SC_iiiiiiiiiiiDpT3_.kd
    .uniform_work_group_size: 1
    .uses_dynamic_stack: false
    .vgpr_count:     13
    .vgpr_spill_count: 0
    .wavefront_size: 32
  - .args:
      - .address_space:  global
        .offset:         0
        .size:           8
        .value_kind:     global_buffer
      - .address_space:  global
        .offset:         8
        .size:           8
        .value_kind:     global_buffer
      - .address_space:  global
        .offset:         16
        .size:           8
        .value_kind:     global_buffer
      - .offset:         24
        .size:           12
        .value_kind:     by_value
      - .offset:         36
        .size:           12
        .value_kind:     by_value
      - .offset:         48
        .size:           12
        .value_kind:     by_value
      - .offset:         60
        .size:           4
        .value_kind:     by_value
      - .offset:         64
        .size:           12
        .value_kind:     by_value
      - .offset:         76
        .size:           12
        .value_kind:     by_value
      - .offset:         88
        .size:           12
        .value_kind:     by_value
      - .offset:         100
        .size:           12
        .value_kind:     by_value
      - .offset:         112
        .size:           12
        .value_kind:     by_value
      - .offset:         124
        .size:           12
        .value_kind:     by_value
      - .offset:         136
        .size:           4
        .value_kind:     by_value
      - .offset:         140
        .size:           4
        .value_kind:     by_value
      - .offset:         144
        .size:           4
        .value_kind:     by_value
      - .offset:         148
        .size:           4
        .value_kind:     by_value
      - .offset:         152
        .size:           4
        .value_kind:     by_value
      - .offset:         156
        .size:           4
        .value_kind:     by_value
      - .offset:         160
        .size:           4
        .value_kind:     by_value
      - .offset:         164
        .size:           4
        .value_kind:     by_value
      - .offset:         168
        .size:           4
        .value_kind:     by_value
      - .offset:         172
        .size:           4
        .value_kind:     by_value
      - .offset:         176
        .size:           4
        .value_kind:     by_value
      - .address_space:  global
        .offset:         184
        .size:           8
        .value_kind:     global_buffer
      - .offset:         192
        .size:           4
        .value_kind:     hidden_block_count_x
      - .offset:         196
        .size:           4
        .value_kind:     hidden_block_count_y
      - .offset:         200
        .size:           4
        .value_kind:     hidden_block_count_z
      - .offset:         204
        .size:           2
        .value_kind:     hidden_group_size_x
      - .offset:         206
        .size:           2
        .value_kind:     hidden_group_size_y
      - .offset:         208
        .size:           2
        .value_kind:     hidden_group_size_z
      - .offset:         210
        .size:           2
        .value_kind:     hidden_remainder_x
      - .offset:         212
        .size:           2
        .value_kind:     hidden_remainder_y
      - .offset:         214
        .size:           2
        .value_kind:     hidden_remainder_z
      - .offset:         232
        .size:           8
        .value_kind:     hidden_global_offset_x
      - .offset:         240
        .size:           8
        .value_kind:     hidden_global_offset_y
      - .offset:         248
        .size:           8
        .value_kind:     hidden_global_offset_z
      - .offset:         256
        .size:           2
        .value_kind:     hidden_grid_dims
    .group_segment_fixed_size: 0
    .kernarg_segment_align: 8
    .kernarg_segment_size: 448
    .language:       OpenCL C
    .language_version:
      - 2
      - 0
    .max_flat_workgroup_size: 1024
    .name:           _ZL19k_bin_bcast_unravelIXadL_ZL6op_divffEEfffJPKfEEvPKT0_PKT1_PT2_15HIP_vector_typeIjLj3EESB_SB_jSB_SB_SB_SB_SB_SB_iiiiiiiiiiiDpT3_
    .private_segment_fixed_size: 0
    .sgpr_count:     29
    .sgpr_spill_count: 0
    .symbol:         _ZL19k_bin_bcast_unravelIXadL_ZL6op_divffEEfffJPKfEEvPKT0_PKT1_PT2_15HIP_vector_typeIjLj3EESB_SB_jSB_SB_SB_SB_SB_SB_iiiiiiiiiiiDpT3_.kd
    .uniform_work_group_size: 1
    .uses_dynamic_stack: false
    .vgpr_count:     12
    .vgpr_spill_count: 0
    .wavefront_size: 32
  - .args:
      - .address_space:  global
        .offset:         0
        .size:           8
        .value_kind:     global_buffer
      - .address_space:  global
        .offset:         8
        .size:           8
        .value_kind:     global_buffer
      - .address_space:  global
        .offset:         16
        .size:           8
        .value_kind:     global_buffer
      - .offset:         24
        .size:           4
        .value_kind:     by_value
      - .offset:         28
        .size:           4
        .value_kind:     by_value
      - .offset:         32
        .size:           4
        .value_kind:     by_value
      - .offset:         36
        .size:           12
        .value_kind:     by_value
      - .offset:         48
        .size:           12
        .value_kind:     by_value
      - .offset:         60
        .size:           12
        .value_kind:     by_value
      - .offset:         72
        .size:           12
        .value_kind:     by_value
      - .offset:         84
        .size:           12
        .value_kind:     by_value
      - .offset:         96
        .size:           4
        .value_kind:     by_value
      - .offset:         100
        .size:           4
        .value_kind:     by_value
      - .offset:         104
        .size:           4
        .value_kind:     by_value
      - .offset:         108
        .size:           4
        .value_kind:     by_value
      - .offset:         112
        .size:           4
        .value_kind:     by_value
      - .offset:         116
        .size:           4
        .value_kind:     by_value
      - .offset:         120
        .size:           4
        .value_kind:     by_value
      - .offset:         124
        .size:           4
        .value_kind:     by_value
      - .offset:         128
        .size:           4
        .value_kind:     by_value
      - .offset:         132
        .size:           4
        .value_kind:     by_value
      - .offset:         136
        .size:           4
        .value_kind:     by_value
      - .address_space:  global
        .offset:         144
        .size:           8
        .value_kind:     global_buffer
      - .offset:         152
        .size:           4
        .value_kind:     hidden_block_count_x
      - .offset:         156
        .size:           4
        .value_kind:     hidden_block_count_y
      - .offset:         160
        .size:           4
        .value_kind:     hidden_block_count_z
      - .offset:         164
        .size:           2
        .value_kind:     hidden_group_size_x
      - .offset:         166
        .size:           2
        .value_kind:     hidden_group_size_y
      - .offset:         168
        .size:           2
        .value_kind:     hidden_group_size_z
      - .offset:         170
        .size:           2
        .value_kind:     hidden_remainder_x
      - .offset:         172
        .size:           2
        .value_kind:     hidden_remainder_y
      - .offset:         174
        .size:           2
        .value_kind:     hidden_remainder_z
      - .offset:         192
        .size:           8
        .value_kind:     hidden_global_offset_x
      - .offset:         200
        .size:           8
        .value_kind:     hidden_global_offset_y
      - .offset:         208
        .size:           8
        .value_kind:     hidden_global_offset_z
      - .offset:         216
        .size:           2
        .value_kind:     hidden_grid_dims
    .group_segment_fixed_size: 0
    .kernarg_segment_align: 8
    .kernarg_segment_size: 408
    .language:       OpenCL C
    .language_version:
      - 2
      - 0
    .max_flat_workgroup_size: 1024
    .name:           _ZL11k_bin_bcastIXadL_ZL6op_divffEEfffJPKfEEvPKT0_PKT1_PT2_iii15HIP_vector_typeIjLj3EESB_SB_SB_SB_iiiiiiiiiiiDpT3_
    .private_segment_fixed_size: 0
    .sgpr_count:     41
    .sgpr_spill_count: 0
    .symbol:         _ZL11k_bin_bcastIXadL_ZL6op_divffEEfffJPKfEEvPKT0_PKT1_PT2_iii15HIP_vector_typeIjLj3EESB_SB_SB_SB_iiiiiiiiiiiDpT3_.kd
    .uniform_work_group_size: 1
    .uses_dynamic_stack: false
    .vgpr_count:     16
    .vgpr_spill_count: 0
    .wavefront_size: 32
  - .args:
      - .address_space:  global
        .offset:         0
        .size:           8
        .value_kind:     global_buffer
      - .address_space:  global
        .offset:         8
        .size:           8
        .value_kind:     global_buffer
      - .address_space:  global
        .offset:         16
        .size:           8
        .value_kind:     global_buffer
      - .offset:         24
        .size:           12
        .value_kind:     by_value
      - .offset:         36
        .size:           12
        .value_kind:     by_value
      - .offset:         48
        .size:           12
        .value_kind:     by_value
      - .offset:         60
        .size:           4
        .value_kind:     by_value
      - .offset:         64
        .size:           12
        .value_kind:     by_value
      - .offset:         76
        .size:           12
        .value_kind:     by_value
      - .offset:         88
        .size:           12
        .value_kind:     by_value
      - .offset:         100
        .size:           12
        .value_kind:     by_value
      - .offset:         112
        .size:           12
        .value_kind:     by_value
      - .offset:         124
        .size:           12
        .value_kind:     by_value
      - .offset:         136
        .size:           4
        .value_kind:     by_value
      - .offset:         140
        .size:           4
        .value_kind:     by_value
      - .offset:         144
        .size:           4
        .value_kind:     by_value
      - .offset:         148
        .size:           4
        .value_kind:     by_value
      - .offset:         152
        .size:           4
        .value_kind:     by_value
      - .offset:         156
        .size:           4
        .value_kind:     by_value
      - .offset:         160
        .size:           4
        .value_kind:     by_value
      - .offset:         164
        .size:           4
        .value_kind:     by_value
      - .offset:         168
        .size:           4
        .value_kind:     by_value
      - .offset:         172
        .size:           4
        .value_kind:     by_value
      - .offset:         176
        .size:           4
        .value_kind:     by_value
      - .address_space:  global
        .offset:         184
        .size:           8
        .value_kind:     global_buffer
      - .offset:         192
        .size:           4
        .value_kind:     hidden_block_count_x
      - .offset:         196
        .size:           4
        .value_kind:     hidden_block_count_y
      - .offset:         200
        .size:           4
        .value_kind:     hidden_block_count_z
      - .offset:         204
        .size:           2
        .value_kind:     hidden_group_size_x
      - .offset:         206
        .size:           2
        .value_kind:     hidden_group_size_y
      - .offset:         208
        .size:           2
        .value_kind:     hidden_group_size_z
      - .offset:         210
        .size:           2
        .value_kind:     hidden_remainder_x
      - .offset:         212
        .size:           2
        .value_kind:     hidden_remainder_y
      - .offset:         214
        .size:           2
        .value_kind:     hidden_remainder_z
      - .offset:         232
        .size:           8
        .value_kind:     hidden_global_offset_x
      - .offset:         240
        .size:           8
        .value_kind:     hidden_global_offset_y
      - .offset:         248
        .size:           8
        .value_kind:     hidden_global_offset_z
      - .offset:         256
        .size:           2
        .value_kind:     hidden_grid_dims
    .group_segment_fixed_size: 0
    .kernarg_segment_align: 8
    .kernarg_segment_size: 448
    .language:       OpenCL C
    .language_version:
      - 2
      - 0
    .max_flat_workgroup_size: 1024
    .name:           _ZL19k_bin_bcast_unravelIXadL_ZL6op_divffEE6__halfS0_S0_JPKS0_EEvPKT0_PKT1_PT2_15HIP_vector_typeIjLj3EESC_SC_jSC_SC_SC_SC_SC_SC_iiiiiiiiiiiDpT3_
    .private_segment_fixed_size: 0
    .sgpr_count:     29
    .sgpr_spill_count: 0
    .symbol:         _ZL19k_bin_bcast_unravelIXadL_ZL6op_divffEE6__halfS0_S0_JPKS0_EEvPKT0_PKT1_PT2_15HIP_vector_typeIjLj3EESC_SC_jSC_SC_SC_SC_SC_SC_iiiiiiiiiiiDpT3_.kd
    .uniform_work_group_size: 1
    .uses_dynamic_stack: false
    .vgpr_count:     11
    .vgpr_spill_count: 0
    .wavefront_size: 32
  - .args:
      - .address_space:  global
        .offset:         0
        .size:           8
        .value_kind:     global_buffer
      - .address_space:  global
        .offset:         8
        .size:           8
        .value_kind:     global_buffer
      - .address_space:  global
        .offset:         16
        .size:           8
        .value_kind:     global_buffer
      - .offset:         24
        .size:           4
        .value_kind:     by_value
      - .offset:         28
        .size:           4
        .value_kind:     by_value
      - .offset:         32
        .size:           4
        .value_kind:     by_value
      - .offset:         36
        .size:           12
        .value_kind:     by_value
      - .offset:         48
        .size:           12
        .value_kind:     by_value
      - .offset:         60
        .size:           12
        .value_kind:     by_value
      - .offset:         72
        .size:           12
        .value_kind:     by_value
      - .offset:         84
        .size:           12
        .value_kind:     by_value
      - .offset:         96
        .size:           4
        .value_kind:     by_value
      - .offset:         100
        .size:           4
        .value_kind:     by_value
      - .offset:         104
        .size:           4
        .value_kind:     by_value
      - .offset:         108
        .size:           4
        .value_kind:     by_value
      - .offset:         112
        .size:           4
        .value_kind:     by_value
      - .offset:         116
        .size:           4
        .value_kind:     by_value
      - .offset:         120
        .size:           4
        .value_kind:     by_value
      - .offset:         124
        .size:           4
        .value_kind:     by_value
      - .offset:         128
        .size:           4
        .value_kind:     by_value
      - .offset:         132
        .size:           4
        .value_kind:     by_value
      - .offset:         136
        .size:           4
        .value_kind:     by_value
      - .address_space:  global
        .offset:         144
        .size:           8
        .value_kind:     global_buffer
      - .offset:         152
        .size:           4
        .value_kind:     hidden_block_count_x
      - .offset:         156
        .size:           4
        .value_kind:     hidden_block_count_y
      - .offset:         160
        .size:           4
        .value_kind:     hidden_block_count_z
      - .offset:         164
        .size:           2
        .value_kind:     hidden_group_size_x
      - .offset:         166
        .size:           2
        .value_kind:     hidden_group_size_y
      - .offset:         168
        .size:           2
        .value_kind:     hidden_group_size_z
      - .offset:         170
        .size:           2
        .value_kind:     hidden_remainder_x
      - .offset:         172
        .size:           2
        .value_kind:     hidden_remainder_y
      - .offset:         174
        .size:           2
        .value_kind:     hidden_remainder_z
      - .offset:         192
        .size:           8
        .value_kind:     hidden_global_offset_x
      - .offset:         200
        .size:           8
        .value_kind:     hidden_global_offset_y
      - .offset:         208
        .size:           8
        .value_kind:     hidden_global_offset_z
      - .offset:         216
        .size:           2
        .value_kind:     hidden_grid_dims
    .group_segment_fixed_size: 0
    .kernarg_segment_align: 8
    .kernarg_segment_size: 408
    .language:       OpenCL C
    .language_version:
      - 2
      - 0
    .max_flat_workgroup_size: 1024
    .name:           _ZL11k_bin_bcastIXadL_ZL6op_divffEE6__halfS0_S0_JPKS0_EEvPKT0_PKT1_PT2_iii15HIP_vector_typeIjLj3EESC_SC_SC_SC_iiiiiiiiiiiDpT3_
    .private_segment_fixed_size: 0
    .sgpr_count:     41
    .sgpr_spill_count: 0
    .symbol:         _ZL11k_bin_bcastIXadL_ZL6op_divffEE6__halfS0_S0_JPKS0_EEvPKT0_PKT1_PT2_iii15HIP_vector_typeIjLj3EESC_SC_SC_SC_iiiiiiiiiiiDpT3_.kd
    .uniform_work_group_size: 1
    .uses_dynamic_stack: false
    .vgpr_count:     16
    .vgpr_spill_count: 0
    .wavefront_size: 32
  - .args:
      - .address_space:  global
        .offset:         0
        .size:           8
        .value_kind:     global_buffer
      - .address_space:  global
        .offset:         8
        .size:           8
        .value_kind:     global_buffer
      - .address_space:  global
        .offset:         16
        .size:           8
        .value_kind:     global_buffer
      - .offset:         24
        .size:           12
        .value_kind:     by_value
      - .offset:         36
        .size:           12
        .value_kind:     by_value
      - .offset:         48
        .size:           12
        .value_kind:     by_value
      - .offset:         60
        .size:           4
        .value_kind:     by_value
      - .offset:         64
        .size:           12
        .value_kind:     by_value
      - .offset:         76
        .size:           12
        .value_kind:     by_value
      - .offset:         88
        .size:           12
        .value_kind:     by_value
      - .offset:         100
        .size:           12
        .value_kind:     by_value
      - .offset:         112
        .size:           12
        .value_kind:     by_value
      - .offset:         124
        .size:           12
        .value_kind:     by_value
      - .offset:         136
        .size:           4
        .value_kind:     by_value
      - .offset:         140
        .size:           4
        .value_kind:     by_value
      - .offset:         144
        .size:           4
        .value_kind:     by_value
      - .offset:         148
        .size:           4
        .value_kind:     by_value
      - .offset:         152
        .size:           4
        .value_kind:     by_value
      - .offset:         156
        .size:           4
        .value_kind:     by_value
      - .offset:         160
        .size:           4
        .value_kind:     by_value
      - .offset:         164
        .size:           4
        .value_kind:     by_value
      - .offset:         168
        .size:           4
        .value_kind:     by_value
      - .offset:         172
        .size:           4
        .value_kind:     by_value
      - .offset:         176
        .size:           4
        .value_kind:     by_value
      - .address_space:  global
        .offset:         184
        .size:           8
        .value_kind:     global_buffer
      - .offset:         192
        .size:           4
        .value_kind:     hidden_block_count_x
      - .offset:         196
        .size:           4
        .value_kind:     hidden_block_count_y
      - .offset:         200
        .size:           4
        .value_kind:     hidden_block_count_z
      - .offset:         204
        .size:           2
        .value_kind:     hidden_group_size_x
      - .offset:         206
        .size:           2
        .value_kind:     hidden_group_size_y
      - .offset:         208
        .size:           2
        .value_kind:     hidden_group_size_z
      - .offset:         210
        .size:           2
        .value_kind:     hidden_remainder_x
      - .offset:         212
        .size:           2
        .value_kind:     hidden_remainder_y
      - .offset:         214
        .size:           2
        .value_kind:     hidden_remainder_z
      - .offset:         232
        .size:           8
        .value_kind:     hidden_global_offset_x
      - .offset:         240
        .size:           8
        .value_kind:     hidden_global_offset_y
      - .offset:         248
        .size:           8
        .value_kind:     hidden_global_offset_z
      - .offset:         256
        .size:           2
        .value_kind:     hidden_grid_dims
    .group_segment_fixed_size: 0
    .kernarg_segment_align: 8
    .kernarg_segment_size: 448
    .language:       OpenCL C
    .language_version:
      - 2
      - 0
    .max_flat_workgroup_size: 1024
    .name:           _ZL19k_bin_bcast_unravelIXadL_ZL6op_divffEE6__halffS0_JPKfEEvPKT0_PKT1_PT2_15HIP_vector_typeIjLj3EESC_SC_jSC_SC_SC_SC_SC_SC_iiiiiiiiiiiDpT3_
    .private_segment_fixed_size: 0
    .sgpr_count:     29
    .sgpr_spill_count: 0
    .symbol:         _ZL19k_bin_bcast_unravelIXadL_ZL6op_divffEE6__halffS0_JPKfEEvPKT0_PKT1_PT2_15HIP_vector_typeIjLj3EESC_SC_jSC_SC_SC_SC_SC_SC_iiiiiiiiiiiDpT3_.kd
    .uniform_work_group_size: 1
    .uses_dynamic_stack: false
    .vgpr_count:     11
    .vgpr_spill_count: 0
    .wavefront_size: 32
  - .args:
      - .address_space:  global
        .offset:         0
        .size:           8
        .value_kind:     global_buffer
      - .address_space:  global
        .offset:         8
        .size:           8
        .value_kind:     global_buffer
      - .address_space:  global
        .offset:         16
        .size:           8
        .value_kind:     global_buffer
      - .offset:         24
        .size:           4
        .value_kind:     by_value
      - .offset:         28
        .size:           4
        .value_kind:     by_value
      - .offset:         32
        .size:           4
        .value_kind:     by_value
      - .offset:         36
        .size:           12
        .value_kind:     by_value
      - .offset:         48
        .size:           12
        .value_kind:     by_value
      - .offset:         60
        .size:           12
        .value_kind:     by_value
      - .offset:         72
        .size:           12
        .value_kind:     by_value
      - .offset:         84
        .size:           12
        .value_kind:     by_value
      - .offset:         96
        .size:           4
        .value_kind:     by_value
      - .offset:         100
        .size:           4
        .value_kind:     by_value
      - .offset:         104
        .size:           4
        .value_kind:     by_value
      - .offset:         108
        .size:           4
        .value_kind:     by_value
      - .offset:         112
        .size:           4
        .value_kind:     by_value
      - .offset:         116
        .size:           4
        .value_kind:     by_value
      - .offset:         120
        .size:           4
        .value_kind:     by_value
      - .offset:         124
        .size:           4
        .value_kind:     by_value
      - .offset:         128
        .size:           4
        .value_kind:     by_value
      - .offset:         132
        .size:           4
        .value_kind:     by_value
      - .offset:         136
        .size:           4
        .value_kind:     by_value
      - .address_space:  global
        .offset:         144
        .size:           8
        .value_kind:     global_buffer
      - .offset:         152
        .size:           4
        .value_kind:     hidden_block_count_x
      - .offset:         156
        .size:           4
        .value_kind:     hidden_block_count_y
      - .offset:         160
        .size:           4
        .value_kind:     hidden_block_count_z
      - .offset:         164
        .size:           2
        .value_kind:     hidden_group_size_x
      - .offset:         166
        .size:           2
        .value_kind:     hidden_group_size_y
      - .offset:         168
        .size:           2
        .value_kind:     hidden_group_size_z
      - .offset:         170
        .size:           2
        .value_kind:     hidden_remainder_x
      - .offset:         172
        .size:           2
        .value_kind:     hidden_remainder_y
      - .offset:         174
        .size:           2
        .value_kind:     hidden_remainder_z
      - .offset:         192
        .size:           8
        .value_kind:     hidden_global_offset_x
      - .offset:         200
        .size:           8
        .value_kind:     hidden_global_offset_y
      - .offset:         208
        .size:           8
        .value_kind:     hidden_global_offset_z
      - .offset:         216
        .size:           2
        .value_kind:     hidden_grid_dims
    .group_segment_fixed_size: 0
    .kernarg_segment_align: 8
    .kernarg_segment_size: 408
    .language:       OpenCL C
    .language_version:
      - 2
      - 0
    .max_flat_workgroup_size: 1024
    .name:           _ZL11k_bin_bcastIXadL_ZL6op_divffEE6__halffS0_JPKfEEvPKT0_PKT1_PT2_iii15HIP_vector_typeIjLj3EESC_SC_SC_SC_iiiiiiiiiiiDpT3_
    .private_segment_fixed_size: 0
    .sgpr_count:     41
    .sgpr_spill_count: 0
    .symbol:         _ZL11k_bin_bcastIXadL_ZL6op_divffEE6__halffS0_JPKfEEvPKT0_PKT1_PT2_iii15HIP_vector_typeIjLj3EESC_SC_SC_SC_iiiiiiiiiiiDpT3_.kd
    .uniform_work_group_size: 1
    .uses_dynamic_stack: false
    .vgpr_count:     16
    .vgpr_spill_count: 0
    .wavefront_size: 32
  - .args:
      - .address_space:  global
        .offset:         0
        .size:           8
        .value_kind:     global_buffer
      - .address_space:  global
        .offset:         8
        .size:           8
        .value_kind:     global_buffer
      - .address_space:  global
        .offset:         16
        .size:           8
        .value_kind:     global_buffer
      - .offset:         24
        .size:           12
        .value_kind:     by_value
      - .offset:         36
        .size:           12
        .value_kind:     by_value
      - .offset:         48
        .size:           12
        .value_kind:     by_value
      - .offset:         60
        .size:           4
        .value_kind:     by_value
      - .offset:         64
        .size:           12
        .value_kind:     by_value
      - .offset:         76
        .size:           12
        .value_kind:     by_value
      - .offset:         88
        .size:           12
        .value_kind:     by_value
      - .offset:         100
        .size:           12
        .value_kind:     by_value
      - .offset:         112
        .size:           12
        .value_kind:     by_value
      - .offset:         124
        .size:           12
        .value_kind:     by_value
      - .offset:         136
        .size:           4
        .value_kind:     by_value
      - .offset:         140
        .size:           4
        .value_kind:     by_value
      - .offset:         144
        .size:           4
        .value_kind:     by_value
      - .offset:         148
        .size:           4
        .value_kind:     by_value
      - .offset:         152
        .size:           4
        .value_kind:     by_value
      - .offset:         156
        .size:           4
        .value_kind:     by_value
      - .offset:         160
        .size:           4
        .value_kind:     by_value
      - .offset:         164
        .size:           4
        .value_kind:     by_value
      - .offset:         168
        .size:           4
        .value_kind:     by_value
      - .offset:         172
        .size:           4
        .value_kind:     by_value
      - .offset:         176
        .size:           4
        .value_kind:     by_value
      - .address_space:  global
        .offset:         184
        .size:           8
        .value_kind:     global_buffer
      - .offset:         192
        .size:           4
        .value_kind:     hidden_block_count_x
      - .offset:         196
        .size:           4
        .value_kind:     hidden_block_count_y
      - .offset:         200
        .size:           4
        .value_kind:     hidden_block_count_z
      - .offset:         204
        .size:           2
        .value_kind:     hidden_group_size_x
      - .offset:         206
        .size:           2
        .value_kind:     hidden_group_size_y
      - .offset:         208
        .size:           2
        .value_kind:     hidden_group_size_z
      - .offset:         210
        .size:           2
        .value_kind:     hidden_remainder_x
      - .offset:         212
        .size:           2
        .value_kind:     hidden_remainder_y
      - .offset:         214
        .size:           2
        .value_kind:     hidden_remainder_z
      - .offset:         232
        .size:           8
        .value_kind:     hidden_global_offset_x
      - .offset:         240
        .size:           8
        .value_kind:     hidden_global_offset_y
      - .offset:         248
        .size:           8
        .value_kind:     hidden_global_offset_z
      - .offset:         256
        .size:           2
        .value_kind:     hidden_grid_dims
    .group_segment_fixed_size: 0
    .kernarg_segment_align: 8
    .kernarg_segment_size: 448
    .language:       OpenCL C
    .language_version:
      - 2
      - 0
    .max_flat_workgroup_size: 1024
    .name:           _ZL19k_bin_bcast_unravelIXadL_ZL6op_divffEE6__halfffJPKfEEvPKT0_PKT1_PT2_15HIP_vector_typeIjLj3EESC_SC_jSC_SC_SC_SC_SC_SC_iiiiiiiiiiiDpT3_
    .private_segment_fixed_size: 0
    .sgpr_count:     29
    .sgpr_spill_count: 0
    .symbol:         _ZL19k_bin_bcast_unravelIXadL_ZL6op_divffEE6__halfffJPKfEEvPKT0_PKT1_PT2_15HIP_vector_typeIjLj3EESC_SC_jSC_SC_SC_SC_SC_SC_iiiiiiiiiiiDpT3_.kd
    .uniform_work_group_size: 1
    .uses_dynamic_stack: false
    .vgpr_count:     12
    .vgpr_spill_count: 0
    .wavefront_size: 32
  - .args:
      - .address_space:  global
        .offset:         0
        .size:           8
        .value_kind:     global_buffer
      - .address_space:  global
        .offset:         8
        .size:           8
        .value_kind:     global_buffer
      - .address_space:  global
        .offset:         16
        .size:           8
        .value_kind:     global_buffer
      - .offset:         24
        .size:           4
        .value_kind:     by_value
      - .offset:         28
        .size:           4
        .value_kind:     by_value
      - .offset:         32
        .size:           4
        .value_kind:     by_value
      - .offset:         36
        .size:           12
        .value_kind:     by_value
      - .offset:         48
        .size:           12
        .value_kind:     by_value
      - .offset:         60
        .size:           12
        .value_kind:     by_value
      - .offset:         72
        .size:           12
        .value_kind:     by_value
      - .offset:         84
        .size:           12
        .value_kind:     by_value
      - .offset:         96
        .size:           4
        .value_kind:     by_value
      - .offset:         100
        .size:           4
        .value_kind:     by_value
      - .offset:         104
        .size:           4
        .value_kind:     by_value
      - .offset:         108
        .size:           4
        .value_kind:     by_value
      - .offset:         112
        .size:           4
        .value_kind:     by_value
      - .offset:         116
        .size:           4
        .value_kind:     by_value
      - .offset:         120
        .size:           4
        .value_kind:     by_value
      - .offset:         124
        .size:           4
        .value_kind:     by_value
      - .offset:         128
        .size:           4
        .value_kind:     by_value
      - .offset:         132
        .size:           4
        .value_kind:     by_value
      - .offset:         136
        .size:           4
        .value_kind:     by_value
      - .address_space:  global
        .offset:         144
        .size:           8
        .value_kind:     global_buffer
      - .offset:         152
        .size:           4
        .value_kind:     hidden_block_count_x
      - .offset:         156
        .size:           4
        .value_kind:     hidden_block_count_y
      - .offset:         160
        .size:           4
        .value_kind:     hidden_block_count_z
      - .offset:         164
        .size:           2
        .value_kind:     hidden_group_size_x
      - .offset:         166
        .size:           2
        .value_kind:     hidden_group_size_y
      - .offset:         168
        .size:           2
        .value_kind:     hidden_group_size_z
      - .offset:         170
        .size:           2
        .value_kind:     hidden_remainder_x
      - .offset:         172
        .size:           2
        .value_kind:     hidden_remainder_y
      - .offset:         174
        .size:           2
        .value_kind:     hidden_remainder_z
      - .offset:         192
        .size:           8
        .value_kind:     hidden_global_offset_x
      - .offset:         200
        .size:           8
        .value_kind:     hidden_global_offset_y
      - .offset:         208
        .size:           8
        .value_kind:     hidden_global_offset_z
      - .offset:         216
        .size:           2
        .value_kind:     hidden_grid_dims
    .group_segment_fixed_size: 0
    .kernarg_segment_align: 8
    .kernarg_segment_size: 408
    .language:       OpenCL C
    .language_version:
      - 2
      - 0
    .max_flat_workgroup_size: 1024
    .name:           _ZL11k_bin_bcastIXadL_ZL6op_divffEE6__halfffJPKfEEvPKT0_PKT1_PT2_iii15HIP_vector_typeIjLj3EESC_SC_SC_SC_iiiiiiiiiiiDpT3_
    .private_segment_fixed_size: 0
    .sgpr_count:     41
    .sgpr_spill_count: 0
    .symbol:         _ZL11k_bin_bcastIXadL_ZL6op_divffEE6__halfffJPKfEEvPKT0_PKT1_PT2_iii15HIP_vector_typeIjLj3EESC_SC_SC_SC_iiiiiiiiiiiDpT3_.kd
    .uniform_work_group_size: 1
    .uses_dynamic_stack: false
    .vgpr_count:     16
    .vgpr_spill_count: 0
    .wavefront_size: 32
  - .args:
      - .address_space:  global
        .offset:         0
        .size:           8
        .value_kind:     global_buffer
      - .address_space:  global
        .offset:         8
        .size:           8
        .value_kind:     global_buffer
      - .address_space:  global
        .offset:         16
        .size:           8
        .value_kind:     global_buffer
      - .offset:         24
        .size:           12
        .value_kind:     by_value
      - .offset:         36
        .size:           12
        .value_kind:     by_value
      - .offset:         48
        .size:           12
        .value_kind:     by_value
      - .offset:         60
        .size:           4
        .value_kind:     by_value
      - .offset:         64
        .size:           12
        .value_kind:     by_value
      - .offset:         76
        .size:           12
        .value_kind:     by_value
      - .offset:         88
        .size:           12
        .value_kind:     by_value
      - .offset:         100
        .size:           12
        .value_kind:     by_value
      - .offset:         112
        .size:           12
        .value_kind:     by_value
      - .offset:         124
        .size:           12
        .value_kind:     by_value
      - .offset:         136
        .size:           4
        .value_kind:     by_value
      - .offset:         140
        .size:           4
        .value_kind:     by_value
      - .offset:         144
        .size:           4
        .value_kind:     by_value
      - .offset:         148
        .size:           4
        .value_kind:     by_value
      - .offset:         152
        .size:           4
        .value_kind:     by_value
      - .offset:         156
        .size:           4
        .value_kind:     by_value
      - .offset:         160
        .size:           4
        .value_kind:     by_value
      - .offset:         164
        .size:           4
        .value_kind:     by_value
      - .offset:         168
        .size:           4
        .value_kind:     by_value
      - .offset:         172
        .size:           4
        .value_kind:     by_value
      - .offset:         176
        .size:           4
        .value_kind:     by_value
      - .address_space:  global
        .offset:         184
        .size:           8
        .value_kind:     global_buffer
      - .address_space:  global
        .offset:         192
        .size:           8
        .value_kind:     global_buffer
      - .offset:         200
        .size:           4
        .value_kind:     hidden_block_count_x
      - .offset:         204
        .size:           4
        .value_kind:     hidden_block_count_y
      - .offset:         208
        .size:           4
        .value_kind:     hidden_block_count_z
      - .offset:         212
        .size:           2
        .value_kind:     hidden_group_size_x
      - .offset:         214
        .size:           2
        .value_kind:     hidden_group_size_y
      - .offset:         216
        .size:           2
        .value_kind:     hidden_group_size_z
      - .offset:         218
        .size:           2
        .value_kind:     hidden_remainder_x
      - .offset:         220
        .size:           2
        .value_kind:     hidden_remainder_y
      - .offset:         222
        .size:           2
        .value_kind:     hidden_remainder_z
      - .offset:         240
        .size:           8
        .value_kind:     hidden_global_offset_x
      - .offset:         248
        .size:           8
        .value_kind:     hidden_global_offset_y
      - .offset:         256
        .size:           8
        .value_kind:     hidden_global_offset_z
      - .offset:         264
        .size:           2
        .value_kind:     hidden_grid_dims
    .group_segment_fixed_size: 0
    .kernarg_segment_align: 8
    .kernarg_segment_size: 456
    .language:       OpenCL C
    .language_version:
      - 2
      - 0
    .max_flat_workgroup_size: 1024
    .name:           _ZL19k_bin_bcast_unravelIXadL_ZL6op_addffEEfffJPKfS1_EEvPKT0_PKT1_PT2_15HIP_vector_typeIjLj3EESB_SB_jSB_SB_SB_SB_SB_SB_iiiiiiiiiiiDpT3_
    .private_segment_fixed_size: 0
    .sgpr_count:     29
    .sgpr_spill_count: 0
    .symbol:         _ZL19k_bin_bcast_unravelIXadL_ZL6op_addffEEfffJPKfS1_EEvPKT0_PKT1_PT2_15HIP_vector_typeIjLj3EESB_SB_jSB_SB_SB_SB_SB_SB_iiiiiiiiiiiDpT3_.kd
    .uniform_work_group_size: 1
    .uses_dynamic_stack: false
    .vgpr_count:     12
    .vgpr_spill_count: 0
    .wavefront_size: 32
  - .args:
      - .address_space:  global
        .offset:         0
        .size:           8
        .value_kind:     global_buffer
      - .address_space:  global
        .offset:         8
        .size:           8
        .value_kind:     global_buffer
      - .address_space:  global
        .offset:         16
        .size:           8
        .value_kind:     global_buffer
      - .offset:         24
        .size:           4
        .value_kind:     by_value
      - .offset:         28
        .size:           4
        .value_kind:     by_value
      - .offset:         32
        .size:           4
        .value_kind:     by_value
      - .offset:         36
        .size:           12
        .value_kind:     by_value
      - .offset:         48
        .size:           12
        .value_kind:     by_value
      - .offset:         60
        .size:           12
        .value_kind:     by_value
      - .offset:         72
        .size:           12
        .value_kind:     by_value
      - .offset:         84
        .size:           12
        .value_kind:     by_value
      - .offset:         96
        .size:           4
        .value_kind:     by_value
      - .offset:         100
        .size:           4
        .value_kind:     by_value
      - .offset:         104
        .size:           4
        .value_kind:     by_value
      - .offset:         108
        .size:           4
        .value_kind:     by_value
      - .offset:         112
        .size:           4
        .value_kind:     by_value
      - .offset:         116
        .size:           4
        .value_kind:     by_value
      - .offset:         120
        .size:           4
        .value_kind:     by_value
      - .offset:         124
        .size:           4
        .value_kind:     by_value
      - .offset:         128
        .size:           4
        .value_kind:     by_value
      - .offset:         132
        .size:           4
        .value_kind:     by_value
      - .offset:         136
        .size:           4
        .value_kind:     by_value
      - .address_space:  global
        .offset:         144
        .size:           8
        .value_kind:     global_buffer
      - .address_space:  global
        .offset:         152
        .size:           8
        .value_kind:     global_buffer
      - .offset:         160
        .size:           4
        .value_kind:     hidden_block_count_x
      - .offset:         164
        .size:           4
        .value_kind:     hidden_block_count_y
      - .offset:         168
        .size:           4
        .value_kind:     hidden_block_count_z
      - .offset:         172
        .size:           2
        .value_kind:     hidden_group_size_x
      - .offset:         174
        .size:           2
        .value_kind:     hidden_group_size_y
      - .offset:         176
        .size:           2
        .value_kind:     hidden_group_size_z
      - .offset:         178
        .size:           2
        .value_kind:     hidden_remainder_x
      - .offset:         180
        .size:           2
        .value_kind:     hidden_remainder_y
      - .offset:         182
        .size:           2
        .value_kind:     hidden_remainder_z
      - .offset:         200
        .size:           8
        .value_kind:     hidden_global_offset_x
      - .offset:         208
        .size:           8
        .value_kind:     hidden_global_offset_y
      - .offset:         216
        .size:           8
        .value_kind:     hidden_global_offset_z
      - .offset:         224
        .size:           2
        .value_kind:     hidden_grid_dims
    .group_segment_fixed_size: 0
    .kernarg_segment_align: 8
    .kernarg_segment_size: 416
    .language:       OpenCL C
    .language_version:
      - 2
      - 0
    .max_flat_workgroup_size: 1024
    .name:           _ZL11k_bin_bcastIXadL_ZL6op_addffEEfffJPKfS1_EEvPKT0_PKT1_PT2_iii15HIP_vector_typeIjLj3EESB_SB_SB_SB_iiiiiiiiiiiDpT3_
    .private_segment_fixed_size: 0
    .sgpr_count:     41
    .sgpr_spill_count: 0
    .symbol:         _ZL11k_bin_bcastIXadL_ZL6op_addffEEfffJPKfS1_EEvPKT0_PKT1_PT2_iii15HIP_vector_typeIjLj3EESB_SB_SB_SB_iiiiiiiiiiiDpT3_.kd
    .uniform_work_group_size: 1
    .uses_dynamic_stack: false
    .vgpr_count:     16
    .vgpr_spill_count: 0
    .wavefront_size: 32
  - .args:
      - .address_space:  global
        .offset:         0
        .size:           8
        .value_kind:     global_buffer
      - .address_space:  global
        .offset:         8
        .size:           8
        .value_kind:     global_buffer
      - .address_space:  global
        .offset:         16
        .size:           8
        .value_kind:     global_buffer
      - .offset:         24
        .size:           12
        .value_kind:     by_value
      - .offset:         36
        .size:           12
        .value_kind:     by_value
      - .offset:         48
        .size:           12
        .value_kind:     by_value
      - .offset:         60
        .size:           4
        .value_kind:     by_value
      - .offset:         64
        .size:           12
        .value_kind:     by_value
      - .offset:         76
        .size:           12
        .value_kind:     by_value
      - .offset:         88
        .size:           12
        .value_kind:     by_value
      - .offset:         100
        .size:           12
        .value_kind:     by_value
      - .offset:         112
        .size:           12
        .value_kind:     by_value
      - .offset:         124
        .size:           12
        .value_kind:     by_value
      - .offset:         136
        .size:           4
        .value_kind:     by_value
      - .offset:         140
        .size:           4
        .value_kind:     by_value
      - .offset:         144
        .size:           4
        .value_kind:     by_value
      - .offset:         148
        .size:           4
        .value_kind:     by_value
      - .offset:         152
        .size:           4
        .value_kind:     by_value
      - .offset:         156
        .size:           4
        .value_kind:     by_value
      - .offset:         160
        .size:           4
        .value_kind:     by_value
      - .offset:         164
        .size:           4
        .value_kind:     by_value
      - .offset:         168
        .size:           4
        .value_kind:     by_value
      - .offset:         172
        .size:           4
        .value_kind:     by_value
      - .offset:         176
        .size:           4
        .value_kind:     by_value
      - .address_space:  global
        .offset:         184
        .size:           8
        .value_kind:     global_buffer
      - .address_space:  global
        .offset:         192
        .size:           8
        .value_kind:     global_buffer
      - .offset:         200
        .size:           4
        .value_kind:     hidden_block_count_x
      - .offset:         204
        .size:           4
        .value_kind:     hidden_block_count_y
      - .offset:         208
        .size:           4
        .value_kind:     hidden_block_count_z
      - .offset:         212
        .size:           2
        .value_kind:     hidden_group_size_x
      - .offset:         214
        .size:           2
        .value_kind:     hidden_group_size_y
      - .offset:         216
        .size:           2
        .value_kind:     hidden_group_size_z
      - .offset:         218
        .size:           2
        .value_kind:     hidden_remainder_x
      - .offset:         220
        .size:           2
        .value_kind:     hidden_remainder_y
      - .offset:         222
        .size:           2
        .value_kind:     hidden_remainder_z
      - .offset:         240
        .size:           8
        .value_kind:     hidden_global_offset_x
      - .offset:         248
        .size:           8
        .value_kind:     hidden_global_offset_y
      - .offset:         256
        .size:           8
        .value_kind:     hidden_global_offset_z
      - .offset:         264
        .size:           2
        .value_kind:     hidden_grid_dims
    .group_segment_fixed_size: 0
    .kernarg_segment_align: 8
    .kernarg_segment_size: 456
    .language:       OpenCL C
    .language_version:
      - 2
      - 0
    .max_flat_workgroup_size: 1024
    .name:           _ZL19k_bin_bcast_unravelIXadL_ZL6op_addffEE6__halfS0_S0_JPKS0_S2_EEvPKT0_PKT1_PT2_15HIP_vector_typeIjLj3EESC_SC_jSC_SC_SC_SC_SC_SC_iiiiiiiiiiiDpT3_
    .private_segment_fixed_size: 0
    .sgpr_count:     29
    .sgpr_spill_count: 0
    .symbol:         _ZL19k_bin_bcast_unravelIXadL_ZL6op_addffEE6__halfS0_S0_JPKS0_S2_EEvPKT0_PKT1_PT2_15HIP_vector_typeIjLj3EESC_SC_jSC_SC_SC_SC_SC_SC_iiiiiiiiiiiDpT3_.kd
    .uniform_work_group_size: 1
    .uses_dynamic_stack: false
    .vgpr_count:     12
    .vgpr_spill_count: 0
    .wavefront_size: 32
  - .args:
      - .address_space:  global
        .offset:         0
        .size:           8
        .value_kind:     global_buffer
      - .address_space:  global
        .offset:         8
        .size:           8
        .value_kind:     global_buffer
      - .address_space:  global
        .offset:         16
        .size:           8
        .value_kind:     global_buffer
      - .offset:         24
        .size:           4
        .value_kind:     by_value
      - .offset:         28
        .size:           4
        .value_kind:     by_value
      - .offset:         32
        .size:           4
        .value_kind:     by_value
      - .offset:         36
        .size:           12
        .value_kind:     by_value
      - .offset:         48
        .size:           12
        .value_kind:     by_value
      - .offset:         60
        .size:           12
        .value_kind:     by_value
      - .offset:         72
        .size:           12
        .value_kind:     by_value
      - .offset:         84
        .size:           12
        .value_kind:     by_value
      - .offset:         96
        .size:           4
        .value_kind:     by_value
      - .offset:         100
        .size:           4
        .value_kind:     by_value
      - .offset:         104
        .size:           4
        .value_kind:     by_value
      - .offset:         108
        .size:           4
        .value_kind:     by_value
      - .offset:         112
        .size:           4
        .value_kind:     by_value
      - .offset:         116
        .size:           4
        .value_kind:     by_value
      - .offset:         120
        .size:           4
        .value_kind:     by_value
      - .offset:         124
        .size:           4
        .value_kind:     by_value
      - .offset:         128
        .size:           4
        .value_kind:     by_value
      - .offset:         132
        .size:           4
        .value_kind:     by_value
      - .offset:         136
        .size:           4
        .value_kind:     by_value
      - .address_space:  global
        .offset:         144
        .size:           8
        .value_kind:     global_buffer
      - .address_space:  global
        .offset:         152
        .size:           8
        .value_kind:     global_buffer
      - .offset:         160
        .size:           4
        .value_kind:     hidden_block_count_x
      - .offset:         164
        .size:           4
        .value_kind:     hidden_block_count_y
      - .offset:         168
        .size:           4
        .value_kind:     hidden_block_count_z
      - .offset:         172
        .size:           2
        .value_kind:     hidden_group_size_x
      - .offset:         174
        .size:           2
        .value_kind:     hidden_group_size_y
      - .offset:         176
        .size:           2
        .value_kind:     hidden_group_size_z
      - .offset:         178
        .size:           2
        .value_kind:     hidden_remainder_x
      - .offset:         180
        .size:           2
        .value_kind:     hidden_remainder_y
      - .offset:         182
        .size:           2
        .value_kind:     hidden_remainder_z
      - .offset:         200
        .size:           8
        .value_kind:     hidden_global_offset_x
      - .offset:         208
        .size:           8
        .value_kind:     hidden_global_offset_y
      - .offset:         216
        .size:           8
        .value_kind:     hidden_global_offset_z
      - .offset:         224
        .size:           2
        .value_kind:     hidden_grid_dims
    .group_segment_fixed_size: 0
    .kernarg_segment_align: 8
    .kernarg_segment_size: 416
    .language:       OpenCL C
    .language_version:
      - 2
      - 0
    .max_flat_workgroup_size: 1024
    .name:           _ZL11k_bin_bcastIXadL_ZL6op_addffEE6__halfS0_S0_JPKS0_S2_EEvPKT0_PKT1_PT2_iii15HIP_vector_typeIjLj3EESC_SC_SC_SC_iiiiiiiiiiiDpT3_
    .private_segment_fixed_size: 0
    .sgpr_count:     41
    .sgpr_spill_count: 0
    .symbol:         _ZL11k_bin_bcastIXadL_ZL6op_addffEE6__halfS0_S0_JPKS0_S2_EEvPKT0_PKT1_PT2_iii15HIP_vector_typeIjLj3EESC_SC_SC_SC_iiiiiiiiiiiDpT3_.kd
    .uniform_work_group_size: 1
    .uses_dynamic_stack: false
    .vgpr_count:     16
    .vgpr_spill_count: 0
    .wavefront_size: 32
  - .args:
      - .address_space:  global
        .offset:         0
        .size:           8
        .value_kind:     global_buffer
      - .address_space:  global
        .offset:         8
        .size:           8
        .value_kind:     global_buffer
      - .address_space:  global
        .offset:         16
        .size:           8
        .value_kind:     global_buffer
      - .offset:         24
        .size:           12
        .value_kind:     by_value
      - .offset:         36
        .size:           12
        .value_kind:     by_value
      - .offset:         48
        .size:           12
        .value_kind:     by_value
      - .offset:         60
        .size:           4
        .value_kind:     by_value
      - .offset:         64
        .size:           12
        .value_kind:     by_value
      - .offset:         76
        .size:           12
        .value_kind:     by_value
      - .offset:         88
        .size:           12
        .value_kind:     by_value
      - .offset:         100
        .size:           12
        .value_kind:     by_value
      - .offset:         112
        .size:           12
        .value_kind:     by_value
      - .offset:         124
        .size:           12
        .value_kind:     by_value
      - .offset:         136
        .size:           4
        .value_kind:     by_value
      - .offset:         140
        .size:           4
        .value_kind:     by_value
      - .offset:         144
        .size:           4
        .value_kind:     by_value
      - .offset:         148
        .size:           4
        .value_kind:     by_value
      - .offset:         152
        .size:           4
        .value_kind:     by_value
      - .offset:         156
        .size:           4
        .value_kind:     by_value
      - .offset:         160
        .size:           4
        .value_kind:     by_value
      - .offset:         164
        .size:           4
        .value_kind:     by_value
      - .offset:         168
        .size:           4
        .value_kind:     by_value
      - .offset:         172
        .size:           4
        .value_kind:     by_value
      - .offset:         176
        .size:           4
        .value_kind:     by_value
      - .address_space:  global
        .offset:         184
        .size:           8
        .value_kind:     global_buffer
      - .address_space:  global
        .offset:         192
        .size:           8
        .value_kind:     global_buffer
      - .offset:         200
        .size:           4
        .value_kind:     hidden_block_count_x
      - .offset:         204
        .size:           4
        .value_kind:     hidden_block_count_y
      - .offset:         208
        .size:           4
        .value_kind:     hidden_block_count_z
      - .offset:         212
        .size:           2
        .value_kind:     hidden_group_size_x
      - .offset:         214
        .size:           2
        .value_kind:     hidden_group_size_y
      - .offset:         216
        .size:           2
        .value_kind:     hidden_group_size_z
      - .offset:         218
        .size:           2
        .value_kind:     hidden_remainder_x
      - .offset:         220
        .size:           2
        .value_kind:     hidden_remainder_y
      - .offset:         222
        .size:           2
        .value_kind:     hidden_remainder_z
      - .offset:         240
        .size:           8
        .value_kind:     hidden_global_offset_x
      - .offset:         248
        .size:           8
        .value_kind:     hidden_global_offset_y
      - .offset:         256
        .size:           8
        .value_kind:     hidden_global_offset_z
      - .offset:         264
        .size:           2
        .value_kind:     hidden_grid_dims
    .group_segment_fixed_size: 0
    .kernarg_segment_align: 8
    .kernarg_segment_size: 456
    .language:       OpenCL C
    .language_version:
      - 2
      - 0
    .max_flat_workgroup_size: 1024
    .name:           _ZL19k_bin_bcast_unravelIXadL_ZL6op_addffEE6__halffS0_JPKfS2_EEvPKT0_PKT1_PT2_15HIP_vector_typeIjLj3EESC_SC_jSC_SC_SC_SC_SC_SC_iiiiiiiiiiiDpT3_
    .private_segment_fixed_size: 0
    .sgpr_count:     29
    .sgpr_spill_count: 0
    .symbol:         _ZL19k_bin_bcast_unravelIXadL_ZL6op_addffEE6__halffS0_JPKfS2_EEvPKT0_PKT1_PT2_15HIP_vector_typeIjLj3EESC_SC_jSC_SC_SC_SC_SC_SC_iiiiiiiiiiiDpT3_.kd
    .uniform_work_group_size: 1
    .uses_dynamic_stack: false
    .vgpr_count:     12
    .vgpr_spill_count: 0
    .wavefront_size: 32
  - .args:
      - .address_space:  global
        .offset:         0
        .size:           8
        .value_kind:     global_buffer
      - .address_space:  global
        .offset:         8
        .size:           8
        .value_kind:     global_buffer
      - .address_space:  global
        .offset:         16
        .size:           8
        .value_kind:     global_buffer
      - .offset:         24
        .size:           4
        .value_kind:     by_value
      - .offset:         28
        .size:           4
        .value_kind:     by_value
      - .offset:         32
        .size:           4
        .value_kind:     by_value
      - .offset:         36
        .size:           12
        .value_kind:     by_value
      - .offset:         48
        .size:           12
        .value_kind:     by_value
      - .offset:         60
        .size:           12
        .value_kind:     by_value
      - .offset:         72
        .size:           12
        .value_kind:     by_value
      - .offset:         84
        .size:           12
        .value_kind:     by_value
      - .offset:         96
        .size:           4
        .value_kind:     by_value
      - .offset:         100
        .size:           4
        .value_kind:     by_value
      - .offset:         104
        .size:           4
        .value_kind:     by_value
      - .offset:         108
        .size:           4
        .value_kind:     by_value
      - .offset:         112
        .size:           4
        .value_kind:     by_value
      - .offset:         116
        .size:           4
        .value_kind:     by_value
      - .offset:         120
        .size:           4
        .value_kind:     by_value
      - .offset:         124
        .size:           4
        .value_kind:     by_value
      - .offset:         128
        .size:           4
        .value_kind:     by_value
      - .offset:         132
        .size:           4
        .value_kind:     by_value
      - .offset:         136
        .size:           4
        .value_kind:     by_value
      - .address_space:  global
        .offset:         144
        .size:           8
        .value_kind:     global_buffer
      - .address_space:  global
        .offset:         152
        .size:           8
        .value_kind:     global_buffer
      - .offset:         160
        .size:           4
        .value_kind:     hidden_block_count_x
      - .offset:         164
        .size:           4
        .value_kind:     hidden_block_count_y
      - .offset:         168
        .size:           4
        .value_kind:     hidden_block_count_z
      - .offset:         172
        .size:           2
        .value_kind:     hidden_group_size_x
      - .offset:         174
        .size:           2
        .value_kind:     hidden_group_size_y
      - .offset:         176
        .size:           2
        .value_kind:     hidden_group_size_z
      - .offset:         178
        .size:           2
        .value_kind:     hidden_remainder_x
      - .offset:         180
        .size:           2
        .value_kind:     hidden_remainder_y
      - .offset:         182
        .size:           2
        .value_kind:     hidden_remainder_z
      - .offset:         200
        .size:           8
        .value_kind:     hidden_global_offset_x
      - .offset:         208
        .size:           8
        .value_kind:     hidden_global_offset_y
      - .offset:         216
        .size:           8
        .value_kind:     hidden_global_offset_z
      - .offset:         224
        .size:           2
        .value_kind:     hidden_grid_dims
    .group_segment_fixed_size: 0
    .kernarg_segment_align: 8
    .kernarg_segment_size: 416
    .language:       OpenCL C
    .language_version:
      - 2
      - 0
    .max_flat_workgroup_size: 1024
    .name:           _ZL11k_bin_bcastIXadL_ZL6op_addffEE6__halffS0_JPKfS2_EEvPKT0_PKT1_PT2_iii15HIP_vector_typeIjLj3EESC_SC_SC_SC_iiiiiiiiiiiDpT3_
    .private_segment_fixed_size: 0
    .sgpr_count:     41
    .sgpr_spill_count: 0
    .symbol:         _ZL11k_bin_bcastIXadL_ZL6op_addffEE6__halffS0_JPKfS2_EEvPKT0_PKT1_PT2_iii15HIP_vector_typeIjLj3EESC_SC_SC_SC_iiiiiiiiiiiDpT3_.kd
    .uniform_work_group_size: 1
    .uses_dynamic_stack: false
    .vgpr_count:     16
    .vgpr_spill_count: 0
    .wavefront_size: 32
  - .args:
      - .address_space:  global
        .offset:         0
        .size:           8
        .value_kind:     global_buffer
      - .address_space:  global
        .offset:         8
        .size:           8
        .value_kind:     global_buffer
      - .address_space:  global
        .offset:         16
        .size:           8
        .value_kind:     global_buffer
      - .offset:         24
        .size:           12
        .value_kind:     by_value
      - .offset:         36
        .size:           12
        .value_kind:     by_value
      - .offset:         48
        .size:           12
        .value_kind:     by_value
      - .offset:         60
        .size:           4
        .value_kind:     by_value
      - .offset:         64
        .size:           12
        .value_kind:     by_value
      - .offset:         76
        .size:           12
        .value_kind:     by_value
      - .offset:         88
        .size:           12
        .value_kind:     by_value
      - .offset:         100
        .size:           12
        .value_kind:     by_value
      - .offset:         112
        .size:           12
        .value_kind:     by_value
      - .offset:         124
        .size:           12
        .value_kind:     by_value
      - .offset:         136
        .size:           4
        .value_kind:     by_value
      - .offset:         140
        .size:           4
        .value_kind:     by_value
      - .offset:         144
        .size:           4
        .value_kind:     by_value
      - .offset:         148
        .size:           4
        .value_kind:     by_value
      - .offset:         152
        .size:           4
        .value_kind:     by_value
      - .offset:         156
        .size:           4
        .value_kind:     by_value
      - .offset:         160
        .size:           4
        .value_kind:     by_value
      - .offset:         164
        .size:           4
        .value_kind:     by_value
      - .offset:         168
        .size:           4
        .value_kind:     by_value
      - .offset:         172
        .size:           4
        .value_kind:     by_value
      - .offset:         176
        .size:           4
        .value_kind:     by_value
      - .address_space:  global
        .offset:         184
        .size:           8
        .value_kind:     global_buffer
      - .address_space:  global
        .offset:         192
        .size:           8
        .value_kind:     global_buffer
      - .offset:         200
        .size:           4
        .value_kind:     hidden_block_count_x
      - .offset:         204
        .size:           4
        .value_kind:     hidden_block_count_y
      - .offset:         208
        .size:           4
        .value_kind:     hidden_block_count_z
      - .offset:         212
        .size:           2
        .value_kind:     hidden_group_size_x
      - .offset:         214
        .size:           2
        .value_kind:     hidden_group_size_y
      - .offset:         216
        .size:           2
        .value_kind:     hidden_group_size_z
      - .offset:         218
        .size:           2
        .value_kind:     hidden_remainder_x
      - .offset:         220
        .size:           2
        .value_kind:     hidden_remainder_y
      - .offset:         222
        .size:           2
        .value_kind:     hidden_remainder_z
      - .offset:         240
        .size:           8
        .value_kind:     hidden_global_offset_x
      - .offset:         248
        .size:           8
        .value_kind:     hidden_global_offset_y
      - .offset:         256
        .size:           8
        .value_kind:     hidden_global_offset_z
      - .offset:         264
        .size:           2
        .value_kind:     hidden_grid_dims
    .group_segment_fixed_size: 0
    .kernarg_segment_align: 8
    .kernarg_segment_size: 456
    .language:       OpenCL C
    .language_version:
      - 2
      - 0
    .max_flat_workgroup_size: 1024
    .name:           _ZL19k_bin_bcast_unravelIXadL_ZL6op_addffEE6__halfffJPKfS2_EEvPKT0_PKT1_PT2_15HIP_vector_typeIjLj3EESC_SC_jSC_SC_SC_SC_SC_SC_iiiiiiiiiiiDpT3_
    .private_segment_fixed_size: 0
    .sgpr_count:     29
    .sgpr_spill_count: 0
    .symbol:         _ZL19k_bin_bcast_unravelIXadL_ZL6op_addffEE6__halfffJPKfS2_EEvPKT0_PKT1_PT2_15HIP_vector_typeIjLj3EESC_SC_jSC_SC_SC_SC_SC_SC_iiiiiiiiiiiDpT3_.kd
    .uniform_work_group_size: 1
    .uses_dynamic_stack: false
    .vgpr_count:     12
    .vgpr_spill_count: 0
    .wavefront_size: 32
  - .args:
      - .address_space:  global
        .offset:         0
        .size:           8
        .value_kind:     global_buffer
      - .address_space:  global
        .offset:         8
        .size:           8
        .value_kind:     global_buffer
      - .address_space:  global
        .offset:         16
        .size:           8
        .value_kind:     global_buffer
      - .offset:         24
        .size:           4
        .value_kind:     by_value
      - .offset:         28
        .size:           4
        .value_kind:     by_value
      - .offset:         32
        .size:           4
        .value_kind:     by_value
      - .offset:         36
        .size:           12
        .value_kind:     by_value
      - .offset:         48
        .size:           12
        .value_kind:     by_value
      - .offset:         60
        .size:           12
        .value_kind:     by_value
      - .offset:         72
        .size:           12
        .value_kind:     by_value
      - .offset:         84
        .size:           12
        .value_kind:     by_value
      - .offset:         96
        .size:           4
        .value_kind:     by_value
      - .offset:         100
        .size:           4
        .value_kind:     by_value
      - .offset:         104
        .size:           4
        .value_kind:     by_value
      - .offset:         108
        .size:           4
        .value_kind:     by_value
      - .offset:         112
        .size:           4
        .value_kind:     by_value
      - .offset:         116
        .size:           4
        .value_kind:     by_value
      - .offset:         120
        .size:           4
        .value_kind:     by_value
      - .offset:         124
        .size:           4
        .value_kind:     by_value
      - .offset:         128
        .size:           4
        .value_kind:     by_value
      - .offset:         132
        .size:           4
        .value_kind:     by_value
      - .offset:         136
        .size:           4
        .value_kind:     by_value
      - .address_space:  global
        .offset:         144
        .size:           8
        .value_kind:     global_buffer
      - .address_space:  global
        .offset:         152
        .size:           8
        .value_kind:     global_buffer
      - .offset:         160
        .size:           4
        .value_kind:     hidden_block_count_x
      - .offset:         164
        .size:           4
        .value_kind:     hidden_block_count_y
      - .offset:         168
        .size:           4
        .value_kind:     hidden_block_count_z
      - .offset:         172
        .size:           2
        .value_kind:     hidden_group_size_x
      - .offset:         174
        .size:           2
        .value_kind:     hidden_group_size_y
      - .offset:         176
        .size:           2
        .value_kind:     hidden_group_size_z
      - .offset:         178
        .size:           2
        .value_kind:     hidden_remainder_x
      - .offset:         180
        .size:           2
        .value_kind:     hidden_remainder_y
      - .offset:         182
        .size:           2
        .value_kind:     hidden_remainder_z
      - .offset:         200
        .size:           8
        .value_kind:     hidden_global_offset_x
      - .offset:         208
        .size:           8
        .value_kind:     hidden_global_offset_y
      - .offset:         216
        .size:           8
        .value_kind:     hidden_global_offset_z
      - .offset:         224
        .size:           2
        .value_kind:     hidden_grid_dims
    .group_segment_fixed_size: 0
    .kernarg_segment_align: 8
    .kernarg_segment_size: 416
    .language:       OpenCL C
    .language_version:
      - 2
      - 0
    .max_flat_workgroup_size: 1024
    .name:           _ZL11k_bin_bcastIXadL_ZL6op_addffEE6__halfffJPKfS2_EEvPKT0_PKT1_PT2_iii15HIP_vector_typeIjLj3EESC_SC_SC_SC_iiiiiiiiiiiDpT3_
    .private_segment_fixed_size: 0
    .sgpr_count:     41
    .sgpr_spill_count: 0
    .symbol:         _ZL11k_bin_bcastIXadL_ZL6op_addffEE6__halfffJPKfS2_EEvPKT0_PKT1_PT2_iii15HIP_vector_typeIjLj3EESC_SC_SC_SC_iiiiiiiiiiiDpT3_.kd
    .uniform_work_group_size: 1
    .uses_dynamic_stack: false
    .vgpr_count:     16
    .vgpr_spill_count: 0
    .wavefront_size: 32
  - .args:
      - .address_space:  global
        .offset:         0
        .size:           8
        .value_kind:     global_buffer
      - .address_space:  global
        .offset:         8
        .size:           8
        .value_kind:     global_buffer
      - .address_space:  global
        .offset:         16
        .size:           8
        .value_kind:     global_buffer
      - .offset:         24
        .size:           12
        .value_kind:     by_value
      - .offset:         36
        .size:           12
        .value_kind:     by_value
      - .offset:         48
        .size:           12
        .value_kind:     by_value
      - .offset:         60
        .size:           4
        .value_kind:     by_value
      - .offset:         64
        .size:           12
        .value_kind:     by_value
      - .offset:         76
        .size:           12
        .value_kind:     by_value
      - .offset:         88
        .size:           12
        .value_kind:     by_value
      - .offset:         100
        .size:           12
        .value_kind:     by_value
      - .offset:         112
        .size:           12
        .value_kind:     by_value
      - .offset:         124
        .size:           12
        .value_kind:     by_value
      - .offset:         136
        .size:           4
        .value_kind:     by_value
      - .offset:         140
        .size:           4
        .value_kind:     by_value
      - .offset:         144
        .size:           4
        .value_kind:     by_value
      - .offset:         148
        .size:           4
        .value_kind:     by_value
      - .offset:         152
        .size:           4
        .value_kind:     by_value
      - .offset:         156
        .size:           4
        .value_kind:     by_value
      - .offset:         160
        .size:           4
        .value_kind:     by_value
      - .offset:         164
        .size:           4
        .value_kind:     by_value
      - .offset:         168
        .size:           4
        .value_kind:     by_value
      - .offset:         172
        .size:           4
        .value_kind:     by_value
      - .offset:         176
        .size:           4
        .value_kind:     by_value
      - .address_space:  global
        .offset:         184
        .size:           8
        .value_kind:     global_buffer
      - .address_space:  global
        .offset:         192
        .size:           8
        .value_kind:     global_buffer
      - .address_space:  global
        .offset:         200
        .size:           8
        .value_kind:     global_buffer
      - .offset:         208
        .size:           4
        .value_kind:     hidden_block_count_x
      - .offset:         212
        .size:           4
        .value_kind:     hidden_block_count_y
      - .offset:         216
        .size:           4
        .value_kind:     hidden_block_count_z
      - .offset:         220
        .size:           2
        .value_kind:     hidden_group_size_x
      - .offset:         222
        .size:           2
        .value_kind:     hidden_group_size_y
      - .offset:         224
        .size:           2
        .value_kind:     hidden_group_size_z
      - .offset:         226
        .size:           2
        .value_kind:     hidden_remainder_x
      - .offset:         228
        .size:           2
        .value_kind:     hidden_remainder_y
      - .offset:         230
        .size:           2
        .value_kind:     hidden_remainder_z
      - .offset:         248
        .size:           8
        .value_kind:     hidden_global_offset_x
      - .offset:         256
        .size:           8
        .value_kind:     hidden_global_offset_y
      - .offset:         264
        .size:           8
        .value_kind:     hidden_global_offset_z
      - .offset:         272
        .size:           2
        .value_kind:     hidden_grid_dims
    .group_segment_fixed_size: 0
    .kernarg_segment_align: 8
    .kernarg_segment_size: 464
    .language:       OpenCL C
    .language_version:
      - 2
      - 0
    .max_flat_workgroup_size: 1024
    .name:           _ZL19k_bin_bcast_unravelIXadL_ZL6op_addffEEfffJPKfS1_S1_EEvPKT0_PKT1_PT2_15HIP_vector_typeIjLj3EESB_SB_jSB_SB_SB_SB_SB_SB_iiiiiiiiiiiDpT3_
    .private_segment_fixed_size: 0
    .sgpr_count:     29
    .sgpr_spill_count: 0
    .symbol:         _ZL19k_bin_bcast_unravelIXadL_ZL6op_addffEEfffJPKfS1_S1_EEvPKT0_PKT1_PT2_15HIP_vector_typeIjLj3EESB_SB_jSB_SB_SB_SB_SB_SB_iiiiiiiiiiiDpT3_.kd
    .uniform_work_group_size: 1
    .uses_dynamic_stack: false
    .vgpr_count:     13
    .vgpr_spill_count: 0
    .wavefront_size: 32
  - .args:
      - .address_space:  global
        .offset:         0
        .size:           8
        .value_kind:     global_buffer
      - .address_space:  global
        .offset:         8
        .size:           8
        .value_kind:     global_buffer
      - .address_space:  global
        .offset:         16
        .size:           8
        .value_kind:     global_buffer
      - .offset:         24
        .size:           4
        .value_kind:     by_value
      - .offset:         28
        .size:           4
        .value_kind:     by_value
      - .offset:         32
        .size:           4
        .value_kind:     by_value
      - .offset:         36
        .size:           12
        .value_kind:     by_value
      - .offset:         48
        .size:           12
        .value_kind:     by_value
      - .offset:         60
        .size:           12
        .value_kind:     by_value
      - .offset:         72
        .size:           12
        .value_kind:     by_value
      - .offset:         84
        .size:           12
        .value_kind:     by_value
      - .offset:         96
        .size:           4
        .value_kind:     by_value
      - .offset:         100
        .size:           4
        .value_kind:     by_value
      - .offset:         104
        .size:           4
        .value_kind:     by_value
      - .offset:         108
        .size:           4
        .value_kind:     by_value
      - .offset:         112
        .size:           4
        .value_kind:     by_value
      - .offset:         116
        .size:           4
        .value_kind:     by_value
      - .offset:         120
        .size:           4
        .value_kind:     by_value
      - .offset:         124
        .size:           4
        .value_kind:     by_value
      - .offset:         128
        .size:           4
        .value_kind:     by_value
      - .offset:         132
        .size:           4
        .value_kind:     by_value
      - .offset:         136
        .size:           4
        .value_kind:     by_value
      - .address_space:  global
        .offset:         144
        .size:           8
        .value_kind:     global_buffer
      - .address_space:  global
        .offset:         152
        .size:           8
        .value_kind:     global_buffer
      - .address_space:  global
        .offset:         160
        .size:           8
        .value_kind:     global_buffer
      - .offset:         168
        .size:           4
        .value_kind:     hidden_block_count_x
      - .offset:         172
        .size:           4
        .value_kind:     hidden_block_count_y
      - .offset:         176
        .size:           4
        .value_kind:     hidden_block_count_z
      - .offset:         180
        .size:           2
        .value_kind:     hidden_group_size_x
      - .offset:         182
        .size:           2
        .value_kind:     hidden_group_size_y
      - .offset:         184
        .size:           2
        .value_kind:     hidden_group_size_z
      - .offset:         186
        .size:           2
        .value_kind:     hidden_remainder_x
      - .offset:         188
        .size:           2
        .value_kind:     hidden_remainder_y
      - .offset:         190
        .size:           2
        .value_kind:     hidden_remainder_z
      - .offset:         208
        .size:           8
        .value_kind:     hidden_global_offset_x
      - .offset:         216
        .size:           8
        .value_kind:     hidden_global_offset_y
      - .offset:         224
        .size:           8
        .value_kind:     hidden_global_offset_z
      - .offset:         232
        .size:           2
        .value_kind:     hidden_grid_dims
    .group_segment_fixed_size: 0
    .kernarg_segment_align: 8
    .kernarg_segment_size: 424
    .language:       OpenCL C
    .language_version:
      - 2
      - 0
    .max_flat_workgroup_size: 1024
    .name:           _ZL11k_bin_bcastIXadL_ZL6op_addffEEfffJPKfS1_S1_EEvPKT0_PKT1_PT2_iii15HIP_vector_typeIjLj3EESB_SB_SB_SB_iiiiiiiiiiiDpT3_
    .private_segment_fixed_size: 0
    .sgpr_count:     41
    .sgpr_spill_count: 0
    .symbol:         _ZL11k_bin_bcastIXadL_ZL6op_addffEEfffJPKfS1_S1_EEvPKT0_PKT1_PT2_iii15HIP_vector_typeIjLj3EESB_SB_SB_SB_iiiiiiiiiiiDpT3_.kd
    .uniform_work_group_size: 1
    .uses_dynamic_stack: false
    .vgpr_count:     17
    .vgpr_spill_count: 0
    .wavefront_size: 32
  - .args:
      - .address_space:  global
        .offset:         0
        .size:           8
        .value_kind:     global_buffer
      - .address_space:  global
        .offset:         8
        .size:           8
        .value_kind:     global_buffer
      - .address_space:  global
        .offset:         16
        .size:           8
        .value_kind:     global_buffer
      - .offset:         24
        .size:           12
        .value_kind:     by_value
      - .offset:         36
        .size:           12
        .value_kind:     by_value
      - .offset:         48
        .size:           12
        .value_kind:     by_value
      - .offset:         60
        .size:           4
        .value_kind:     by_value
      - .offset:         64
        .size:           12
        .value_kind:     by_value
      - .offset:         76
        .size:           12
        .value_kind:     by_value
      - .offset:         88
        .size:           12
        .value_kind:     by_value
      - .offset:         100
        .size:           12
        .value_kind:     by_value
      - .offset:         112
        .size:           12
        .value_kind:     by_value
      - .offset:         124
        .size:           12
        .value_kind:     by_value
      - .offset:         136
        .size:           4
        .value_kind:     by_value
      - .offset:         140
        .size:           4
        .value_kind:     by_value
      - .offset:         144
        .size:           4
        .value_kind:     by_value
      - .offset:         148
        .size:           4
        .value_kind:     by_value
      - .offset:         152
        .size:           4
        .value_kind:     by_value
      - .offset:         156
        .size:           4
        .value_kind:     by_value
      - .offset:         160
        .size:           4
        .value_kind:     by_value
      - .offset:         164
        .size:           4
        .value_kind:     by_value
      - .offset:         168
        .size:           4
        .value_kind:     by_value
      - .offset:         172
        .size:           4
        .value_kind:     by_value
      - .offset:         176
        .size:           4
        .value_kind:     by_value
      - .address_space:  global
        .offset:         184
        .size:           8
        .value_kind:     global_buffer
      - .address_space:  global
        .offset:         192
        .size:           8
        .value_kind:     global_buffer
      - .address_space:  global
        .offset:         200
        .size:           8
        .value_kind:     global_buffer
      - .offset:         208
        .size:           4
        .value_kind:     hidden_block_count_x
      - .offset:         212
        .size:           4
        .value_kind:     hidden_block_count_y
      - .offset:         216
        .size:           4
        .value_kind:     hidden_block_count_z
      - .offset:         220
        .size:           2
        .value_kind:     hidden_group_size_x
      - .offset:         222
        .size:           2
        .value_kind:     hidden_group_size_y
      - .offset:         224
        .size:           2
        .value_kind:     hidden_group_size_z
      - .offset:         226
        .size:           2
        .value_kind:     hidden_remainder_x
      - .offset:         228
        .size:           2
        .value_kind:     hidden_remainder_y
      - .offset:         230
        .size:           2
        .value_kind:     hidden_remainder_z
      - .offset:         248
        .size:           8
        .value_kind:     hidden_global_offset_x
      - .offset:         256
        .size:           8
        .value_kind:     hidden_global_offset_y
      - .offset:         264
        .size:           8
        .value_kind:     hidden_global_offset_z
      - .offset:         272
        .size:           2
        .value_kind:     hidden_grid_dims
    .group_segment_fixed_size: 0
    .kernarg_segment_align: 8
    .kernarg_segment_size: 464
    .language:       OpenCL C
    .language_version:
      - 2
      - 0
    .max_flat_workgroup_size: 1024
    .name:           _ZL19k_bin_bcast_unravelIXadL_ZL6op_addffEE6__halfS0_S0_JPKS0_S2_S2_EEvPKT0_PKT1_PT2_15HIP_vector_typeIjLj3EESC_SC_jSC_SC_SC_SC_SC_SC_iiiiiiiiiiiDpT3_
    .private_segment_fixed_size: 0
    .sgpr_count:     29
    .sgpr_spill_count: 0
    .symbol:         _ZL19k_bin_bcast_unravelIXadL_ZL6op_addffEE6__halfS0_S0_JPKS0_S2_S2_EEvPKT0_PKT1_PT2_15HIP_vector_typeIjLj3EESC_SC_jSC_SC_SC_SC_SC_SC_iiiiiiiiiiiDpT3_.kd
    .uniform_work_group_size: 1
    .uses_dynamic_stack: false
    .vgpr_count:     13
    .vgpr_spill_count: 0
    .wavefront_size: 32
  - .args:
      - .address_space:  global
        .offset:         0
        .size:           8
        .value_kind:     global_buffer
      - .address_space:  global
        .offset:         8
        .size:           8
        .value_kind:     global_buffer
      - .address_space:  global
        .offset:         16
        .size:           8
        .value_kind:     global_buffer
      - .offset:         24
        .size:           4
        .value_kind:     by_value
      - .offset:         28
        .size:           4
        .value_kind:     by_value
      - .offset:         32
        .size:           4
        .value_kind:     by_value
      - .offset:         36
        .size:           12
        .value_kind:     by_value
      - .offset:         48
        .size:           12
        .value_kind:     by_value
      - .offset:         60
        .size:           12
        .value_kind:     by_value
      - .offset:         72
        .size:           12
        .value_kind:     by_value
      - .offset:         84
        .size:           12
        .value_kind:     by_value
      - .offset:         96
        .size:           4
        .value_kind:     by_value
      - .offset:         100
        .size:           4
        .value_kind:     by_value
      - .offset:         104
        .size:           4
        .value_kind:     by_value
      - .offset:         108
        .size:           4
        .value_kind:     by_value
      - .offset:         112
        .size:           4
        .value_kind:     by_value
      - .offset:         116
        .size:           4
        .value_kind:     by_value
      - .offset:         120
        .size:           4
        .value_kind:     by_value
      - .offset:         124
        .size:           4
        .value_kind:     by_value
      - .offset:         128
        .size:           4
        .value_kind:     by_value
      - .offset:         132
        .size:           4
        .value_kind:     by_value
      - .offset:         136
        .size:           4
        .value_kind:     by_value
      - .address_space:  global
        .offset:         144
        .size:           8
        .value_kind:     global_buffer
      - .address_space:  global
        .offset:         152
        .size:           8
        .value_kind:     global_buffer
      - .address_space:  global
        .offset:         160
        .size:           8
        .value_kind:     global_buffer
      - .offset:         168
        .size:           4
        .value_kind:     hidden_block_count_x
      - .offset:         172
        .size:           4
        .value_kind:     hidden_block_count_y
      - .offset:         176
        .size:           4
        .value_kind:     hidden_block_count_z
      - .offset:         180
        .size:           2
        .value_kind:     hidden_group_size_x
      - .offset:         182
        .size:           2
        .value_kind:     hidden_group_size_y
      - .offset:         184
        .size:           2
        .value_kind:     hidden_group_size_z
      - .offset:         186
        .size:           2
        .value_kind:     hidden_remainder_x
      - .offset:         188
        .size:           2
        .value_kind:     hidden_remainder_y
      - .offset:         190
        .size:           2
        .value_kind:     hidden_remainder_z
      - .offset:         208
        .size:           8
        .value_kind:     hidden_global_offset_x
      - .offset:         216
        .size:           8
        .value_kind:     hidden_global_offset_y
      - .offset:         224
        .size:           8
        .value_kind:     hidden_global_offset_z
      - .offset:         232
        .size:           2
        .value_kind:     hidden_grid_dims
    .group_segment_fixed_size: 0
    .kernarg_segment_align: 8
    .kernarg_segment_size: 424
    .language:       OpenCL C
    .language_version:
      - 2
      - 0
    .max_flat_workgroup_size: 1024
    .name:           _ZL11k_bin_bcastIXadL_ZL6op_addffEE6__halfS0_S0_JPKS0_S2_S2_EEvPKT0_PKT1_PT2_iii15HIP_vector_typeIjLj3EESC_SC_SC_SC_iiiiiiiiiiiDpT3_
    .private_segment_fixed_size: 0
    .sgpr_count:     41
    .sgpr_spill_count: 0
    .symbol:         _ZL11k_bin_bcastIXadL_ZL6op_addffEE6__halfS0_S0_JPKS0_S2_S2_EEvPKT0_PKT1_PT2_iii15HIP_vector_typeIjLj3EESC_SC_SC_SC_iiiiiiiiiiiDpT3_.kd
    .uniform_work_group_size: 1
    .uses_dynamic_stack: false
    .vgpr_count:     17
    .vgpr_spill_count: 0
    .wavefront_size: 32
  - .args:
      - .address_space:  global
        .offset:         0
        .size:           8
        .value_kind:     global_buffer
      - .address_space:  global
        .offset:         8
        .size:           8
        .value_kind:     global_buffer
      - .address_space:  global
        .offset:         16
        .size:           8
        .value_kind:     global_buffer
      - .offset:         24
        .size:           12
        .value_kind:     by_value
      - .offset:         36
        .size:           12
        .value_kind:     by_value
      - .offset:         48
        .size:           12
        .value_kind:     by_value
      - .offset:         60
        .size:           4
        .value_kind:     by_value
      - .offset:         64
        .size:           12
        .value_kind:     by_value
      - .offset:         76
        .size:           12
        .value_kind:     by_value
      - .offset:         88
        .size:           12
        .value_kind:     by_value
      - .offset:         100
        .size:           12
        .value_kind:     by_value
      - .offset:         112
        .size:           12
        .value_kind:     by_value
      - .offset:         124
        .size:           12
        .value_kind:     by_value
      - .offset:         136
        .size:           4
        .value_kind:     by_value
      - .offset:         140
        .size:           4
        .value_kind:     by_value
      - .offset:         144
        .size:           4
        .value_kind:     by_value
      - .offset:         148
        .size:           4
        .value_kind:     by_value
      - .offset:         152
        .size:           4
        .value_kind:     by_value
      - .offset:         156
        .size:           4
        .value_kind:     by_value
      - .offset:         160
        .size:           4
        .value_kind:     by_value
      - .offset:         164
        .size:           4
        .value_kind:     by_value
      - .offset:         168
        .size:           4
        .value_kind:     by_value
      - .offset:         172
        .size:           4
        .value_kind:     by_value
      - .offset:         176
        .size:           4
        .value_kind:     by_value
      - .address_space:  global
        .offset:         184
        .size:           8
        .value_kind:     global_buffer
      - .address_space:  global
        .offset:         192
        .size:           8
        .value_kind:     global_buffer
      - .address_space:  global
        .offset:         200
        .size:           8
        .value_kind:     global_buffer
      - .offset:         208
        .size:           4
        .value_kind:     hidden_block_count_x
      - .offset:         212
        .size:           4
        .value_kind:     hidden_block_count_y
      - .offset:         216
        .size:           4
        .value_kind:     hidden_block_count_z
      - .offset:         220
        .size:           2
        .value_kind:     hidden_group_size_x
      - .offset:         222
        .size:           2
        .value_kind:     hidden_group_size_y
      - .offset:         224
        .size:           2
        .value_kind:     hidden_group_size_z
      - .offset:         226
        .size:           2
        .value_kind:     hidden_remainder_x
      - .offset:         228
        .size:           2
        .value_kind:     hidden_remainder_y
      - .offset:         230
        .size:           2
        .value_kind:     hidden_remainder_z
      - .offset:         248
        .size:           8
        .value_kind:     hidden_global_offset_x
      - .offset:         256
        .size:           8
        .value_kind:     hidden_global_offset_y
      - .offset:         264
        .size:           8
        .value_kind:     hidden_global_offset_z
      - .offset:         272
        .size:           2
        .value_kind:     hidden_grid_dims
    .group_segment_fixed_size: 0
    .kernarg_segment_align: 8
    .kernarg_segment_size: 464
    .language:       OpenCL C
    .language_version:
      - 2
      - 0
    .max_flat_workgroup_size: 1024
    .name:           _ZL19k_bin_bcast_unravelIXadL_ZL6op_addffEE6__halffS0_JPKfS2_S2_EEvPKT0_PKT1_PT2_15HIP_vector_typeIjLj3EESC_SC_jSC_SC_SC_SC_SC_SC_iiiiiiiiiiiDpT3_
    .private_segment_fixed_size: 0
    .sgpr_count:     29
    .sgpr_spill_count: 0
    .symbol:         _ZL19k_bin_bcast_unravelIXadL_ZL6op_addffEE6__halffS0_JPKfS2_S2_EEvPKT0_PKT1_PT2_15HIP_vector_typeIjLj3EESC_SC_jSC_SC_SC_SC_SC_SC_iiiiiiiiiiiDpT3_.kd
    .uniform_work_group_size: 1
    .uses_dynamic_stack: false
    .vgpr_count:     13
    .vgpr_spill_count: 0
    .wavefront_size: 32
  - .args:
      - .address_space:  global
        .offset:         0
        .size:           8
        .value_kind:     global_buffer
      - .address_space:  global
        .offset:         8
        .size:           8
        .value_kind:     global_buffer
      - .address_space:  global
        .offset:         16
        .size:           8
        .value_kind:     global_buffer
      - .offset:         24
        .size:           4
        .value_kind:     by_value
      - .offset:         28
        .size:           4
        .value_kind:     by_value
      - .offset:         32
        .size:           4
        .value_kind:     by_value
      - .offset:         36
        .size:           12
        .value_kind:     by_value
      - .offset:         48
        .size:           12
        .value_kind:     by_value
      - .offset:         60
        .size:           12
        .value_kind:     by_value
      - .offset:         72
        .size:           12
        .value_kind:     by_value
      - .offset:         84
        .size:           12
        .value_kind:     by_value
      - .offset:         96
        .size:           4
        .value_kind:     by_value
      - .offset:         100
        .size:           4
        .value_kind:     by_value
      - .offset:         104
        .size:           4
        .value_kind:     by_value
      - .offset:         108
        .size:           4
        .value_kind:     by_value
      - .offset:         112
        .size:           4
        .value_kind:     by_value
      - .offset:         116
        .size:           4
        .value_kind:     by_value
      - .offset:         120
        .size:           4
        .value_kind:     by_value
      - .offset:         124
        .size:           4
        .value_kind:     by_value
      - .offset:         128
        .size:           4
        .value_kind:     by_value
      - .offset:         132
        .size:           4
        .value_kind:     by_value
      - .offset:         136
        .size:           4
        .value_kind:     by_value
      - .address_space:  global
        .offset:         144
        .size:           8
        .value_kind:     global_buffer
      - .address_space:  global
        .offset:         152
        .size:           8
        .value_kind:     global_buffer
      - .address_space:  global
        .offset:         160
        .size:           8
        .value_kind:     global_buffer
      - .offset:         168
        .size:           4
        .value_kind:     hidden_block_count_x
      - .offset:         172
        .size:           4
        .value_kind:     hidden_block_count_y
      - .offset:         176
        .size:           4
        .value_kind:     hidden_block_count_z
      - .offset:         180
        .size:           2
        .value_kind:     hidden_group_size_x
      - .offset:         182
        .size:           2
        .value_kind:     hidden_group_size_y
      - .offset:         184
        .size:           2
        .value_kind:     hidden_group_size_z
      - .offset:         186
        .size:           2
        .value_kind:     hidden_remainder_x
      - .offset:         188
        .size:           2
        .value_kind:     hidden_remainder_y
      - .offset:         190
        .size:           2
        .value_kind:     hidden_remainder_z
      - .offset:         208
        .size:           8
        .value_kind:     hidden_global_offset_x
      - .offset:         216
        .size:           8
        .value_kind:     hidden_global_offset_y
      - .offset:         224
        .size:           8
        .value_kind:     hidden_global_offset_z
      - .offset:         232
        .size:           2
        .value_kind:     hidden_grid_dims
    .group_segment_fixed_size: 0
    .kernarg_segment_align: 8
    .kernarg_segment_size: 424
    .language:       OpenCL C
    .language_version:
      - 2
      - 0
    .max_flat_workgroup_size: 1024
    .name:           _ZL11k_bin_bcastIXadL_ZL6op_addffEE6__halffS0_JPKfS2_S2_EEvPKT0_PKT1_PT2_iii15HIP_vector_typeIjLj3EESC_SC_SC_SC_iiiiiiiiiiiDpT3_
    .private_segment_fixed_size: 0
    .sgpr_count:     41
    .sgpr_spill_count: 0
    .symbol:         _ZL11k_bin_bcastIXadL_ZL6op_addffEE6__halffS0_JPKfS2_S2_EEvPKT0_PKT1_PT2_iii15HIP_vector_typeIjLj3EESC_SC_SC_SC_iiiiiiiiiiiDpT3_.kd
    .uniform_work_group_size: 1
    .uses_dynamic_stack: false
    .vgpr_count:     17
    .vgpr_spill_count: 0
    .wavefront_size: 32
  - .args:
      - .address_space:  global
        .offset:         0
        .size:           8
        .value_kind:     global_buffer
      - .address_space:  global
        .offset:         8
        .size:           8
        .value_kind:     global_buffer
      - .address_space:  global
        .offset:         16
        .size:           8
        .value_kind:     global_buffer
      - .offset:         24
        .size:           12
        .value_kind:     by_value
      - .offset:         36
        .size:           12
        .value_kind:     by_value
      - .offset:         48
        .size:           12
        .value_kind:     by_value
      - .offset:         60
        .size:           4
        .value_kind:     by_value
      - .offset:         64
        .size:           12
        .value_kind:     by_value
      - .offset:         76
        .size:           12
        .value_kind:     by_value
      - .offset:         88
        .size:           12
        .value_kind:     by_value
      - .offset:         100
        .size:           12
        .value_kind:     by_value
      - .offset:         112
        .size:           12
        .value_kind:     by_value
      - .offset:         124
        .size:           12
        .value_kind:     by_value
      - .offset:         136
        .size:           4
        .value_kind:     by_value
      - .offset:         140
        .size:           4
        .value_kind:     by_value
      - .offset:         144
        .size:           4
        .value_kind:     by_value
      - .offset:         148
        .size:           4
        .value_kind:     by_value
      - .offset:         152
        .size:           4
        .value_kind:     by_value
      - .offset:         156
        .size:           4
        .value_kind:     by_value
      - .offset:         160
        .size:           4
        .value_kind:     by_value
      - .offset:         164
        .size:           4
        .value_kind:     by_value
      - .offset:         168
        .size:           4
        .value_kind:     by_value
      - .offset:         172
        .size:           4
        .value_kind:     by_value
      - .offset:         176
        .size:           4
        .value_kind:     by_value
      - .address_space:  global
        .offset:         184
        .size:           8
        .value_kind:     global_buffer
      - .address_space:  global
        .offset:         192
        .size:           8
        .value_kind:     global_buffer
      - .address_space:  global
        .offset:         200
        .size:           8
        .value_kind:     global_buffer
      - .offset:         208
        .size:           4
        .value_kind:     hidden_block_count_x
      - .offset:         212
        .size:           4
        .value_kind:     hidden_block_count_y
      - .offset:         216
        .size:           4
        .value_kind:     hidden_block_count_z
      - .offset:         220
        .size:           2
        .value_kind:     hidden_group_size_x
      - .offset:         222
        .size:           2
        .value_kind:     hidden_group_size_y
      - .offset:         224
        .size:           2
        .value_kind:     hidden_group_size_z
      - .offset:         226
        .size:           2
        .value_kind:     hidden_remainder_x
      - .offset:         228
        .size:           2
        .value_kind:     hidden_remainder_y
      - .offset:         230
        .size:           2
        .value_kind:     hidden_remainder_z
      - .offset:         248
        .size:           8
        .value_kind:     hidden_global_offset_x
      - .offset:         256
        .size:           8
        .value_kind:     hidden_global_offset_y
      - .offset:         264
        .size:           8
        .value_kind:     hidden_global_offset_z
      - .offset:         272
        .size:           2
        .value_kind:     hidden_grid_dims
    .group_segment_fixed_size: 0
    .kernarg_segment_align: 8
    .kernarg_segment_size: 464
    .language:       OpenCL C
    .language_version:
      - 2
      - 0
    .max_flat_workgroup_size: 1024
    .name:           _ZL19k_bin_bcast_unravelIXadL_ZL6op_addffEE6__halfffJPKfS2_S2_EEvPKT0_PKT1_PT2_15HIP_vector_typeIjLj3EESC_SC_jSC_SC_SC_SC_SC_SC_iiiiiiiiiiiDpT3_
    .private_segment_fixed_size: 0
    .sgpr_count:     29
    .sgpr_spill_count: 0
    .symbol:         _ZL19k_bin_bcast_unravelIXadL_ZL6op_addffEE6__halfffJPKfS2_S2_EEvPKT0_PKT1_PT2_15HIP_vector_typeIjLj3EESC_SC_jSC_SC_SC_SC_SC_SC_iiiiiiiiiiiDpT3_.kd
    .uniform_work_group_size: 1
    .uses_dynamic_stack: false
    .vgpr_count:     13
    .vgpr_spill_count: 0
    .wavefront_size: 32
  - .args:
      - .address_space:  global
        .offset:         0
        .size:           8
        .value_kind:     global_buffer
      - .address_space:  global
        .offset:         8
        .size:           8
        .value_kind:     global_buffer
      - .address_space:  global
        .offset:         16
        .size:           8
        .value_kind:     global_buffer
      - .offset:         24
        .size:           4
        .value_kind:     by_value
      - .offset:         28
        .size:           4
        .value_kind:     by_value
      - .offset:         32
        .size:           4
        .value_kind:     by_value
      - .offset:         36
        .size:           12
        .value_kind:     by_value
      - .offset:         48
        .size:           12
        .value_kind:     by_value
      - .offset:         60
        .size:           12
        .value_kind:     by_value
      - .offset:         72
        .size:           12
        .value_kind:     by_value
      - .offset:         84
        .size:           12
        .value_kind:     by_value
      - .offset:         96
        .size:           4
        .value_kind:     by_value
      - .offset:         100
        .size:           4
        .value_kind:     by_value
      - .offset:         104
        .size:           4
        .value_kind:     by_value
      - .offset:         108
        .size:           4
        .value_kind:     by_value
      - .offset:         112
        .size:           4
        .value_kind:     by_value
      - .offset:         116
        .size:           4
        .value_kind:     by_value
      - .offset:         120
        .size:           4
        .value_kind:     by_value
      - .offset:         124
        .size:           4
        .value_kind:     by_value
      - .offset:         128
        .size:           4
        .value_kind:     by_value
      - .offset:         132
        .size:           4
        .value_kind:     by_value
      - .offset:         136
        .size:           4
        .value_kind:     by_value
      - .address_space:  global
        .offset:         144
        .size:           8
        .value_kind:     global_buffer
      - .address_space:  global
        .offset:         152
        .size:           8
        .value_kind:     global_buffer
      - .address_space:  global
        .offset:         160
        .size:           8
        .value_kind:     global_buffer
      - .offset:         168
        .size:           4
        .value_kind:     hidden_block_count_x
      - .offset:         172
        .size:           4
        .value_kind:     hidden_block_count_y
      - .offset:         176
        .size:           4
        .value_kind:     hidden_block_count_z
      - .offset:         180
        .size:           2
        .value_kind:     hidden_group_size_x
      - .offset:         182
        .size:           2
        .value_kind:     hidden_group_size_y
      - .offset:         184
        .size:           2
        .value_kind:     hidden_group_size_z
      - .offset:         186
        .size:           2
        .value_kind:     hidden_remainder_x
      - .offset:         188
        .size:           2
        .value_kind:     hidden_remainder_y
      - .offset:         190
        .size:           2
        .value_kind:     hidden_remainder_z
      - .offset:         208
        .size:           8
        .value_kind:     hidden_global_offset_x
      - .offset:         216
        .size:           8
        .value_kind:     hidden_global_offset_y
      - .offset:         224
        .size:           8
        .value_kind:     hidden_global_offset_z
      - .offset:         232
        .size:           2
        .value_kind:     hidden_grid_dims
    .group_segment_fixed_size: 0
    .kernarg_segment_align: 8
    .kernarg_segment_size: 424
    .language:       OpenCL C
    .language_version:
      - 2
      - 0
    .max_flat_workgroup_size: 1024
    .name:           _ZL11k_bin_bcastIXadL_ZL6op_addffEE6__halfffJPKfS2_S2_EEvPKT0_PKT1_PT2_iii15HIP_vector_typeIjLj3EESC_SC_SC_SC_iiiiiiiiiiiDpT3_
    .private_segment_fixed_size: 0
    .sgpr_count:     41
    .sgpr_spill_count: 0
    .symbol:         _ZL11k_bin_bcastIXadL_ZL6op_addffEE6__halfffJPKfS2_S2_EEvPKT0_PKT1_PT2_iii15HIP_vector_typeIjLj3EESC_SC_SC_SC_iiiiiiiiiiiDpT3_.kd
    .uniform_work_group_size: 1
    .uses_dynamic_stack: false
    .vgpr_count:     17
    .vgpr_spill_count: 0
    .wavefront_size: 32
  - .args:
      - .address_space:  global
        .offset:         0
        .size:           8
        .value_kind:     global_buffer
      - .address_space:  global
        .offset:         8
        .size:           8
        .value_kind:     global_buffer
      - .address_space:  global
        .offset:         16
        .size:           8
        .value_kind:     global_buffer
      - .offset:         24
        .size:           12
        .value_kind:     by_value
      - .offset:         36
        .size:           12
        .value_kind:     by_value
      - .offset:         48
        .size:           12
        .value_kind:     by_value
      - .offset:         60
        .size:           4
        .value_kind:     by_value
      - .offset:         64
        .size:           12
        .value_kind:     by_value
      - .offset:         76
        .size:           12
        .value_kind:     by_value
      - .offset:         88
        .size:           12
        .value_kind:     by_value
      - .offset:         100
        .size:           12
        .value_kind:     by_value
      - .offset:         112
        .size:           12
        .value_kind:     by_value
      - .offset:         124
        .size:           12
        .value_kind:     by_value
      - .offset:         136
        .size:           4
        .value_kind:     by_value
      - .offset:         140
        .size:           4
        .value_kind:     by_value
      - .offset:         144
        .size:           4
        .value_kind:     by_value
      - .offset:         148
        .size:           4
        .value_kind:     by_value
      - .offset:         152
        .size:           4
        .value_kind:     by_value
      - .offset:         156
        .size:           4
        .value_kind:     by_value
      - .offset:         160
        .size:           4
        .value_kind:     by_value
      - .offset:         164
        .size:           4
        .value_kind:     by_value
      - .offset:         168
        .size:           4
        .value_kind:     by_value
      - .offset:         172
        .size:           4
        .value_kind:     by_value
      - .offset:         176
        .size:           4
        .value_kind:     by_value
      - .address_space:  global
        .offset:         184
        .size:           8
        .value_kind:     global_buffer
      - .address_space:  global
        .offset:         192
        .size:           8
        .value_kind:     global_buffer
      - .address_space:  global
        .offset:         200
        .size:           8
        .value_kind:     global_buffer
      - .address_space:  global
        .offset:         208
        .size:           8
        .value_kind:     global_buffer
      - .offset:         216
        .size:           4
        .value_kind:     hidden_block_count_x
      - .offset:         220
        .size:           4
        .value_kind:     hidden_block_count_y
      - .offset:         224
        .size:           4
        .value_kind:     hidden_block_count_z
      - .offset:         228
        .size:           2
        .value_kind:     hidden_group_size_x
      - .offset:         230
        .size:           2
        .value_kind:     hidden_group_size_y
      - .offset:         232
        .size:           2
        .value_kind:     hidden_group_size_z
      - .offset:         234
        .size:           2
        .value_kind:     hidden_remainder_x
      - .offset:         236
        .size:           2
        .value_kind:     hidden_remainder_y
      - .offset:         238
        .size:           2
        .value_kind:     hidden_remainder_z
      - .offset:         256
        .size:           8
        .value_kind:     hidden_global_offset_x
      - .offset:         264
        .size:           8
        .value_kind:     hidden_global_offset_y
      - .offset:         272
        .size:           8
        .value_kind:     hidden_global_offset_z
      - .offset:         280
        .size:           2
        .value_kind:     hidden_grid_dims
    .group_segment_fixed_size: 0
    .kernarg_segment_align: 8
    .kernarg_segment_size: 472
    .language:       OpenCL C
    .language_version:
      - 2
      - 0
    .max_flat_workgroup_size: 1024
    .name:           _ZL19k_bin_bcast_unravelIXadL_ZL6op_addffEEfffJPKfS1_S1_S1_EEvPKT0_PKT1_PT2_15HIP_vector_typeIjLj3EESB_SB_jSB_SB_SB_SB_SB_SB_iiiiiiiiiiiDpT3_
    .private_segment_fixed_size: 0
    .sgpr_count:     29
    .sgpr_spill_count: 0
    .symbol:         _ZL19k_bin_bcast_unravelIXadL_ZL6op_addffEEfffJPKfS1_S1_S1_EEvPKT0_PKT1_PT2_15HIP_vector_typeIjLj3EESB_SB_jSB_SB_SB_SB_SB_SB_iiiiiiiiiiiDpT3_.kd
    .uniform_work_group_size: 1
    .uses_dynamic_stack: false
    .vgpr_count:     14
    .vgpr_spill_count: 0
    .wavefront_size: 32
  - .args:
      - .address_space:  global
        .offset:         0
        .size:           8
        .value_kind:     global_buffer
      - .address_space:  global
        .offset:         8
        .size:           8
        .value_kind:     global_buffer
      - .address_space:  global
        .offset:         16
        .size:           8
        .value_kind:     global_buffer
      - .offset:         24
        .size:           4
        .value_kind:     by_value
      - .offset:         28
        .size:           4
        .value_kind:     by_value
      - .offset:         32
        .size:           4
        .value_kind:     by_value
      - .offset:         36
        .size:           12
        .value_kind:     by_value
      - .offset:         48
        .size:           12
        .value_kind:     by_value
      - .offset:         60
        .size:           12
        .value_kind:     by_value
      - .offset:         72
        .size:           12
        .value_kind:     by_value
      - .offset:         84
        .size:           12
        .value_kind:     by_value
      - .offset:         96
        .size:           4
        .value_kind:     by_value
      - .offset:         100
        .size:           4
        .value_kind:     by_value
      - .offset:         104
        .size:           4
        .value_kind:     by_value
      - .offset:         108
        .size:           4
        .value_kind:     by_value
      - .offset:         112
        .size:           4
        .value_kind:     by_value
      - .offset:         116
        .size:           4
        .value_kind:     by_value
      - .offset:         120
        .size:           4
        .value_kind:     by_value
      - .offset:         124
        .size:           4
        .value_kind:     by_value
      - .offset:         128
        .size:           4
        .value_kind:     by_value
      - .offset:         132
        .size:           4
        .value_kind:     by_value
      - .offset:         136
        .size:           4
        .value_kind:     by_value
      - .address_space:  global
        .offset:         144
        .size:           8
        .value_kind:     global_buffer
      - .address_space:  global
        .offset:         152
        .size:           8
        .value_kind:     global_buffer
      - .address_space:  global
        .offset:         160
        .size:           8
        .value_kind:     global_buffer
      - .address_space:  global
        .offset:         168
        .size:           8
        .value_kind:     global_buffer
      - .offset:         176
        .size:           4
        .value_kind:     hidden_block_count_x
      - .offset:         180
        .size:           4
        .value_kind:     hidden_block_count_y
      - .offset:         184
        .size:           4
        .value_kind:     hidden_block_count_z
      - .offset:         188
        .size:           2
        .value_kind:     hidden_group_size_x
      - .offset:         190
        .size:           2
        .value_kind:     hidden_group_size_y
      - .offset:         192
        .size:           2
        .value_kind:     hidden_group_size_z
      - .offset:         194
        .size:           2
        .value_kind:     hidden_remainder_x
      - .offset:         196
        .size:           2
        .value_kind:     hidden_remainder_y
      - .offset:         198
        .size:           2
        .value_kind:     hidden_remainder_z
      - .offset:         216
        .size:           8
        .value_kind:     hidden_global_offset_x
      - .offset:         224
        .size:           8
        .value_kind:     hidden_global_offset_y
      - .offset:         232
        .size:           8
        .value_kind:     hidden_global_offset_z
      - .offset:         240
        .size:           2
        .value_kind:     hidden_grid_dims
    .group_segment_fixed_size: 0
    .kernarg_segment_align: 8
    .kernarg_segment_size: 432
    .language:       OpenCL C
    .language_version:
      - 2
      - 0
    .max_flat_workgroup_size: 1024
    .name:           _ZL11k_bin_bcastIXadL_ZL6op_addffEEfffJPKfS1_S1_S1_EEvPKT0_PKT1_PT2_iii15HIP_vector_typeIjLj3EESB_SB_SB_SB_iiiiiiiiiiiDpT3_
    .private_segment_fixed_size: 0
    .sgpr_count:     41
    .sgpr_spill_count: 0
    .symbol:         _ZL11k_bin_bcastIXadL_ZL6op_addffEEfffJPKfS1_S1_S1_EEvPKT0_PKT1_PT2_iii15HIP_vector_typeIjLj3EESB_SB_SB_SB_iiiiiiiiiiiDpT3_.kd
    .uniform_work_group_size: 1
    .uses_dynamic_stack: false
    .vgpr_count:     18
    .vgpr_spill_count: 0
    .wavefront_size: 32
  - .args:
      - .address_space:  global
        .offset:         0
        .size:           8
        .value_kind:     global_buffer
      - .address_space:  global
        .offset:         8
        .size:           8
        .value_kind:     global_buffer
      - .address_space:  global
        .offset:         16
        .size:           8
        .value_kind:     global_buffer
      - .offset:         24
        .size:           12
        .value_kind:     by_value
      - .offset:         36
        .size:           12
        .value_kind:     by_value
      - .offset:         48
        .size:           12
        .value_kind:     by_value
      - .offset:         60
        .size:           4
        .value_kind:     by_value
      - .offset:         64
        .size:           12
        .value_kind:     by_value
      - .offset:         76
        .size:           12
        .value_kind:     by_value
      - .offset:         88
        .size:           12
        .value_kind:     by_value
      - .offset:         100
        .size:           12
        .value_kind:     by_value
      - .offset:         112
        .size:           12
        .value_kind:     by_value
      - .offset:         124
        .size:           12
        .value_kind:     by_value
      - .offset:         136
        .size:           4
        .value_kind:     by_value
      - .offset:         140
        .size:           4
        .value_kind:     by_value
      - .offset:         144
        .size:           4
        .value_kind:     by_value
      - .offset:         148
        .size:           4
        .value_kind:     by_value
      - .offset:         152
        .size:           4
        .value_kind:     by_value
      - .offset:         156
        .size:           4
        .value_kind:     by_value
      - .offset:         160
        .size:           4
        .value_kind:     by_value
      - .offset:         164
        .size:           4
        .value_kind:     by_value
      - .offset:         168
        .size:           4
        .value_kind:     by_value
      - .offset:         172
        .size:           4
        .value_kind:     by_value
      - .offset:         176
        .size:           4
        .value_kind:     by_value
      - .address_space:  global
        .offset:         184
        .size:           8
        .value_kind:     global_buffer
      - .address_space:  global
        .offset:         192
        .size:           8
        .value_kind:     global_buffer
      - .address_space:  global
        .offset:         200
        .size:           8
        .value_kind:     global_buffer
      - .address_space:  global
        .offset:         208
        .size:           8
        .value_kind:     global_buffer
      - .offset:         216
        .size:           4
        .value_kind:     hidden_block_count_x
      - .offset:         220
        .size:           4
        .value_kind:     hidden_block_count_y
      - .offset:         224
        .size:           4
        .value_kind:     hidden_block_count_z
      - .offset:         228
        .size:           2
        .value_kind:     hidden_group_size_x
      - .offset:         230
        .size:           2
        .value_kind:     hidden_group_size_y
      - .offset:         232
        .size:           2
        .value_kind:     hidden_group_size_z
      - .offset:         234
        .size:           2
        .value_kind:     hidden_remainder_x
      - .offset:         236
        .size:           2
        .value_kind:     hidden_remainder_y
      - .offset:         238
        .size:           2
        .value_kind:     hidden_remainder_z
      - .offset:         256
        .size:           8
        .value_kind:     hidden_global_offset_x
      - .offset:         264
        .size:           8
        .value_kind:     hidden_global_offset_y
      - .offset:         272
        .size:           8
        .value_kind:     hidden_global_offset_z
      - .offset:         280
        .size:           2
        .value_kind:     hidden_grid_dims
    .group_segment_fixed_size: 0
    .kernarg_segment_align: 8
    .kernarg_segment_size: 472
    .language:       OpenCL C
    .language_version:
      - 2
      - 0
    .max_flat_workgroup_size: 1024
    .name:           _ZL19k_bin_bcast_unravelIXadL_ZL6op_addffEE6__halfS0_S0_JPKS0_S2_S2_S2_EEvPKT0_PKT1_PT2_15HIP_vector_typeIjLj3EESC_SC_jSC_SC_SC_SC_SC_SC_iiiiiiiiiiiDpT3_
    .private_segment_fixed_size: 0
    .sgpr_count:     29
    .sgpr_spill_count: 0
    .symbol:         _ZL19k_bin_bcast_unravelIXadL_ZL6op_addffEE6__halfS0_S0_JPKS0_S2_S2_S2_EEvPKT0_PKT1_PT2_15HIP_vector_typeIjLj3EESC_SC_jSC_SC_SC_SC_SC_SC_iiiiiiiiiiiDpT3_.kd
    .uniform_work_group_size: 1
    .uses_dynamic_stack: false
    .vgpr_count:     14
    .vgpr_spill_count: 0
    .wavefront_size: 32
  - .args:
      - .address_space:  global
        .offset:         0
        .size:           8
        .value_kind:     global_buffer
      - .address_space:  global
        .offset:         8
        .size:           8
        .value_kind:     global_buffer
      - .address_space:  global
        .offset:         16
        .size:           8
        .value_kind:     global_buffer
      - .offset:         24
        .size:           4
        .value_kind:     by_value
      - .offset:         28
        .size:           4
        .value_kind:     by_value
      - .offset:         32
        .size:           4
        .value_kind:     by_value
      - .offset:         36
        .size:           12
        .value_kind:     by_value
      - .offset:         48
        .size:           12
        .value_kind:     by_value
      - .offset:         60
        .size:           12
        .value_kind:     by_value
      - .offset:         72
        .size:           12
        .value_kind:     by_value
      - .offset:         84
        .size:           12
        .value_kind:     by_value
      - .offset:         96
        .size:           4
        .value_kind:     by_value
      - .offset:         100
        .size:           4
        .value_kind:     by_value
      - .offset:         104
        .size:           4
        .value_kind:     by_value
      - .offset:         108
        .size:           4
        .value_kind:     by_value
      - .offset:         112
        .size:           4
        .value_kind:     by_value
      - .offset:         116
        .size:           4
        .value_kind:     by_value
      - .offset:         120
        .size:           4
        .value_kind:     by_value
      - .offset:         124
        .size:           4
        .value_kind:     by_value
      - .offset:         128
        .size:           4
        .value_kind:     by_value
      - .offset:         132
        .size:           4
        .value_kind:     by_value
      - .offset:         136
        .size:           4
        .value_kind:     by_value
      - .address_space:  global
        .offset:         144
        .size:           8
        .value_kind:     global_buffer
      - .address_space:  global
        .offset:         152
        .size:           8
        .value_kind:     global_buffer
      - .address_space:  global
        .offset:         160
        .size:           8
        .value_kind:     global_buffer
      - .address_space:  global
        .offset:         168
        .size:           8
        .value_kind:     global_buffer
      - .offset:         176
        .size:           4
        .value_kind:     hidden_block_count_x
      - .offset:         180
        .size:           4
        .value_kind:     hidden_block_count_y
      - .offset:         184
        .size:           4
        .value_kind:     hidden_block_count_z
      - .offset:         188
        .size:           2
        .value_kind:     hidden_group_size_x
      - .offset:         190
        .size:           2
        .value_kind:     hidden_group_size_y
      - .offset:         192
        .size:           2
        .value_kind:     hidden_group_size_z
      - .offset:         194
        .size:           2
        .value_kind:     hidden_remainder_x
      - .offset:         196
        .size:           2
        .value_kind:     hidden_remainder_y
      - .offset:         198
        .size:           2
        .value_kind:     hidden_remainder_z
      - .offset:         216
        .size:           8
        .value_kind:     hidden_global_offset_x
      - .offset:         224
        .size:           8
        .value_kind:     hidden_global_offset_y
      - .offset:         232
        .size:           8
        .value_kind:     hidden_global_offset_z
      - .offset:         240
        .size:           2
        .value_kind:     hidden_grid_dims
    .group_segment_fixed_size: 0
    .kernarg_segment_align: 8
    .kernarg_segment_size: 432
    .language:       OpenCL C
    .language_version:
      - 2
      - 0
    .max_flat_workgroup_size: 1024
    .name:           _ZL11k_bin_bcastIXadL_ZL6op_addffEE6__halfS0_S0_JPKS0_S2_S2_S2_EEvPKT0_PKT1_PT2_iii15HIP_vector_typeIjLj3EESC_SC_SC_SC_iiiiiiiiiiiDpT3_
    .private_segment_fixed_size: 0
    .sgpr_count:     41
    .sgpr_spill_count: 0
    .symbol:         _ZL11k_bin_bcastIXadL_ZL6op_addffEE6__halfS0_S0_JPKS0_S2_S2_S2_EEvPKT0_PKT1_PT2_iii15HIP_vector_typeIjLj3EESC_SC_SC_SC_iiiiiiiiiiiDpT3_.kd
    .uniform_work_group_size: 1
    .uses_dynamic_stack: false
    .vgpr_count:     18
    .vgpr_spill_count: 0
    .wavefront_size: 32
  - .args:
      - .address_space:  global
        .offset:         0
        .size:           8
        .value_kind:     global_buffer
      - .address_space:  global
        .offset:         8
        .size:           8
        .value_kind:     global_buffer
      - .address_space:  global
        .offset:         16
        .size:           8
        .value_kind:     global_buffer
      - .offset:         24
        .size:           12
        .value_kind:     by_value
      - .offset:         36
        .size:           12
        .value_kind:     by_value
      - .offset:         48
        .size:           12
        .value_kind:     by_value
      - .offset:         60
        .size:           4
        .value_kind:     by_value
      - .offset:         64
        .size:           12
        .value_kind:     by_value
      - .offset:         76
        .size:           12
        .value_kind:     by_value
      - .offset:         88
        .size:           12
        .value_kind:     by_value
      - .offset:         100
        .size:           12
        .value_kind:     by_value
      - .offset:         112
        .size:           12
        .value_kind:     by_value
      - .offset:         124
        .size:           12
        .value_kind:     by_value
      - .offset:         136
        .size:           4
        .value_kind:     by_value
      - .offset:         140
        .size:           4
        .value_kind:     by_value
      - .offset:         144
        .size:           4
        .value_kind:     by_value
      - .offset:         148
        .size:           4
        .value_kind:     by_value
      - .offset:         152
        .size:           4
        .value_kind:     by_value
      - .offset:         156
        .size:           4
        .value_kind:     by_value
      - .offset:         160
        .size:           4
        .value_kind:     by_value
      - .offset:         164
        .size:           4
        .value_kind:     by_value
      - .offset:         168
        .size:           4
        .value_kind:     by_value
      - .offset:         172
        .size:           4
        .value_kind:     by_value
      - .offset:         176
        .size:           4
        .value_kind:     by_value
      - .address_space:  global
        .offset:         184
        .size:           8
        .value_kind:     global_buffer
      - .address_space:  global
        .offset:         192
        .size:           8
        .value_kind:     global_buffer
      - .address_space:  global
        .offset:         200
        .size:           8
        .value_kind:     global_buffer
      - .address_space:  global
        .offset:         208
        .size:           8
        .value_kind:     global_buffer
      - .offset:         216
        .size:           4
        .value_kind:     hidden_block_count_x
      - .offset:         220
        .size:           4
        .value_kind:     hidden_block_count_y
      - .offset:         224
        .size:           4
        .value_kind:     hidden_block_count_z
      - .offset:         228
        .size:           2
        .value_kind:     hidden_group_size_x
      - .offset:         230
        .size:           2
        .value_kind:     hidden_group_size_y
      - .offset:         232
        .size:           2
        .value_kind:     hidden_group_size_z
      - .offset:         234
        .size:           2
        .value_kind:     hidden_remainder_x
      - .offset:         236
        .size:           2
        .value_kind:     hidden_remainder_y
      - .offset:         238
        .size:           2
        .value_kind:     hidden_remainder_z
      - .offset:         256
        .size:           8
        .value_kind:     hidden_global_offset_x
      - .offset:         264
        .size:           8
        .value_kind:     hidden_global_offset_y
      - .offset:         272
        .size:           8
        .value_kind:     hidden_global_offset_z
      - .offset:         280
        .size:           2
        .value_kind:     hidden_grid_dims
    .group_segment_fixed_size: 0
    .kernarg_segment_align: 8
    .kernarg_segment_size: 472
    .language:       OpenCL C
    .language_version:
      - 2
      - 0
    .max_flat_workgroup_size: 1024
    .name:           _ZL19k_bin_bcast_unravelIXadL_ZL6op_addffEE6__halffS0_JPKfS2_S2_S2_EEvPKT0_PKT1_PT2_15HIP_vector_typeIjLj3EESC_SC_jSC_SC_SC_SC_SC_SC_iiiiiiiiiiiDpT3_
    .private_segment_fixed_size: 0
    .sgpr_count:     29
    .sgpr_spill_count: 0
    .symbol:         _ZL19k_bin_bcast_unravelIXadL_ZL6op_addffEE6__halffS0_JPKfS2_S2_S2_EEvPKT0_PKT1_PT2_15HIP_vector_typeIjLj3EESC_SC_jSC_SC_SC_SC_SC_SC_iiiiiiiiiiiDpT3_.kd
    .uniform_work_group_size: 1
    .uses_dynamic_stack: false
    .vgpr_count:     14
    .vgpr_spill_count: 0
    .wavefront_size: 32
  - .args:
      - .address_space:  global
        .offset:         0
        .size:           8
        .value_kind:     global_buffer
      - .address_space:  global
        .offset:         8
        .size:           8
        .value_kind:     global_buffer
      - .address_space:  global
        .offset:         16
        .size:           8
        .value_kind:     global_buffer
      - .offset:         24
        .size:           4
        .value_kind:     by_value
      - .offset:         28
        .size:           4
        .value_kind:     by_value
      - .offset:         32
        .size:           4
        .value_kind:     by_value
      - .offset:         36
        .size:           12
        .value_kind:     by_value
      - .offset:         48
        .size:           12
        .value_kind:     by_value
      - .offset:         60
        .size:           12
        .value_kind:     by_value
      - .offset:         72
        .size:           12
        .value_kind:     by_value
      - .offset:         84
        .size:           12
        .value_kind:     by_value
      - .offset:         96
        .size:           4
        .value_kind:     by_value
      - .offset:         100
        .size:           4
        .value_kind:     by_value
      - .offset:         104
        .size:           4
        .value_kind:     by_value
      - .offset:         108
        .size:           4
        .value_kind:     by_value
      - .offset:         112
        .size:           4
        .value_kind:     by_value
      - .offset:         116
        .size:           4
        .value_kind:     by_value
      - .offset:         120
        .size:           4
        .value_kind:     by_value
      - .offset:         124
        .size:           4
        .value_kind:     by_value
      - .offset:         128
        .size:           4
        .value_kind:     by_value
      - .offset:         132
        .size:           4
        .value_kind:     by_value
      - .offset:         136
        .size:           4
        .value_kind:     by_value
      - .address_space:  global
        .offset:         144
        .size:           8
        .value_kind:     global_buffer
      - .address_space:  global
        .offset:         152
        .size:           8
        .value_kind:     global_buffer
      - .address_space:  global
        .offset:         160
        .size:           8
        .value_kind:     global_buffer
      - .address_space:  global
        .offset:         168
        .size:           8
        .value_kind:     global_buffer
      - .offset:         176
        .size:           4
        .value_kind:     hidden_block_count_x
      - .offset:         180
        .size:           4
        .value_kind:     hidden_block_count_y
      - .offset:         184
        .size:           4
        .value_kind:     hidden_block_count_z
      - .offset:         188
        .size:           2
        .value_kind:     hidden_group_size_x
      - .offset:         190
        .size:           2
        .value_kind:     hidden_group_size_y
      - .offset:         192
        .size:           2
        .value_kind:     hidden_group_size_z
      - .offset:         194
        .size:           2
        .value_kind:     hidden_remainder_x
      - .offset:         196
        .size:           2
        .value_kind:     hidden_remainder_y
      - .offset:         198
        .size:           2
        .value_kind:     hidden_remainder_z
      - .offset:         216
        .size:           8
        .value_kind:     hidden_global_offset_x
      - .offset:         224
        .size:           8
        .value_kind:     hidden_global_offset_y
      - .offset:         232
        .size:           8
        .value_kind:     hidden_global_offset_z
      - .offset:         240
        .size:           2
        .value_kind:     hidden_grid_dims
    .group_segment_fixed_size: 0
    .kernarg_segment_align: 8
    .kernarg_segment_size: 432
    .language:       OpenCL C
    .language_version:
      - 2
      - 0
    .max_flat_workgroup_size: 1024
    .name:           _ZL11k_bin_bcastIXadL_ZL6op_addffEE6__halffS0_JPKfS2_S2_S2_EEvPKT0_PKT1_PT2_iii15HIP_vector_typeIjLj3EESC_SC_SC_SC_iiiiiiiiiiiDpT3_
    .private_segment_fixed_size: 0
    .sgpr_count:     41
    .sgpr_spill_count: 0
    .symbol:         _ZL11k_bin_bcastIXadL_ZL6op_addffEE6__halffS0_JPKfS2_S2_S2_EEvPKT0_PKT1_PT2_iii15HIP_vector_typeIjLj3EESC_SC_SC_SC_iiiiiiiiiiiDpT3_.kd
    .uniform_work_group_size: 1
    .uses_dynamic_stack: false
    .vgpr_count:     18
    .vgpr_spill_count: 0
    .wavefront_size: 32
  - .args:
      - .address_space:  global
        .offset:         0
        .size:           8
        .value_kind:     global_buffer
      - .address_space:  global
        .offset:         8
        .size:           8
        .value_kind:     global_buffer
      - .address_space:  global
        .offset:         16
        .size:           8
        .value_kind:     global_buffer
      - .offset:         24
        .size:           12
        .value_kind:     by_value
      - .offset:         36
        .size:           12
        .value_kind:     by_value
      - .offset:         48
        .size:           12
        .value_kind:     by_value
      - .offset:         60
        .size:           4
        .value_kind:     by_value
      - .offset:         64
        .size:           12
        .value_kind:     by_value
      - .offset:         76
        .size:           12
        .value_kind:     by_value
      - .offset:         88
        .size:           12
        .value_kind:     by_value
      - .offset:         100
        .size:           12
        .value_kind:     by_value
      - .offset:         112
        .size:           12
        .value_kind:     by_value
      - .offset:         124
        .size:           12
        .value_kind:     by_value
      - .offset:         136
        .size:           4
        .value_kind:     by_value
      - .offset:         140
        .size:           4
        .value_kind:     by_value
      - .offset:         144
        .size:           4
        .value_kind:     by_value
      - .offset:         148
        .size:           4
        .value_kind:     by_value
      - .offset:         152
        .size:           4
        .value_kind:     by_value
      - .offset:         156
        .size:           4
        .value_kind:     by_value
      - .offset:         160
        .size:           4
        .value_kind:     by_value
      - .offset:         164
        .size:           4
        .value_kind:     by_value
      - .offset:         168
        .size:           4
        .value_kind:     by_value
      - .offset:         172
        .size:           4
        .value_kind:     by_value
      - .offset:         176
        .size:           4
        .value_kind:     by_value
      - .address_space:  global
        .offset:         184
        .size:           8
        .value_kind:     global_buffer
      - .address_space:  global
        .offset:         192
        .size:           8
        .value_kind:     global_buffer
      - .address_space:  global
        .offset:         200
        .size:           8
        .value_kind:     global_buffer
      - .address_space:  global
        .offset:         208
        .size:           8
        .value_kind:     global_buffer
      - .offset:         216
        .size:           4
        .value_kind:     hidden_block_count_x
      - .offset:         220
        .size:           4
        .value_kind:     hidden_block_count_y
      - .offset:         224
        .size:           4
        .value_kind:     hidden_block_count_z
      - .offset:         228
        .size:           2
        .value_kind:     hidden_group_size_x
      - .offset:         230
        .size:           2
        .value_kind:     hidden_group_size_y
      - .offset:         232
        .size:           2
        .value_kind:     hidden_group_size_z
      - .offset:         234
        .size:           2
        .value_kind:     hidden_remainder_x
      - .offset:         236
        .size:           2
        .value_kind:     hidden_remainder_y
      - .offset:         238
        .size:           2
        .value_kind:     hidden_remainder_z
      - .offset:         256
        .size:           8
        .value_kind:     hidden_global_offset_x
      - .offset:         264
        .size:           8
        .value_kind:     hidden_global_offset_y
      - .offset:         272
        .size:           8
        .value_kind:     hidden_global_offset_z
      - .offset:         280
        .size:           2
        .value_kind:     hidden_grid_dims
    .group_segment_fixed_size: 0
    .kernarg_segment_align: 8
    .kernarg_segment_size: 472
    .language:       OpenCL C
    .language_version:
      - 2
      - 0
    .max_flat_workgroup_size: 1024
    .name:           _ZL19k_bin_bcast_unravelIXadL_ZL6op_addffEE6__halfffJPKfS2_S2_S2_EEvPKT0_PKT1_PT2_15HIP_vector_typeIjLj3EESC_SC_jSC_SC_SC_SC_SC_SC_iiiiiiiiiiiDpT3_
    .private_segment_fixed_size: 0
    .sgpr_count:     29
    .sgpr_spill_count: 0
    .symbol:         _ZL19k_bin_bcast_unravelIXadL_ZL6op_addffEE6__halfffJPKfS2_S2_S2_EEvPKT0_PKT1_PT2_15HIP_vector_typeIjLj3EESC_SC_jSC_SC_SC_SC_SC_SC_iiiiiiiiiiiDpT3_.kd
    .uniform_work_group_size: 1
    .uses_dynamic_stack: false
    .vgpr_count:     14
    .vgpr_spill_count: 0
    .wavefront_size: 32
  - .args:
      - .address_space:  global
        .offset:         0
        .size:           8
        .value_kind:     global_buffer
      - .address_space:  global
        .offset:         8
        .size:           8
        .value_kind:     global_buffer
      - .address_space:  global
        .offset:         16
        .size:           8
        .value_kind:     global_buffer
      - .offset:         24
        .size:           4
        .value_kind:     by_value
      - .offset:         28
        .size:           4
        .value_kind:     by_value
      - .offset:         32
        .size:           4
        .value_kind:     by_value
      - .offset:         36
        .size:           12
        .value_kind:     by_value
      - .offset:         48
        .size:           12
        .value_kind:     by_value
      - .offset:         60
        .size:           12
        .value_kind:     by_value
      - .offset:         72
        .size:           12
        .value_kind:     by_value
      - .offset:         84
        .size:           12
        .value_kind:     by_value
      - .offset:         96
        .size:           4
        .value_kind:     by_value
      - .offset:         100
        .size:           4
        .value_kind:     by_value
      - .offset:         104
        .size:           4
        .value_kind:     by_value
      - .offset:         108
        .size:           4
        .value_kind:     by_value
      - .offset:         112
        .size:           4
        .value_kind:     by_value
      - .offset:         116
        .size:           4
        .value_kind:     by_value
      - .offset:         120
        .size:           4
        .value_kind:     by_value
      - .offset:         124
        .size:           4
        .value_kind:     by_value
      - .offset:         128
        .size:           4
        .value_kind:     by_value
      - .offset:         132
        .size:           4
        .value_kind:     by_value
      - .offset:         136
        .size:           4
        .value_kind:     by_value
      - .address_space:  global
        .offset:         144
        .size:           8
        .value_kind:     global_buffer
      - .address_space:  global
        .offset:         152
        .size:           8
        .value_kind:     global_buffer
      - .address_space:  global
        .offset:         160
        .size:           8
        .value_kind:     global_buffer
      - .address_space:  global
        .offset:         168
        .size:           8
        .value_kind:     global_buffer
      - .offset:         176
        .size:           4
        .value_kind:     hidden_block_count_x
      - .offset:         180
        .size:           4
        .value_kind:     hidden_block_count_y
      - .offset:         184
        .size:           4
        .value_kind:     hidden_block_count_z
      - .offset:         188
        .size:           2
        .value_kind:     hidden_group_size_x
      - .offset:         190
        .size:           2
        .value_kind:     hidden_group_size_y
      - .offset:         192
        .size:           2
        .value_kind:     hidden_group_size_z
      - .offset:         194
        .size:           2
        .value_kind:     hidden_remainder_x
      - .offset:         196
        .size:           2
        .value_kind:     hidden_remainder_y
      - .offset:         198
        .size:           2
        .value_kind:     hidden_remainder_z
      - .offset:         216
        .size:           8
        .value_kind:     hidden_global_offset_x
      - .offset:         224
        .size:           8
        .value_kind:     hidden_global_offset_y
      - .offset:         232
        .size:           8
        .value_kind:     hidden_global_offset_z
      - .offset:         240
        .size:           2
        .value_kind:     hidden_grid_dims
    .group_segment_fixed_size: 0
    .kernarg_segment_align: 8
    .kernarg_segment_size: 432
    .language:       OpenCL C
    .language_version:
      - 2
      - 0
    .max_flat_workgroup_size: 1024
    .name:           _ZL11k_bin_bcastIXadL_ZL6op_addffEE6__halfffJPKfS2_S2_S2_EEvPKT0_PKT1_PT2_iii15HIP_vector_typeIjLj3EESC_SC_SC_SC_iiiiiiiiiiiDpT3_
    .private_segment_fixed_size: 0
    .sgpr_count:     41
    .sgpr_spill_count: 0
    .symbol:         _ZL11k_bin_bcastIXadL_ZL6op_addffEE6__halfffJPKfS2_S2_S2_EEvPKT0_PKT1_PT2_iii15HIP_vector_typeIjLj3EESC_SC_SC_SC_iiiiiiiiiiiDpT3_.kd
    .uniform_work_group_size: 1
    .uses_dynamic_stack: false
    .vgpr_count:     18
    .vgpr_spill_count: 0
    .wavefront_size: 32
  - .args:
      - .address_space:  global
        .offset:         0
        .size:           8
        .value_kind:     global_buffer
      - .address_space:  global
        .offset:         8
        .size:           8
        .value_kind:     global_buffer
      - .address_space:  global
        .offset:         16
        .size:           8
        .value_kind:     global_buffer
      - .offset:         24
        .size:           12
        .value_kind:     by_value
      - .offset:         36
        .size:           12
        .value_kind:     by_value
      - .offset:         48
        .size:           12
        .value_kind:     by_value
      - .offset:         60
        .size:           4
        .value_kind:     by_value
      - .offset:         64
        .size:           12
        .value_kind:     by_value
      - .offset:         76
        .size:           12
        .value_kind:     by_value
      - .offset:         88
        .size:           12
        .value_kind:     by_value
      - .offset:         100
        .size:           12
        .value_kind:     by_value
      - .offset:         112
        .size:           12
        .value_kind:     by_value
      - .offset:         124
        .size:           12
        .value_kind:     by_value
      - .offset:         136
        .size:           4
        .value_kind:     by_value
      - .offset:         140
        .size:           4
        .value_kind:     by_value
      - .offset:         144
        .size:           4
        .value_kind:     by_value
      - .offset:         148
        .size:           4
        .value_kind:     by_value
      - .offset:         152
        .size:           4
        .value_kind:     by_value
      - .offset:         156
        .size:           4
        .value_kind:     by_value
      - .offset:         160
        .size:           4
        .value_kind:     by_value
      - .offset:         164
        .size:           4
        .value_kind:     by_value
      - .offset:         168
        .size:           4
        .value_kind:     by_value
      - .offset:         172
        .size:           4
        .value_kind:     by_value
      - .offset:         176
        .size:           4
        .value_kind:     by_value
      - .address_space:  global
        .offset:         184
        .size:           8
        .value_kind:     global_buffer
      - .address_space:  global
        .offset:         192
        .size:           8
        .value_kind:     global_buffer
      - .address_space:  global
        .offset:         200
        .size:           8
        .value_kind:     global_buffer
      - .address_space:  global
        .offset:         208
        .size:           8
        .value_kind:     global_buffer
      - .address_space:  global
        .offset:         216
        .size:           8
        .value_kind:     global_buffer
      - .offset:         224
        .size:           4
        .value_kind:     hidden_block_count_x
      - .offset:         228
        .size:           4
        .value_kind:     hidden_block_count_y
      - .offset:         232
        .size:           4
        .value_kind:     hidden_block_count_z
      - .offset:         236
        .size:           2
        .value_kind:     hidden_group_size_x
      - .offset:         238
        .size:           2
        .value_kind:     hidden_group_size_y
      - .offset:         240
        .size:           2
        .value_kind:     hidden_group_size_z
      - .offset:         242
        .size:           2
        .value_kind:     hidden_remainder_x
      - .offset:         244
        .size:           2
        .value_kind:     hidden_remainder_y
      - .offset:         246
        .size:           2
        .value_kind:     hidden_remainder_z
      - .offset:         264
        .size:           8
        .value_kind:     hidden_global_offset_x
      - .offset:         272
        .size:           8
        .value_kind:     hidden_global_offset_y
      - .offset:         280
        .size:           8
        .value_kind:     hidden_global_offset_z
      - .offset:         288
        .size:           2
        .value_kind:     hidden_grid_dims
    .group_segment_fixed_size: 0
    .kernarg_segment_align: 8
    .kernarg_segment_size: 480
    .language:       OpenCL C
    .language_version:
      - 2
      - 0
    .max_flat_workgroup_size: 1024
    .name:           _ZL19k_bin_bcast_unravelIXadL_ZL6op_addffEEfffJPKfS1_S1_S1_S1_EEvPKT0_PKT1_PT2_15HIP_vector_typeIjLj3EESB_SB_jSB_SB_SB_SB_SB_SB_iiiiiiiiiiiDpT3_
    .private_segment_fixed_size: 0
    .sgpr_count:     29
    .sgpr_spill_count: 0
    .symbol:         _ZL19k_bin_bcast_unravelIXadL_ZL6op_addffEEfffJPKfS1_S1_S1_S1_EEvPKT0_PKT1_PT2_15HIP_vector_typeIjLj3EESB_SB_jSB_SB_SB_SB_SB_SB_iiiiiiiiiiiDpT3_.kd
    .uniform_work_group_size: 1
    .uses_dynamic_stack: false
    .vgpr_count:     15
    .vgpr_spill_count: 0
    .wavefront_size: 32
  - .args:
      - .address_space:  global
        .offset:         0
        .size:           8
        .value_kind:     global_buffer
      - .address_space:  global
        .offset:         8
        .size:           8
        .value_kind:     global_buffer
      - .address_space:  global
        .offset:         16
        .size:           8
        .value_kind:     global_buffer
      - .offset:         24
        .size:           4
        .value_kind:     by_value
      - .offset:         28
        .size:           4
        .value_kind:     by_value
      - .offset:         32
        .size:           4
        .value_kind:     by_value
      - .offset:         36
        .size:           12
        .value_kind:     by_value
      - .offset:         48
        .size:           12
        .value_kind:     by_value
      - .offset:         60
        .size:           12
        .value_kind:     by_value
      - .offset:         72
        .size:           12
        .value_kind:     by_value
      - .offset:         84
        .size:           12
        .value_kind:     by_value
      - .offset:         96
        .size:           4
        .value_kind:     by_value
      - .offset:         100
        .size:           4
        .value_kind:     by_value
      - .offset:         104
        .size:           4
        .value_kind:     by_value
      - .offset:         108
        .size:           4
        .value_kind:     by_value
      - .offset:         112
        .size:           4
        .value_kind:     by_value
      - .offset:         116
        .size:           4
        .value_kind:     by_value
      - .offset:         120
        .size:           4
        .value_kind:     by_value
      - .offset:         124
        .size:           4
        .value_kind:     by_value
      - .offset:         128
        .size:           4
        .value_kind:     by_value
      - .offset:         132
        .size:           4
        .value_kind:     by_value
      - .offset:         136
        .size:           4
        .value_kind:     by_value
      - .address_space:  global
        .offset:         144
        .size:           8
        .value_kind:     global_buffer
      - .address_space:  global
        .offset:         152
        .size:           8
        .value_kind:     global_buffer
      - .address_space:  global
        .offset:         160
        .size:           8
        .value_kind:     global_buffer
      - .address_space:  global
        .offset:         168
        .size:           8
        .value_kind:     global_buffer
      - .address_space:  global
        .offset:         176
        .size:           8
        .value_kind:     global_buffer
      - .offset:         184
        .size:           4
        .value_kind:     hidden_block_count_x
      - .offset:         188
        .size:           4
        .value_kind:     hidden_block_count_y
      - .offset:         192
        .size:           4
        .value_kind:     hidden_block_count_z
      - .offset:         196
        .size:           2
        .value_kind:     hidden_group_size_x
      - .offset:         198
        .size:           2
        .value_kind:     hidden_group_size_y
      - .offset:         200
        .size:           2
        .value_kind:     hidden_group_size_z
      - .offset:         202
        .size:           2
        .value_kind:     hidden_remainder_x
      - .offset:         204
        .size:           2
        .value_kind:     hidden_remainder_y
      - .offset:         206
        .size:           2
        .value_kind:     hidden_remainder_z
      - .offset:         224
        .size:           8
        .value_kind:     hidden_global_offset_x
      - .offset:         232
        .size:           8
        .value_kind:     hidden_global_offset_y
      - .offset:         240
        .size:           8
        .value_kind:     hidden_global_offset_z
      - .offset:         248
        .size:           2
        .value_kind:     hidden_grid_dims
    .group_segment_fixed_size: 0
    .kernarg_segment_align: 8
    .kernarg_segment_size: 440
    .language:       OpenCL C
    .language_version:
      - 2
      - 0
    .max_flat_workgroup_size: 1024
    .name:           _ZL11k_bin_bcastIXadL_ZL6op_addffEEfffJPKfS1_S1_S1_S1_EEvPKT0_PKT1_PT2_iii15HIP_vector_typeIjLj3EESB_SB_SB_SB_iiiiiiiiiiiDpT3_
    .private_segment_fixed_size: 0
    .sgpr_count:     34
    .sgpr_spill_count: 0
    .symbol:         _ZL11k_bin_bcastIXadL_ZL6op_addffEEfffJPKfS1_S1_S1_S1_EEvPKT0_PKT1_PT2_iii15HIP_vector_typeIjLj3EESB_SB_SB_SB_iiiiiiiiiiiDpT3_.kd
    .uniform_work_group_size: 1
    .uses_dynamic_stack: false
    .vgpr_count:     19
    .vgpr_spill_count: 0
    .wavefront_size: 32
  - .args:
      - .address_space:  global
        .offset:         0
        .size:           8
        .value_kind:     global_buffer
      - .address_space:  global
        .offset:         8
        .size:           8
        .value_kind:     global_buffer
      - .address_space:  global
        .offset:         16
        .size:           8
        .value_kind:     global_buffer
      - .offset:         24
        .size:           12
        .value_kind:     by_value
      - .offset:         36
        .size:           12
        .value_kind:     by_value
      - .offset:         48
        .size:           12
        .value_kind:     by_value
      - .offset:         60
        .size:           4
        .value_kind:     by_value
      - .offset:         64
        .size:           12
        .value_kind:     by_value
      - .offset:         76
        .size:           12
        .value_kind:     by_value
      - .offset:         88
        .size:           12
        .value_kind:     by_value
      - .offset:         100
        .size:           12
        .value_kind:     by_value
      - .offset:         112
        .size:           12
        .value_kind:     by_value
      - .offset:         124
        .size:           12
        .value_kind:     by_value
      - .offset:         136
        .size:           4
        .value_kind:     by_value
      - .offset:         140
        .size:           4
        .value_kind:     by_value
      - .offset:         144
        .size:           4
        .value_kind:     by_value
      - .offset:         148
        .size:           4
        .value_kind:     by_value
      - .offset:         152
        .size:           4
        .value_kind:     by_value
      - .offset:         156
        .size:           4
        .value_kind:     by_value
      - .offset:         160
        .size:           4
        .value_kind:     by_value
      - .offset:         164
        .size:           4
        .value_kind:     by_value
      - .offset:         168
        .size:           4
        .value_kind:     by_value
      - .offset:         172
        .size:           4
        .value_kind:     by_value
      - .offset:         176
        .size:           4
        .value_kind:     by_value
      - .address_space:  global
        .offset:         184
        .size:           8
        .value_kind:     global_buffer
      - .address_space:  global
        .offset:         192
        .size:           8
        .value_kind:     global_buffer
      - .address_space:  global
        .offset:         200
        .size:           8
        .value_kind:     global_buffer
      - .address_space:  global
        .offset:         208
        .size:           8
        .value_kind:     global_buffer
      - .address_space:  global
        .offset:         216
        .size:           8
        .value_kind:     global_buffer
      - .offset:         224
        .size:           4
        .value_kind:     hidden_block_count_x
      - .offset:         228
        .size:           4
        .value_kind:     hidden_block_count_y
      - .offset:         232
        .size:           4
        .value_kind:     hidden_block_count_z
      - .offset:         236
        .size:           2
        .value_kind:     hidden_group_size_x
      - .offset:         238
        .size:           2
        .value_kind:     hidden_group_size_y
      - .offset:         240
        .size:           2
        .value_kind:     hidden_group_size_z
      - .offset:         242
        .size:           2
        .value_kind:     hidden_remainder_x
      - .offset:         244
        .size:           2
        .value_kind:     hidden_remainder_y
      - .offset:         246
        .size:           2
        .value_kind:     hidden_remainder_z
      - .offset:         264
        .size:           8
        .value_kind:     hidden_global_offset_x
      - .offset:         272
        .size:           8
        .value_kind:     hidden_global_offset_y
      - .offset:         280
        .size:           8
        .value_kind:     hidden_global_offset_z
      - .offset:         288
        .size:           2
        .value_kind:     hidden_grid_dims
    .group_segment_fixed_size: 0
    .kernarg_segment_align: 8
    .kernarg_segment_size: 480
    .language:       OpenCL C
    .language_version:
      - 2
      - 0
    .max_flat_workgroup_size: 1024
    .name:           _ZL19k_bin_bcast_unravelIXadL_ZL6op_addffEE6__halfS0_S0_JPKS0_S2_S2_S2_S2_EEvPKT0_PKT1_PT2_15HIP_vector_typeIjLj3EESC_SC_jSC_SC_SC_SC_SC_SC_iiiiiiiiiiiDpT3_
    .private_segment_fixed_size: 0
    .sgpr_count:     29
    .sgpr_spill_count: 0
    .symbol:         _ZL19k_bin_bcast_unravelIXadL_ZL6op_addffEE6__halfS0_S0_JPKS0_S2_S2_S2_S2_EEvPKT0_PKT1_PT2_15HIP_vector_typeIjLj3EESC_SC_jSC_SC_SC_SC_SC_SC_iiiiiiiiiiiDpT3_.kd
    .uniform_work_group_size: 1
    .uses_dynamic_stack: false
    .vgpr_count:     15
    .vgpr_spill_count: 0
    .wavefront_size: 32
  - .args:
      - .address_space:  global
        .offset:         0
        .size:           8
        .value_kind:     global_buffer
      - .address_space:  global
        .offset:         8
        .size:           8
        .value_kind:     global_buffer
      - .address_space:  global
        .offset:         16
        .size:           8
        .value_kind:     global_buffer
      - .offset:         24
        .size:           4
        .value_kind:     by_value
      - .offset:         28
        .size:           4
        .value_kind:     by_value
      - .offset:         32
        .size:           4
        .value_kind:     by_value
      - .offset:         36
        .size:           12
        .value_kind:     by_value
      - .offset:         48
        .size:           12
        .value_kind:     by_value
      - .offset:         60
        .size:           12
        .value_kind:     by_value
      - .offset:         72
        .size:           12
        .value_kind:     by_value
      - .offset:         84
        .size:           12
        .value_kind:     by_value
      - .offset:         96
        .size:           4
        .value_kind:     by_value
      - .offset:         100
        .size:           4
        .value_kind:     by_value
      - .offset:         104
        .size:           4
        .value_kind:     by_value
      - .offset:         108
        .size:           4
        .value_kind:     by_value
      - .offset:         112
        .size:           4
        .value_kind:     by_value
      - .offset:         116
        .size:           4
        .value_kind:     by_value
      - .offset:         120
        .size:           4
        .value_kind:     by_value
      - .offset:         124
        .size:           4
        .value_kind:     by_value
      - .offset:         128
        .size:           4
        .value_kind:     by_value
      - .offset:         132
        .size:           4
        .value_kind:     by_value
      - .offset:         136
        .size:           4
        .value_kind:     by_value
      - .address_space:  global
        .offset:         144
        .size:           8
        .value_kind:     global_buffer
      - .address_space:  global
        .offset:         152
        .size:           8
        .value_kind:     global_buffer
      - .address_space:  global
        .offset:         160
        .size:           8
        .value_kind:     global_buffer
      - .address_space:  global
        .offset:         168
        .size:           8
        .value_kind:     global_buffer
      - .address_space:  global
        .offset:         176
        .size:           8
        .value_kind:     global_buffer
      - .offset:         184
        .size:           4
        .value_kind:     hidden_block_count_x
      - .offset:         188
        .size:           4
        .value_kind:     hidden_block_count_y
      - .offset:         192
        .size:           4
        .value_kind:     hidden_block_count_z
      - .offset:         196
        .size:           2
        .value_kind:     hidden_group_size_x
      - .offset:         198
        .size:           2
        .value_kind:     hidden_group_size_y
      - .offset:         200
        .size:           2
        .value_kind:     hidden_group_size_z
      - .offset:         202
        .size:           2
        .value_kind:     hidden_remainder_x
      - .offset:         204
        .size:           2
        .value_kind:     hidden_remainder_y
      - .offset:         206
        .size:           2
        .value_kind:     hidden_remainder_z
      - .offset:         224
        .size:           8
        .value_kind:     hidden_global_offset_x
      - .offset:         232
        .size:           8
        .value_kind:     hidden_global_offset_y
      - .offset:         240
        .size:           8
        .value_kind:     hidden_global_offset_z
      - .offset:         248
        .size:           2
        .value_kind:     hidden_grid_dims
    .group_segment_fixed_size: 0
    .kernarg_segment_align: 8
    .kernarg_segment_size: 440
    .language:       OpenCL C
    .language_version:
      - 2
      - 0
    .max_flat_workgroup_size: 1024
    .name:           _ZL11k_bin_bcastIXadL_ZL6op_addffEE6__halfS0_S0_JPKS0_S2_S2_S2_S2_EEvPKT0_PKT1_PT2_iii15HIP_vector_typeIjLj3EESC_SC_SC_SC_iiiiiiiiiiiDpT3_
    .private_segment_fixed_size: 0
    .sgpr_count:     34
    .sgpr_spill_count: 0
    .symbol:         _ZL11k_bin_bcastIXadL_ZL6op_addffEE6__halfS0_S0_JPKS0_S2_S2_S2_S2_EEvPKT0_PKT1_PT2_iii15HIP_vector_typeIjLj3EESC_SC_SC_SC_iiiiiiiiiiiDpT3_.kd
    .uniform_work_group_size: 1
    .uses_dynamic_stack: false
    .vgpr_count:     19
    .vgpr_spill_count: 0
    .wavefront_size: 32
  - .args:
      - .address_space:  global
        .offset:         0
        .size:           8
        .value_kind:     global_buffer
      - .address_space:  global
        .offset:         8
        .size:           8
        .value_kind:     global_buffer
      - .address_space:  global
        .offset:         16
        .size:           8
        .value_kind:     global_buffer
      - .offset:         24
        .size:           12
        .value_kind:     by_value
      - .offset:         36
        .size:           12
        .value_kind:     by_value
      - .offset:         48
        .size:           12
        .value_kind:     by_value
      - .offset:         60
        .size:           4
        .value_kind:     by_value
      - .offset:         64
        .size:           12
        .value_kind:     by_value
      - .offset:         76
        .size:           12
        .value_kind:     by_value
      - .offset:         88
        .size:           12
        .value_kind:     by_value
      - .offset:         100
        .size:           12
        .value_kind:     by_value
      - .offset:         112
        .size:           12
        .value_kind:     by_value
      - .offset:         124
        .size:           12
        .value_kind:     by_value
      - .offset:         136
        .size:           4
        .value_kind:     by_value
      - .offset:         140
        .size:           4
        .value_kind:     by_value
      - .offset:         144
        .size:           4
        .value_kind:     by_value
      - .offset:         148
        .size:           4
        .value_kind:     by_value
      - .offset:         152
        .size:           4
        .value_kind:     by_value
      - .offset:         156
        .size:           4
        .value_kind:     by_value
      - .offset:         160
        .size:           4
        .value_kind:     by_value
      - .offset:         164
        .size:           4
        .value_kind:     by_value
      - .offset:         168
        .size:           4
        .value_kind:     by_value
      - .offset:         172
        .size:           4
        .value_kind:     by_value
      - .offset:         176
        .size:           4
        .value_kind:     by_value
      - .address_space:  global
        .offset:         184
        .size:           8
        .value_kind:     global_buffer
      - .address_space:  global
        .offset:         192
        .size:           8
        .value_kind:     global_buffer
      - .address_space:  global
        .offset:         200
        .size:           8
        .value_kind:     global_buffer
      - .address_space:  global
        .offset:         208
        .size:           8
        .value_kind:     global_buffer
      - .address_space:  global
        .offset:         216
        .size:           8
        .value_kind:     global_buffer
      - .offset:         224
        .size:           4
        .value_kind:     hidden_block_count_x
      - .offset:         228
        .size:           4
        .value_kind:     hidden_block_count_y
      - .offset:         232
        .size:           4
        .value_kind:     hidden_block_count_z
      - .offset:         236
        .size:           2
        .value_kind:     hidden_group_size_x
      - .offset:         238
        .size:           2
        .value_kind:     hidden_group_size_y
      - .offset:         240
        .size:           2
        .value_kind:     hidden_group_size_z
      - .offset:         242
        .size:           2
        .value_kind:     hidden_remainder_x
      - .offset:         244
        .size:           2
        .value_kind:     hidden_remainder_y
      - .offset:         246
        .size:           2
        .value_kind:     hidden_remainder_z
      - .offset:         264
        .size:           8
        .value_kind:     hidden_global_offset_x
      - .offset:         272
        .size:           8
        .value_kind:     hidden_global_offset_y
      - .offset:         280
        .size:           8
        .value_kind:     hidden_global_offset_z
      - .offset:         288
        .size:           2
        .value_kind:     hidden_grid_dims
    .group_segment_fixed_size: 0
    .kernarg_segment_align: 8
    .kernarg_segment_size: 480
    .language:       OpenCL C
    .language_version:
      - 2
      - 0
    .max_flat_workgroup_size: 1024
    .name:           _ZL19k_bin_bcast_unravelIXadL_ZL6op_addffEE6__halffS0_JPKfS2_S2_S2_S2_EEvPKT0_PKT1_PT2_15HIP_vector_typeIjLj3EESC_SC_jSC_SC_SC_SC_SC_SC_iiiiiiiiiiiDpT3_
    .private_segment_fixed_size: 0
    .sgpr_count:     29
    .sgpr_spill_count: 0
    .symbol:         _ZL19k_bin_bcast_unravelIXadL_ZL6op_addffEE6__halffS0_JPKfS2_S2_S2_S2_EEvPKT0_PKT1_PT2_15HIP_vector_typeIjLj3EESC_SC_jSC_SC_SC_SC_SC_SC_iiiiiiiiiiiDpT3_.kd
    .uniform_work_group_size: 1
    .uses_dynamic_stack: false
    .vgpr_count:     15
    .vgpr_spill_count: 0
    .wavefront_size: 32
  - .args:
      - .address_space:  global
        .offset:         0
        .size:           8
        .value_kind:     global_buffer
      - .address_space:  global
        .offset:         8
        .size:           8
        .value_kind:     global_buffer
      - .address_space:  global
        .offset:         16
        .size:           8
        .value_kind:     global_buffer
      - .offset:         24
        .size:           4
        .value_kind:     by_value
      - .offset:         28
        .size:           4
        .value_kind:     by_value
      - .offset:         32
        .size:           4
        .value_kind:     by_value
      - .offset:         36
        .size:           12
        .value_kind:     by_value
      - .offset:         48
        .size:           12
        .value_kind:     by_value
      - .offset:         60
        .size:           12
        .value_kind:     by_value
      - .offset:         72
        .size:           12
        .value_kind:     by_value
      - .offset:         84
        .size:           12
        .value_kind:     by_value
      - .offset:         96
        .size:           4
        .value_kind:     by_value
      - .offset:         100
        .size:           4
        .value_kind:     by_value
      - .offset:         104
        .size:           4
        .value_kind:     by_value
      - .offset:         108
        .size:           4
        .value_kind:     by_value
      - .offset:         112
        .size:           4
        .value_kind:     by_value
      - .offset:         116
        .size:           4
        .value_kind:     by_value
      - .offset:         120
        .size:           4
        .value_kind:     by_value
      - .offset:         124
        .size:           4
        .value_kind:     by_value
      - .offset:         128
        .size:           4
        .value_kind:     by_value
      - .offset:         132
        .size:           4
        .value_kind:     by_value
      - .offset:         136
        .size:           4
        .value_kind:     by_value
      - .address_space:  global
        .offset:         144
        .size:           8
        .value_kind:     global_buffer
      - .address_space:  global
        .offset:         152
        .size:           8
        .value_kind:     global_buffer
      - .address_space:  global
        .offset:         160
        .size:           8
        .value_kind:     global_buffer
      - .address_space:  global
        .offset:         168
        .size:           8
        .value_kind:     global_buffer
      - .address_space:  global
        .offset:         176
        .size:           8
        .value_kind:     global_buffer
      - .offset:         184
        .size:           4
        .value_kind:     hidden_block_count_x
      - .offset:         188
        .size:           4
        .value_kind:     hidden_block_count_y
      - .offset:         192
        .size:           4
        .value_kind:     hidden_block_count_z
      - .offset:         196
        .size:           2
        .value_kind:     hidden_group_size_x
      - .offset:         198
        .size:           2
        .value_kind:     hidden_group_size_y
      - .offset:         200
        .size:           2
        .value_kind:     hidden_group_size_z
      - .offset:         202
        .size:           2
        .value_kind:     hidden_remainder_x
      - .offset:         204
        .size:           2
        .value_kind:     hidden_remainder_y
      - .offset:         206
        .size:           2
        .value_kind:     hidden_remainder_z
      - .offset:         224
        .size:           8
        .value_kind:     hidden_global_offset_x
      - .offset:         232
        .size:           8
        .value_kind:     hidden_global_offset_y
      - .offset:         240
        .size:           8
        .value_kind:     hidden_global_offset_z
      - .offset:         248
        .size:           2
        .value_kind:     hidden_grid_dims
    .group_segment_fixed_size: 0
    .kernarg_segment_align: 8
    .kernarg_segment_size: 440
    .language:       OpenCL C
    .language_version:
      - 2
      - 0
    .max_flat_workgroup_size: 1024
    .name:           _ZL11k_bin_bcastIXadL_ZL6op_addffEE6__halffS0_JPKfS2_S2_S2_S2_EEvPKT0_PKT1_PT2_iii15HIP_vector_typeIjLj3EESC_SC_SC_SC_iiiiiiiiiiiDpT3_
    .private_segment_fixed_size: 0
    .sgpr_count:     34
    .sgpr_spill_count: 0
    .symbol:         _ZL11k_bin_bcastIXadL_ZL6op_addffEE6__halffS0_JPKfS2_S2_S2_S2_EEvPKT0_PKT1_PT2_iii15HIP_vector_typeIjLj3EESC_SC_SC_SC_iiiiiiiiiiiDpT3_.kd
    .uniform_work_group_size: 1
    .uses_dynamic_stack: false
    .vgpr_count:     19
    .vgpr_spill_count: 0
    .wavefront_size: 32
  - .args:
      - .address_space:  global
        .offset:         0
        .size:           8
        .value_kind:     global_buffer
      - .address_space:  global
        .offset:         8
        .size:           8
        .value_kind:     global_buffer
      - .address_space:  global
        .offset:         16
        .size:           8
        .value_kind:     global_buffer
      - .offset:         24
        .size:           12
        .value_kind:     by_value
      - .offset:         36
        .size:           12
        .value_kind:     by_value
      - .offset:         48
        .size:           12
        .value_kind:     by_value
      - .offset:         60
        .size:           4
        .value_kind:     by_value
      - .offset:         64
        .size:           12
        .value_kind:     by_value
      - .offset:         76
        .size:           12
        .value_kind:     by_value
      - .offset:         88
        .size:           12
        .value_kind:     by_value
      - .offset:         100
        .size:           12
        .value_kind:     by_value
      - .offset:         112
        .size:           12
        .value_kind:     by_value
      - .offset:         124
        .size:           12
        .value_kind:     by_value
      - .offset:         136
        .size:           4
        .value_kind:     by_value
      - .offset:         140
        .size:           4
        .value_kind:     by_value
      - .offset:         144
        .size:           4
        .value_kind:     by_value
      - .offset:         148
        .size:           4
        .value_kind:     by_value
      - .offset:         152
        .size:           4
        .value_kind:     by_value
      - .offset:         156
        .size:           4
        .value_kind:     by_value
      - .offset:         160
        .size:           4
        .value_kind:     by_value
      - .offset:         164
        .size:           4
        .value_kind:     by_value
      - .offset:         168
        .size:           4
        .value_kind:     by_value
      - .offset:         172
        .size:           4
        .value_kind:     by_value
      - .offset:         176
        .size:           4
        .value_kind:     by_value
      - .address_space:  global
        .offset:         184
        .size:           8
        .value_kind:     global_buffer
      - .address_space:  global
        .offset:         192
        .size:           8
        .value_kind:     global_buffer
      - .address_space:  global
        .offset:         200
        .size:           8
        .value_kind:     global_buffer
      - .address_space:  global
        .offset:         208
        .size:           8
        .value_kind:     global_buffer
      - .address_space:  global
        .offset:         216
        .size:           8
        .value_kind:     global_buffer
      - .offset:         224
        .size:           4
        .value_kind:     hidden_block_count_x
      - .offset:         228
        .size:           4
        .value_kind:     hidden_block_count_y
      - .offset:         232
        .size:           4
        .value_kind:     hidden_block_count_z
      - .offset:         236
        .size:           2
        .value_kind:     hidden_group_size_x
      - .offset:         238
        .size:           2
        .value_kind:     hidden_group_size_y
      - .offset:         240
        .size:           2
        .value_kind:     hidden_group_size_z
      - .offset:         242
        .size:           2
        .value_kind:     hidden_remainder_x
      - .offset:         244
        .size:           2
        .value_kind:     hidden_remainder_y
      - .offset:         246
        .size:           2
        .value_kind:     hidden_remainder_z
      - .offset:         264
        .size:           8
        .value_kind:     hidden_global_offset_x
      - .offset:         272
        .size:           8
        .value_kind:     hidden_global_offset_y
      - .offset:         280
        .size:           8
        .value_kind:     hidden_global_offset_z
      - .offset:         288
        .size:           2
        .value_kind:     hidden_grid_dims
    .group_segment_fixed_size: 0
    .kernarg_segment_align: 8
    .kernarg_segment_size: 480
    .language:       OpenCL C
    .language_version:
      - 2
      - 0
    .max_flat_workgroup_size: 1024
    .name:           _ZL19k_bin_bcast_unravelIXadL_ZL6op_addffEE6__halfffJPKfS2_S2_S2_S2_EEvPKT0_PKT1_PT2_15HIP_vector_typeIjLj3EESC_SC_jSC_SC_SC_SC_SC_SC_iiiiiiiiiiiDpT3_
    .private_segment_fixed_size: 0
    .sgpr_count:     29
    .sgpr_spill_count: 0
    .symbol:         _ZL19k_bin_bcast_unravelIXadL_ZL6op_addffEE6__halfffJPKfS2_S2_S2_S2_EEvPKT0_PKT1_PT2_15HIP_vector_typeIjLj3EESC_SC_jSC_SC_SC_SC_SC_SC_iiiiiiiiiiiDpT3_.kd
    .uniform_work_group_size: 1
    .uses_dynamic_stack: false
    .vgpr_count:     15
    .vgpr_spill_count: 0
    .wavefront_size: 32
  - .args:
      - .address_space:  global
        .offset:         0
        .size:           8
        .value_kind:     global_buffer
      - .address_space:  global
        .offset:         8
        .size:           8
        .value_kind:     global_buffer
      - .address_space:  global
        .offset:         16
        .size:           8
        .value_kind:     global_buffer
      - .offset:         24
        .size:           4
        .value_kind:     by_value
      - .offset:         28
        .size:           4
        .value_kind:     by_value
      - .offset:         32
        .size:           4
        .value_kind:     by_value
      - .offset:         36
        .size:           12
        .value_kind:     by_value
      - .offset:         48
        .size:           12
        .value_kind:     by_value
      - .offset:         60
        .size:           12
        .value_kind:     by_value
      - .offset:         72
        .size:           12
        .value_kind:     by_value
      - .offset:         84
        .size:           12
        .value_kind:     by_value
      - .offset:         96
        .size:           4
        .value_kind:     by_value
      - .offset:         100
        .size:           4
        .value_kind:     by_value
      - .offset:         104
        .size:           4
        .value_kind:     by_value
      - .offset:         108
        .size:           4
        .value_kind:     by_value
      - .offset:         112
        .size:           4
        .value_kind:     by_value
      - .offset:         116
        .size:           4
        .value_kind:     by_value
      - .offset:         120
        .size:           4
        .value_kind:     by_value
      - .offset:         124
        .size:           4
        .value_kind:     by_value
      - .offset:         128
        .size:           4
        .value_kind:     by_value
      - .offset:         132
        .size:           4
        .value_kind:     by_value
      - .offset:         136
        .size:           4
        .value_kind:     by_value
      - .address_space:  global
        .offset:         144
        .size:           8
        .value_kind:     global_buffer
      - .address_space:  global
        .offset:         152
        .size:           8
        .value_kind:     global_buffer
      - .address_space:  global
        .offset:         160
        .size:           8
        .value_kind:     global_buffer
      - .address_space:  global
        .offset:         168
        .size:           8
        .value_kind:     global_buffer
      - .address_space:  global
        .offset:         176
        .size:           8
        .value_kind:     global_buffer
      - .offset:         184
        .size:           4
        .value_kind:     hidden_block_count_x
      - .offset:         188
        .size:           4
        .value_kind:     hidden_block_count_y
      - .offset:         192
        .size:           4
        .value_kind:     hidden_block_count_z
      - .offset:         196
        .size:           2
        .value_kind:     hidden_group_size_x
      - .offset:         198
        .size:           2
        .value_kind:     hidden_group_size_y
      - .offset:         200
        .size:           2
        .value_kind:     hidden_group_size_z
      - .offset:         202
        .size:           2
        .value_kind:     hidden_remainder_x
      - .offset:         204
        .size:           2
        .value_kind:     hidden_remainder_y
      - .offset:         206
        .size:           2
        .value_kind:     hidden_remainder_z
      - .offset:         224
        .size:           8
        .value_kind:     hidden_global_offset_x
      - .offset:         232
        .size:           8
        .value_kind:     hidden_global_offset_y
      - .offset:         240
        .size:           8
        .value_kind:     hidden_global_offset_z
      - .offset:         248
        .size:           2
        .value_kind:     hidden_grid_dims
    .group_segment_fixed_size: 0
    .kernarg_segment_align: 8
    .kernarg_segment_size: 440
    .language:       OpenCL C
    .language_version:
      - 2
      - 0
    .max_flat_workgroup_size: 1024
    .name:           _ZL11k_bin_bcastIXadL_ZL6op_addffEE6__halfffJPKfS2_S2_S2_S2_EEvPKT0_PKT1_PT2_iii15HIP_vector_typeIjLj3EESC_SC_SC_SC_iiiiiiiiiiiDpT3_
    .private_segment_fixed_size: 0
    .sgpr_count:     34
    .sgpr_spill_count: 0
    .symbol:         _ZL11k_bin_bcastIXadL_ZL6op_addffEE6__halfffJPKfS2_S2_S2_S2_EEvPKT0_PKT1_PT2_iii15HIP_vector_typeIjLj3EESC_SC_SC_SC_iiiiiiiiiiiDpT3_.kd
    .uniform_work_group_size: 1
    .uses_dynamic_stack: false
    .vgpr_count:     19
    .vgpr_spill_count: 0
    .wavefront_size: 32
  - .args:
      - .address_space:  global
        .offset:         0
        .size:           8
        .value_kind:     global_buffer
      - .address_space:  global
        .offset:         8
        .size:           8
        .value_kind:     global_buffer
      - .address_space:  global
        .offset:         16
        .size:           8
        .value_kind:     global_buffer
      - .offset:         24
        .size:           12
        .value_kind:     by_value
      - .offset:         36
        .size:           12
        .value_kind:     by_value
      - .offset:         48
        .size:           12
        .value_kind:     by_value
      - .offset:         60
        .size:           4
        .value_kind:     by_value
      - .offset:         64
        .size:           12
        .value_kind:     by_value
      - .offset:         76
        .size:           12
        .value_kind:     by_value
      - .offset:         88
        .size:           12
        .value_kind:     by_value
      - .offset:         100
        .size:           12
        .value_kind:     by_value
      - .offset:         112
        .size:           12
        .value_kind:     by_value
      - .offset:         124
        .size:           12
        .value_kind:     by_value
      - .offset:         136
        .size:           4
        .value_kind:     by_value
      - .offset:         140
        .size:           4
        .value_kind:     by_value
      - .offset:         144
        .size:           4
        .value_kind:     by_value
      - .offset:         148
        .size:           4
        .value_kind:     by_value
      - .offset:         152
        .size:           4
        .value_kind:     by_value
      - .offset:         156
        .size:           4
        .value_kind:     by_value
      - .offset:         160
        .size:           4
        .value_kind:     by_value
      - .offset:         164
        .size:           4
        .value_kind:     by_value
      - .offset:         168
        .size:           4
        .value_kind:     by_value
      - .offset:         172
        .size:           4
        .value_kind:     by_value
      - .offset:         176
        .size:           4
        .value_kind:     by_value
      - .address_space:  global
        .offset:         184
        .size:           8
        .value_kind:     global_buffer
      - .address_space:  global
        .offset:         192
        .size:           8
        .value_kind:     global_buffer
      - .address_space:  global
        .offset:         200
        .size:           8
        .value_kind:     global_buffer
      - .address_space:  global
        .offset:         208
        .size:           8
        .value_kind:     global_buffer
      - .address_space:  global
        .offset:         216
        .size:           8
        .value_kind:     global_buffer
      - .address_space:  global
        .offset:         224
        .size:           8
        .value_kind:     global_buffer
      - .offset:         232
        .size:           4
        .value_kind:     hidden_block_count_x
      - .offset:         236
        .size:           4
        .value_kind:     hidden_block_count_y
      - .offset:         240
        .size:           4
        .value_kind:     hidden_block_count_z
      - .offset:         244
        .size:           2
        .value_kind:     hidden_group_size_x
      - .offset:         246
        .size:           2
        .value_kind:     hidden_group_size_y
      - .offset:         248
        .size:           2
        .value_kind:     hidden_group_size_z
      - .offset:         250
        .size:           2
        .value_kind:     hidden_remainder_x
      - .offset:         252
        .size:           2
        .value_kind:     hidden_remainder_y
      - .offset:         254
        .size:           2
        .value_kind:     hidden_remainder_z
      - .offset:         272
        .size:           8
        .value_kind:     hidden_global_offset_x
      - .offset:         280
        .size:           8
        .value_kind:     hidden_global_offset_y
      - .offset:         288
        .size:           8
        .value_kind:     hidden_global_offset_z
      - .offset:         296
        .size:           2
        .value_kind:     hidden_grid_dims
    .group_segment_fixed_size: 0
    .kernarg_segment_align: 8
    .kernarg_segment_size: 488
    .language:       OpenCL C
    .language_version:
      - 2
      - 0
    .max_flat_workgroup_size: 1024
    .name:           _ZL19k_bin_bcast_unravelIXadL_ZL6op_addffEEfffJPKfS1_S1_S1_S1_S1_EEvPKT0_PKT1_PT2_15HIP_vector_typeIjLj3EESB_SB_jSB_SB_SB_SB_SB_SB_iiiiiiiiiiiDpT3_
    .private_segment_fixed_size: 0
    .sgpr_count:     29
    .sgpr_spill_count: 0
    .symbol:         _ZL19k_bin_bcast_unravelIXadL_ZL6op_addffEEfffJPKfS1_S1_S1_S1_S1_EEvPKT0_PKT1_PT2_15HIP_vector_typeIjLj3EESB_SB_jSB_SB_SB_SB_SB_SB_iiiiiiiiiiiDpT3_.kd
    .uniform_work_group_size: 1
    .uses_dynamic_stack: false
    .vgpr_count:     16
    .vgpr_spill_count: 0
    .wavefront_size: 32
  - .args:
      - .address_space:  global
        .offset:         0
        .size:           8
        .value_kind:     global_buffer
      - .address_space:  global
        .offset:         8
        .size:           8
        .value_kind:     global_buffer
      - .address_space:  global
        .offset:         16
        .size:           8
        .value_kind:     global_buffer
      - .offset:         24
        .size:           4
        .value_kind:     by_value
      - .offset:         28
        .size:           4
        .value_kind:     by_value
      - .offset:         32
        .size:           4
        .value_kind:     by_value
      - .offset:         36
        .size:           12
        .value_kind:     by_value
      - .offset:         48
        .size:           12
        .value_kind:     by_value
      - .offset:         60
        .size:           12
        .value_kind:     by_value
      - .offset:         72
        .size:           12
        .value_kind:     by_value
      - .offset:         84
        .size:           12
        .value_kind:     by_value
      - .offset:         96
        .size:           4
        .value_kind:     by_value
      - .offset:         100
        .size:           4
        .value_kind:     by_value
      - .offset:         104
        .size:           4
        .value_kind:     by_value
      - .offset:         108
        .size:           4
        .value_kind:     by_value
      - .offset:         112
        .size:           4
        .value_kind:     by_value
      - .offset:         116
        .size:           4
        .value_kind:     by_value
      - .offset:         120
        .size:           4
        .value_kind:     by_value
      - .offset:         124
        .size:           4
        .value_kind:     by_value
      - .offset:         128
        .size:           4
        .value_kind:     by_value
      - .offset:         132
        .size:           4
        .value_kind:     by_value
      - .offset:         136
        .size:           4
        .value_kind:     by_value
      - .address_space:  global
        .offset:         144
        .size:           8
        .value_kind:     global_buffer
      - .address_space:  global
        .offset:         152
        .size:           8
        .value_kind:     global_buffer
      - .address_space:  global
        .offset:         160
        .size:           8
        .value_kind:     global_buffer
      - .address_space:  global
        .offset:         168
        .size:           8
        .value_kind:     global_buffer
      - .address_space:  global
        .offset:         176
        .size:           8
        .value_kind:     global_buffer
      - .address_space:  global
        .offset:         184
        .size:           8
        .value_kind:     global_buffer
      - .offset:         192
        .size:           4
        .value_kind:     hidden_block_count_x
      - .offset:         196
        .size:           4
        .value_kind:     hidden_block_count_y
      - .offset:         200
        .size:           4
        .value_kind:     hidden_block_count_z
      - .offset:         204
        .size:           2
        .value_kind:     hidden_group_size_x
      - .offset:         206
        .size:           2
        .value_kind:     hidden_group_size_y
      - .offset:         208
        .size:           2
        .value_kind:     hidden_group_size_z
      - .offset:         210
        .size:           2
        .value_kind:     hidden_remainder_x
      - .offset:         212
        .size:           2
        .value_kind:     hidden_remainder_y
      - .offset:         214
        .size:           2
        .value_kind:     hidden_remainder_z
      - .offset:         232
        .size:           8
        .value_kind:     hidden_global_offset_x
      - .offset:         240
        .size:           8
        .value_kind:     hidden_global_offset_y
      - .offset:         248
        .size:           8
        .value_kind:     hidden_global_offset_z
      - .offset:         256
        .size:           2
        .value_kind:     hidden_grid_dims
    .group_segment_fixed_size: 0
    .kernarg_segment_align: 8
    .kernarg_segment_size: 448
    .language:       OpenCL C
    .language_version:
      - 2
      - 0
    .max_flat_workgroup_size: 1024
    .name:           _ZL11k_bin_bcastIXadL_ZL6op_addffEEfffJPKfS1_S1_S1_S1_S1_EEvPKT0_PKT1_PT2_iii15HIP_vector_typeIjLj3EESB_SB_SB_SB_iiiiiiiiiiiDpT3_
    .private_segment_fixed_size: 0
    .sgpr_count:     41
    .sgpr_spill_count: 0
    .symbol:         _ZL11k_bin_bcastIXadL_ZL6op_addffEEfffJPKfS1_S1_S1_S1_S1_EEvPKT0_PKT1_PT2_iii15HIP_vector_typeIjLj3EESB_SB_SB_SB_iiiiiiiiiiiDpT3_.kd
    .uniform_work_group_size: 1
    .uses_dynamic_stack: false
    .vgpr_count:     20
    .vgpr_spill_count: 0
    .wavefront_size: 32
  - .args:
      - .address_space:  global
        .offset:         0
        .size:           8
        .value_kind:     global_buffer
      - .address_space:  global
        .offset:         8
        .size:           8
        .value_kind:     global_buffer
      - .address_space:  global
        .offset:         16
        .size:           8
        .value_kind:     global_buffer
      - .offset:         24
        .size:           12
        .value_kind:     by_value
      - .offset:         36
        .size:           12
        .value_kind:     by_value
      - .offset:         48
        .size:           12
        .value_kind:     by_value
      - .offset:         60
        .size:           4
        .value_kind:     by_value
      - .offset:         64
        .size:           12
        .value_kind:     by_value
      - .offset:         76
        .size:           12
        .value_kind:     by_value
      - .offset:         88
        .size:           12
        .value_kind:     by_value
      - .offset:         100
        .size:           12
        .value_kind:     by_value
      - .offset:         112
        .size:           12
        .value_kind:     by_value
      - .offset:         124
        .size:           12
        .value_kind:     by_value
      - .offset:         136
        .size:           4
        .value_kind:     by_value
      - .offset:         140
        .size:           4
        .value_kind:     by_value
      - .offset:         144
        .size:           4
        .value_kind:     by_value
      - .offset:         148
        .size:           4
        .value_kind:     by_value
      - .offset:         152
        .size:           4
        .value_kind:     by_value
      - .offset:         156
        .size:           4
        .value_kind:     by_value
      - .offset:         160
        .size:           4
        .value_kind:     by_value
      - .offset:         164
        .size:           4
        .value_kind:     by_value
      - .offset:         168
        .size:           4
        .value_kind:     by_value
      - .offset:         172
        .size:           4
        .value_kind:     by_value
      - .offset:         176
        .size:           4
        .value_kind:     by_value
      - .address_space:  global
        .offset:         184
        .size:           8
        .value_kind:     global_buffer
      - .address_space:  global
        .offset:         192
        .size:           8
        .value_kind:     global_buffer
      - .address_space:  global
        .offset:         200
        .size:           8
        .value_kind:     global_buffer
      - .address_space:  global
        .offset:         208
        .size:           8
        .value_kind:     global_buffer
      - .address_space:  global
        .offset:         216
        .size:           8
        .value_kind:     global_buffer
      - .address_space:  global
        .offset:         224
        .size:           8
        .value_kind:     global_buffer
      - .offset:         232
        .size:           4
        .value_kind:     hidden_block_count_x
      - .offset:         236
        .size:           4
        .value_kind:     hidden_block_count_y
      - .offset:         240
        .size:           4
        .value_kind:     hidden_block_count_z
      - .offset:         244
        .size:           2
        .value_kind:     hidden_group_size_x
      - .offset:         246
        .size:           2
        .value_kind:     hidden_group_size_y
      - .offset:         248
        .size:           2
        .value_kind:     hidden_group_size_z
      - .offset:         250
        .size:           2
        .value_kind:     hidden_remainder_x
      - .offset:         252
        .size:           2
        .value_kind:     hidden_remainder_y
      - .offset:         254
        .size:           2
        .value_kind:     hidden_remainder_z
      - .offset:         272
        .size:           8
        .value_kind:     hidden_global_offset_x
      - .offset:         280
        .size:           8
        .value_kind:     hidden_global_offset_y
      - .offset:         288
        .size:           8
        .value_kind:     hidden_global_offset_z
      - .offset:         296
        .size:           2
        .value_kind:     hidden_grid_dims
    .group_segment_fixed_size: 0
    .kernarg_segment_align: 8
    .kernarg_segment_size: 488
    .language:       OpenCL C
    .language_version:
      - 2
      - 0
    .max_flat_workgroup_size: 1024
    .name:           _ZL19k_bin_bcast_unravelIXadL_ZL6op_addffEE6__halfS0_S0_JPKS0_S2_S2_S2_S2_S2_EEvPKT0_PKT1_PT2_15HIP_vector_typeIjLj3EESC_SC_jSC_SC_SC_SC_SC_SC_iiiiiiiiiiiDpT3_
    .private_segment_fixed_size: 0
    .sgpr_count:     29
    .sgpr_spill_count: 0
    .symbol:         _ZL19k_bin_bcast_unravelIXadL_ZL6op_addffEE6__halfS0_S0_JPKS0_S2_S2_S2_S2_S2_EEvPKT0_PKT1_PT2_15HIP_vector_typeIjLj3EESC_SC_jSC_SC_SC_SC_SC_SC_iiiiiiiiiiiDpT3_.kd
    .uniform_work_group_size: 1
    .uses_dynamic_stack: false
    .vgpr_count:     16
    .vgpr_spill_count: 0
    .wavefront_size: 32
  - .args:
      - .address_space:  global
        .offset:         0
        .size:           8
        .value_kind:     global_buffer
      - .address_space:  global
        .offset:         8
        .size:           8
        .value_kind:     global_buffer
      - .address_space:  global
        .offset:         16
        .size:           8
        .value_kind:     global_buffer
      - .offset:         24
        .size:           4
        .value_kind:     by_value
      - .offset:         28
        .size:           4
        .value_kind:     by_value
      - .offset:         32
        .size:           4
        .value_kind:     by_value
      - .offset:         36
        .size:           12
        .value_kind:     by_value
      - .offset:         48
        .size:           12
        .value_kind:     by_value
      - .offset:         60
        .size:           12
        .value_kind:     by_value
      - .offset:         72
        .size:           12
        .value_kind:     by_value
      - .offset:         84
        .size:           12
        .value_kind:     by_value
      - .offset:         96
        .size:           4
        .value_kind:     by_value
      - .offset:         100
        .size:           4
        .value_kind:     by_value
      - .offset:         104
        .size:           4
        .value_kind:     by_value
      - .offset:         108
        .size:           4
        .value_kind:     by_value
      - .offset:         112
        .size:           4
        .value_kind:     by_value
      - .offset:         116
        .size:           4
        .value_kind:     by_value
      - .offset:         120
        .size:           4
        .value_kind:     by_value
      - .offset:         124
        .size:           4
        .value_kind:     by_value
      - .offset:         128
        .size:           4
        .value_kind:     by_value
      - .offset:         132
        .size:           4
        .value_kind:     by_value
      - .offset:         136
        .size:           4
        .value_kind:     by_value
      - .address_space:  global
        .offset:         144
        .size:           8
        .value_kind:     global_buffer
      - .address_space:  global
        .offset:         152
        .size:           8
        .value_kind:     global_buffer
      - .address_space:  global
        .offset:         160
        .size:           8
        .value_kind:     global_buffer
      - .address_space:  global
        .offset:         168
        .size:           8
        .value_kind:     global_buffer
      - .address_space:  global
        .offset:         176
        .size:           8
        .value_kind:     global_buffer
      - .address_space:  global
        .offset:         184
        .size:           8
        .value_kind:     global_buffer
      - .offset:         192
        .size:           4
        .value_kind:     hidden_block_count_x
      - .offset:         196
        .size:           4
        .value_kind:     hidden_block_count_y
      - .offset:         200
        .size:           4
        .value_kind:     hidden_block_count_z
      - .offset:         204
        .size:           2
        .value_kind:     hidden_group_size_x
      - .offset:         206
        .size:           2
        .value_kind:     hidden_group_size_y
      - .offset:         208
        .size:           2
        .value_kind:     hidden_group_size_z
      - .offset:         210
        .size:           2
        .value_kind:     hidden_remainder_x
      - .offset:         212
        .size:           2
        .value_kind:     hidden_remainder_y
      - .offset:         214
        .size:           2
        .value_kind:     hidden_remainder_z
      - .offset:         232
        .size:           8
        .value_kind:     hidden_global_offset_x
      - .offset:         240
        .size:           8
        .value_kind:     hidden_global_offset_y
      - .offset:         248
        .size:           8
        .value_kind:     hidden_global_offset_z
      - .offset:         256
        .size:           2
        .value_kind:     hidden_grid_dims
    .group_segment_fixed_size: 0
    .kernarg_segment_align: 8
    .kernarg_segment_size: 448
    .language:       OpenCL C
    .language_version:
      - 2
      - 0
    .max_flat_workgroup_size: 1024
    .name:           _ZL11k_bin_bcastIXadL_ZL6op_addffEE6__halfS0_S0_JPKS0_S2_S2_S2_S2_S2_EEvPKT0_PKT1_PT2_iii15HIP_vector_typeIjLj3EESC_SC_SC_SC_iiiiiiiiiiiDpT3_
    .private_segment_fixed_size: 0
    .sgpr_count:     41
    .sgpr_spill_count: 0
    .symbol:         _ZL11k_bin_bcastIXadL_ZL6op_addffEE6__halfS0_S0_JPKS0_S2_S2_S2_S2_S2_EEvPKT0_PKT1_PT2_iii15HIP_vector_typeIjLj3EESC_SC_SC_SC_iiiiiiiiiiiDpT3_.kd
    .uniform_work_group_size: 1
    .uses_dynamic_stack: false
    .vgpr_count:     20
    .vgpr_spill_count: 0
    .wavefront_size: 32
  - .args:
      - .address_space:  global
        .offset:         0
        .size:           8
        .value_kind:     global_buffer
      - .address_space:  global
        .offset:         8
        .size:           8
        .value_kind:     global_buffer
      - .address_space:  global
        .offset:         16
        .size:           8
        .value_kind:     global_buffer
      - .offset:         24
        .size:           12
        .value_kind:     by_value
      - .offset:         36
        .size:           12
        .value_kind:     by_value
      - .offset:         48
        .size:           12
        .value_kind:     by_value
      - .offset:         60
        .size:           4
        .value_kind:     by_value
      - .offset:         64
        .size:           12
        .value_kind:     by_value
      - .offset:         76
        .size:           12
        .value_kind:     by_value
      - .offset:         88
        .size:           12
        .value_kind:     by_value
      - .offset:         100
        .size:           12
        .value_kind:     by_value
      - .offset:         112
        .size:           12
        .value_kind:     by_value
      - .offset:         124
        .size:           12
        .value_kind:     by_value
      - .offset:         136
        .size:           4
        .value_kind:     by_value
      - .offset:         140
        .size:           4
        .value_kind:     by_value
      - .offset:         144
        .size:           4
        .value_kind:     by_value
      - .offset:         148
        .size:           4
        .value_kind:     by_value
      - .offset:         152
        .size:           4
        .value_kind:     by_value
      - .offset:         156
        .size:           4
        .value_kind:     by_value
      - .offset:         160
        .size:           4
        .value_kind:     by_value
      - .offset:         164
        .size:           4
        .value_kind:     by_value
      - .offset:         168
        .size:           4
        .value_kind:     by_value
      - .offset:         172
        .size:           4
        .value_kind:     by_value
      - .offset:         176
        .size:           4
        .value_kind:     by_value
      - .address_space:  global
        .offset:         184
        .size:           8
        .value_kind:     global_buffer
      - .address_space:  global
        .offset:         192
        .size:           8
        .value_kind:     global_buffer
      - .address_space:  global
        .offset:         200
        .size:           8
        .value_kind:     global_buffer
      - .address_space:  global
        .offset:         208
        .size:           8
        .value_kind:     global_buffer
      - .address_space:  global
        .offset:         216
        .size:           8
        .value_kind:     global_buffer
      - .address_space:  global
        .offset:         224
        .size:           8
        .value_kind:     global_buffer
      - .offset:         232
        .size:           4
        .value_kind:     hidden_block_count_x
      - .offset:         236
        .size:           4
        .value_kind:     hidden_block_count_y
      - .offset:         240
        .size:           4
        .value_kind:     hidden_block_count_z
      - .offset:         244
        .size:           2
        .value_kind:     hidden_group_size_x
      - .offset:         246
        .size:           2
        .value_kind:     hidden_group_size_y
      - .offset:         248
        .size:           2
        .value_kind:     hidden_group_size_z
      - .offset:         250
        .size:           2
        .value_kind:     hidden_remainder_x
      - .offset:         252
        .size:           2
        .value_kind:     hidden_remainder_y
      - .offset:         254
        .size:           2
        .value_kind:     hidden_remainder_z
      - .offset:         272
        .size:           8
        .value_kind:     hidden_global_offset_x
      - .offset:         280
        .size:           8
        .value_kind:     hidden_global_offset_y
      - .offset:         288
        .size:           8
        .value_kind:     hidden_global_offset_z
      - .offset:         296
        .size:           2
        .value_kind:     hidden_grid_dims
    .group_segment_fixed_size: 0
    .kernarg_segment_align: 8
    .kernarg_segment_size: 488
    .language:       OpenCL C
    .language_version:
      - 2
      - 0
    .max_flat_workgroup_size: 1024
    .name:           _ZL19k_bin_bcast_unravelIXadL_ZL6op_addffEE6__halffS0_JPKfS2_S2_S2_S2_S2_EEvPKT0_PKT1_PT2_15HIP_vector_typeIjLj3EESC_SC_jSC_SC_SC_SC_SC_SC_iiiiiiiiiiiDpT3_
    .private_segment_fixed_size: 0
    .sgpr_count:     29
    .sgpr_spill_count: 0
    .symbol:         _ZL19k_bin_bcast_unravelIXadL_ZL6op_addffEE6__halffS0_JPKfS2_S2_S2_S2_S2_EEvPKT0_PKT1_PT2_15HIP_vector_typeIjLj3EESC_SC_jSC_SC_SC_SC_SC_SC_iiiiiiiiiiiDpT3_.kd
    .uniform_work_group_size: 1
    .uses_dynamic_stack: false
    .vgpr_count:     16
    .vgpr_spill_count: 0
    .wavefront_size: 32
  - .args:
      - .address_space:  global
        .offset:         0
        .size:           8
        .value_kind:     global_buffer
      - .address_space:  global
        .offset:         8
        .size:           8
        .value_kind:     global_buffer
      - .address_space:  global
        .offset:         16
        .size:           8
        .value_kind:     global_buffer
      - .offset:         24
        .size:           4
        .value_kind:     by_value
      - .offset:         28
        .size:           4
        .value_kind:     by_value
      - .offset:         32
        .size:           4
        .value_kind:     by_value
      - .offset:         36
        .size:           12
        .value_kind:     by_value
      - .offset:         48
        .size:           12
        .value_kind:     by_value
      - .offset:         60
        .size:           12
        .value_kind:     by_value
      - .offset:         72
        .size:           12
        .value_kind:     by_value
      - .offset:         84
        .size:           12
        .value_kind:     by_value
      - .offset:         96
        .size:           4
        .value_kind:     by_value
      - .offset:         100
        .size:           4
        .value_kind:     by_value
      - .offset:         104
        .size:           4
        .value_kind:     by_value
      - .offset:         108
        .size:           4
        .value_kind:     by_value
      - .offset:         112
        .size:           4
        .value_kind:     by_value
      - .offset:         116
        .size:           4
        .value_kind:     by_value
      - .offset:         120
        .size:           4
        .value_kind:     by_value
      - .offset:         124
        .size:           4
        .value_kind:     by_value
      - .offset:         128
        .size:           4
        .value_kind:     by_value
      - .offset:         132
        .size:           4
        .value_kind:     by_value
      - .offset:         136
        .size:           4
        .value_kind:     by_value
      - .address_space:  global
        .offset:         144
        .size:           8
        .value_kind:     global_buffer
      - .address_space:  global
        .offset:         152
        .size:           8
        .value_kind:     global_buffer
      - .address_space:  global
        .offset:         160
        .size:           8
        .value_kind:     global_buffer
      - .address_space:  global
        .offset:         168
        .size:           8
        .value_kind:     global_buffer
      - .address_space:  global
        .offset:         176
        .size:           8
        .value_kind:     global_buffer
      - .address_space:  global
        .offset:         184
        .size:           8
        .value_kind:     global_buffer
      - .offset:         192
        .size:           4
        .value_kind:     hidden_block_count_x
      - .offset:         196
        .size:           4
        .value_kind:     hidden_block_count_y
      - .offset:         200
        .size:           4
        .value_kind:     hidden_block_count_z
      - .offset:         204
        .size:           2
        .value_kind:     hidden_group_size_x
      - .offset:         206
        .size:           2
        .value_kind:     hidden_group_size_y
      - .offset:         208
        .size:           2
        .value_kind:     hidden_group_size_z
      - .offset:         210
        .size:           2
        .value_kind:     hidden_remainder_x
      - .offset:         212
        .size:           2
        .value_kind:     hidden_remainder_y
      - .offset:         214
        .size:           2
        .value_kind:     hidden_remainder_z
      - .offset:         232
        .size:           8
        .value_kind:     hidden_global_offset_x
      - .offset:         240
        .size:           8
        .value_kind:     hidden_global_offset_y
      - .offset:         248
        .size:           8
        .value_kind:     hidden_global_offset_z
      - .offset:         256
        .size:           2
        .value_kind:     hidden_grid_dims
    .group_segment_fixed_size: 0
    .kernarg_segment_align: 8
    .kernarg_segment_size: 448
    .language:       OpenCL C
    .language_version:
      - 2
      - 0
    .max_flat_workgroup_size: 1024
    .name:           _ZL11k_bin_bcastIXadL_ZL6op_addffEE6__halffS0_JPKfS2_S2_S2_S2_S2_EEvPKT0_PKT1_PT2_iii15HIP_vector_typeIjLj3EESC_SC_SC_SC_iiiiiiiiiiiDpT3_
    .private_segment_fixed_size: 0
    .sgpr_count:     41
    .sgpr_spill_count: 0
    .symbol:         _ZL11k_bin_bcastIXadL_ZL6op_addffEE6__halffS0_JPKfS2_S2_S2_S2_S2_EEvPKT0_PKT1_PT2_iii15HIP_vector_typeIjLj3EESC_SC_SC_SC_iiiiiiiiiiiDpT3_.kd
    .uniform_work_group_size: 1
    .uses_dynamic_stack: false
    .vgpr_count:     20
    .vgpr_spill_count: 0
    .wavefront_size: 32
  - .args:
      - .address_space:  global
        .offset:         0
        .size:           8
        .value_kind:     global_buffer
      - .address_space:  global
        .offset:         8
        .size:           8
        .value_kind:     global_buffer
      - .address_space:  global
        .offset:         16
        .size:           8
        .value_kind:     global_buffer
      - .offset:         24
        .size:           12
        .value_kind:     by_value
      - .offset:         36
        .size:           12
        .value_kind:     by_value
      - .offset:         48
        .size:           12
        .value_kind:     by_value
      - .offset:         60
        .size:           4
        .value_kind:     by_value
      - .offset:         64
        .size:           12
        .value_kind:     by_value
      - .offset:         76
        .size:           12
        .value_kind:     by_value
      - .offset:         88
        .size:           12
        .value_kind:     by_value
      - .offset:         100
        .size:           12
        .value_kind:     by_value
      - .offset:         112
        .size:           12
        .value_kind:     by_value
      - .offset:         124
        .size:           12
        .value_kind:     by_value
      - .offset:         136
        .size:           4
        .value_kind:     by_value
      - .offset:         140
        .size:           4
        .value_kind:     by_value
      - .offset:         144
        .size:           4
        .value_kind:     by_value
      - .offset:         148
        .size:           4
        .value_kind:     by_value
      - .offset:         152
        .size:           4
        .value_kind:     by_value
      - .offset:         156
        .size:           4
        .value_kind:     by_value
      - .offset:         160
        .size:           4
        .value_kind:     by_value
      - .offset:         164
        .size:           4
        .value_kind:     by_value
      - .offset:         168
        .size:           4
        .value_kind:     by_value
      - .offset:         172
        .size:           4
        .value_kind:     by_value
      - .offset:         176
        .size:           4
        .value_kind:     by_value
      - .address_space:  global
        .offset:         184
        .size:           8
        .value_kind:     global_buffer
      - .address_space:  global
        .offset:         192
        .size:           8
        .value_kind:     global_buffer
      - .address_space:  global
        .offset:         200
        .size:           8
        .value_kind:     global_buffer
      - .address_space:  global
        .offset:         208
        .size:           8
        .value_kind:     global_buffer
      - .address_space:  global
        .offset:         216
        .size:           8
        .value_kind:     global_buffer
      - .address_space:  global
        .offset:         224
        .size:           8
        .value_kind:     global_buffer
      - .offset:         232
        .size:           4
        .value_kind:     hidden_block_count_x
      - .offset:         236
        .size:           4
        .value_kind:     hidden_block_count_y
      - .offset:         240
        .size:           4
        .value_kind:     hidden_block_count_z
      - .offset:         244
        .size:           2
        .value_kind:     hidden_group_size_x
      - .offset:         246
        .size:           2
        .value_kind:     hidden_group_size_y
      - .offset:         248
        .size:           2
        .value_kind:     hidden_group_size_z
      - .offset:         250
        .size:           2
        .value_kind:     hidden_remainder_x
      - .offset:         252
        .size:           2
        .value_kind:     hidden_remainder_y
      - .offset:         254
        .size:           2
        .value_kind:     hidden_remainder_z
      - .offset:         272
        .size:           8
        .value_kind:     hidden_global_offset_x
      - .offset:         280
        .size:           8
        .value_kind:     hidden_global_offset_y
      - .offset:         288
        .size:           8
        .value_kind:     hidden_global_offset_z
      - .offset:         296
        .size:           2
        .value_kind:     hidden_grid_dims
    .group_segment_fixed_size: 0
    .kernarg_segment_align: 8
    .kernarg_segment_size: 488
    .language:       OpenCL C
    .language_version:
      - 2
      - 0
    .max_flat_workgroup_size: 1024
    .name:           _ZL19k_bin_bcast_unravelIXadL_ZL6op_addffEE6__halfffJPKfS2_S2_S2_S2_S2_EEvPKT0_PKT1_PT2_15HIP_vector_typeIjLj3EESC_SC_jSC_SC_SC_SC_SC_SC_iiiiiiiiiiiDpT3_
    .private_segment_fixed_size: 0
    .sgpr_count:     29
    .sgpr_spill_count: 0
    .symbol:         _ZL19k_bin_bcast_unravelIXadL_ZL6op_addffEE6__halfffJPKfS2_S2_S2_S2_S2_EEvPKT0_PKT1_PT2_15HIP_vector_typeIjLj3EESC_SC_jSC_SC_SC_SC_SC_SC_iiiiiiiiiiiDpT3_.kd
    .uniform_work_group_size: 1
    .uses_dynamic_stack: false
    .vgpr_count:     16
    .vgpr_spill_count: 0
    .wavefront_size: 32
  - .args:
      - .address_space:  global
        .offset:         0
        .size:           8
        .value_kind:     global_buffer
      - .address_space:  global
        .offset:         8
        .size:           8
        .value_kind:     global_buffer
      - .address_space:  global
        .offset:         16
        .size:           8
        .value_kind:     global_buffer
      - .offset:         24
        .size:           4
        .value_kind:     by_value
      - .offset:         28
        .size:           4
        .value_kind:     by_value
      - .offset:         32
        .size:           4
        .value_kind:     by_value
      - .offset:         36
        .size:           12
        .value_kind:     by_value
      - .offset:         48
        .size:           12
        .value_kind:     by_value
      - .offset:         60
        .size:           12
        .value_kind:     by_value
      - .offset:         72
        .size:           12
        .value_kind:     by_value
      - .offset:         84
        .size:           12
        .value_kind:     by_value
      - .offset:         96
        .size:           4
        .value_kind:     by_value
      - .offset:         100
        .size:           4
        .value_kind:     by_value
      - .offset:         104
        .size:           4
        .value_kind:     by_value
      - .offset:         108
        .size:           4
        .value_kind:     by_value
      - .offset:         112
        .size:           4
        .value_kind:     by_value
      - .offset:         116
        .size:           4
        .value_kind:     by_value
      - .offset:         120
        .size:           4
        .value_kind:     by_value
      - .offset:         124
        .size:           4
        .value_kind:     by_value
      - .offset:         128
        .size:           4
        .value_kind:     by_value
      - .offset:         132
        .size:           4
        .value_kind:     by_value
      - .offset:         136
        .size:           4
        .value_kind:     by_value
      - .address_space:  global
        .offset:         144
        .size:           8
        .value_kind:     global_buffer
      - .address_space:  global
        .offset:         152
        .size:           8
        .value_kind:     global_buffer
      - .address_space:  global
        .offset:         160
        .size:           8
        .value_kind:     global_buffer
      - .address_space:  global
        .offset:         168
        .size:           8
        .value_kind:     global_buffer
      - .address_space:  global
        .offset:         176
        .size:           8
        .value_kind:     global_buffer
      - .address_space:  global
        .offset:         184
        .size:           8
        .value_kind:     global_buffer
      - .offset:         192
        .size:           4
        .value_kind:     hidden_block_count_x
      - .offset:         196
        .size:           4
        .value_kind:     hidden_block_count_y
      - .offset:         200
        .size:           4
        .value_kind:     hidden_block_count_z
      - .offset:         204
        .size:           2
        .value_kind:     hidden_group_size_x
      - .offset:         206
        .size:           2
        .value_kind:     hidden_group_size_y
      - .offset:         208
        .size:           2
        .value_kind:     hidden_group_size_z
      - .offset:         210
        .size:           2
        .value_kind:     hidden_remainder_x
      - .offset:         212
        .size:           2
        .value_kind:     hidden_remainder_y
      - .offset:         214
        .size:           2
        .value_kind:     hidden_remainder_z
      - .offset:         232
        .size:           8
        .value_kind:     hidden_global_offset_x
      - .offset:         240
        .size:           8
        .value_kind:     hidden_global_offset_y
      - .offset:         248
        .size:           8
        .value_kind:     hidden_global_offset_z
      - .offset:         256
        .size:           2
        .value_kind:     hidden_grid_dims
    .group_segment_fixed_size: 0
    .kernarg_segment_align: 8
    .kernarg_segment_size: 448
    .language:       OpenCL C
    .language_version:
      - 2
      - 0
    .max_flat_workgroup_size: 1024
    .name:           _ZL11k_bin_bcastIXadL_ZL6op_addffEE6__halfffJPKfS2_S2_S2_S2_S2_EEvPKT0_PKT1_PT2_iii15HIP_vector_typeIjLj3EESC_SC_SC_SC_iiiiiiiiiiiDpT3_
    .private_segment_fixed_size: 0
    .sgpr_count:     41
    .sgpr_spill_count: 0
    .symbol:         _ZL11k_bin_bcastIXadL_ZL6op_addffEE6__halfffJPKfS2_S2_S2_S2_S2_EEvPKT0_PKT1_PT2_iii15HIP_vector_typeIjLj3EESC_SC_SC_SC_iiiiiiiiiiiDpT3_.kd
    .uniform_work_group_size: 1
    .uses_dynamic_stack: false
    .vgpr_count:     20
    .vgpr_spill_count: 0
    .wavefront_size: 32
  - .args:
      - .address_space:  global
        .offset:         0
        .size:           8
        .value_kind:     global_buffer
      - .address_space:  global
        .offset:         8
        .size:           8
        .value_kind:     global_buffer
      - .address_space:  global
        .offset:         16
        .size:           8
        .value_kind:     global_buffer
      - .offset:         24
        .size:           12
        .value_kind:     by_value
      - .offset:         36
        .size:           12
        .value_kind:     by_value
      - .offset:         48
        .size:           12
        .value_kind:     by_value
      - .offset:         60
        .size:           4
        .value_kind:     by_value
      - .offset:         64
        .size:           12
        .value_kind:     by_value
      - .offset:         76
        .size:           12
        .value_kind:     by_value
      - .offset:         88
        .size:           12
        .value_kind:     by_value
      - .offset:         100
        .size:           12
        .value_kind:     by_value
      - .offset:         112
        .size:           12
        .value_kind:     by_value
      - .offset:         124
        .size:           12
        .value_kind:     by_value
      - .offset:         136
        .size:           4
        .value_kind:     by_value
      - .offset:         140
        .size:           4
        .value_kind:     by_value
      - .offset:         144
        .size:           4
        .value_kind:     by_value
      - .offset:         148
        .size:           4
        .value_kind:     by_value
      - .offset:         152
        .size:           4
        .value_kind:     by_value
      - .offset:         156
        .size:           4
        .value_kind:     by_value
      - .offset:         160
        .size:           4
        .value_kind:     by_value
      - .offset:         164
        .size:           4
        .value_kind:     by_value
      - .offset:         168
        .size:           4
        .value_kind:     by_value
      - .offset:         172
        .size:           4
        .value_kind:     by_value
      - .offset:         176
        .size:           4
        .value_kind:     by_value
      - .address_space:  global
        .offset:         184
        .size:           8
        .value_kind:     global_buffer
      - .address_space:  global
        .offset:         192
        .size:           8
        .value_kind:     global_buffer
      - .address_space:  global
        .offset:         200
        .size:           8
        .value_kind:     global_buffer
      - .address_space:  global
        .offset:         208
        .size:           8
        .value_kind:     global_buffer
      - .address_space:  global
        .offset:         216
        .size:           8
        .value_kind:     global_buffer
      - .address_space:  global
        .offset:         224
        .size:           8
        .value_kind:     global_buffer
      - .address_space:  global
        .offset:         232
        .size:           8
        .value_kind:     global_buffer
      - .offset:         240
        .size:           4
        .value_kind:     hidden_block_count_x
      - .offset:         244
        .size:           4
        .value_kind:     hidden_block_count_y
      - .offset:         248
        .size:           4
        .value_kind:     hidden_block_count_z
      - .offset:         252
        .size:           2
        .value_kind:     hidden_group_size_x
      - .offset:         254
        .size:           2
        .value_kind:     hidden_group_size_y
      - .offset:         256
        .size:           2
        .value_kind:     hidden_group_size_z
      - .offset:         258
        .size:           2
        .value_kind:     hidden_remainder_x
      - .offset:         260
        .size:           2
        .value_kind:     hidden_remainder_y
      - .offset:         262
        .size:           2
        .value_kind:     hidden_remainder_z
      - .offset:         280
        .size:           8
        .value_kind:     hidden_global_offset_x
      - .offset:         288
        .size:           8
        .value_kind:     hidden_global_offset_y
      - .offset:         296
        .size:           8
        .value_kind:     hidden_global_offset_z
      - .offset:         304
        .size:           2
        .value_kind:     hidden_grid_dims
    .group_segment_fixed_size: 0
    .kernarg_segment_align: 8
    .kernarg_segment_size: 496
    .language:       OpenCL C
    .language_version:
      - 2
      - 0
    .max_flat_workgroup_size: 1024
    .name:           _ZL19k_bin_bcast_unravelIXadL_ZL6op_addffEEfffJPKfS1_S1_S1_S1_S1_S1_EEvPKT0_PKT1_PT2_15HIP_vector_typeIjLj3EESB_SB_jSB_SB_SB_SB_SB_SB_iiiiiiiiiiiDpT3_
    .private_segment_fixed_size: 0
    .sgpr_count:     29
    .sgpr_spill_count: 0
    .symbol:         _ZL19k_bin_bcast_unravelIXadL_ZL6op_addffEEfffJPKfS1_S1_S1_S1_S1_S1_EEvPKT0_PKT1_PT2_15HIP_vector_typeIjLj3EESB_SB_jSB_SB_SB_SB_SB_SB_iiiiiiiiiiiDpT3_.kd
    .uniform_work_group_size: 1
    .uses_dynamic_stack: false
    .vgpr_count:     17
    .vgpr_spill_count: 0
    .wavefront_size: 32
  - .args:
      - .address_space:  global
        .offset:         0
        .size:           8
        .value_kind:     global_buffer
      - .address_space:  global
        .offset:         8
        .size:           8
        .value_kind:     global_buffer
      - .address_space:  global
        .offset:         16
        .size:           8
        .value_kind:     global_buffer
      - .offset:         24
        .size:           4
        .value_kind:     by_value
      - .offset:         28
        .size:           4
        .value_kind:     by_value
      - .offset:         32
        .size:           4
        .value_kind:     by_value
      - .offset:         36
        .size:           12
        .value_kind:     by_value
      - .offset:         48
        .size:           12
        .value_kind:     by_value
      - .offset:         60
        .size:           12
        .value_kind:     by_value
      - .offset:         72
        .size:           12
        .value_kind:     by_value
      - .offset:         84
        .size:           12
        .value_kind:     by_value
      - .offset:         96
        .size:           4
        .value_kind:     by_value
      - .offset:         100
        .size:           4
        .value_kind:     by_value
      - .offset:         104
        .size:           4
        .value_kind:     by_value
      - .offset:         108
        .size:           4
        .value_kind:     by_value
      - .offset:         112
        .size:           4
        .value_kind:     by_value
      - .offset:         116
        .size:           4
        .value_kind:     by_value
      - .offset:         120
        .size:           4
        .value_kind:     by_value
      - .offset:         124
        .size:           4
        .value_kind:     by_value
      - .offset:         128
        .size:           4
        .value_kind:     by_value
      - .offset:         132
        .size:           4
        .value_kind:     by_value
      - .offset:         136
        .size:           4
        .value_kind:     by_value
      - .address_space:  global
        .offset:         144
        .size:           8
        .value_kind:     global_buffer
      - .address_space:  global
        .offset:         152
        .size:           8
        .value_kind:     global_buffer
      - .address_space:  global
        .offset:         160
        .size:           8
        .value_kind:     global_buffer
      - .address_space:  global
        .offset:         168
        .size:           8
        .value_kind:     global_buffer
      - .address_space:  global
        .offset:         176
        .size:           8
        .value_kind:     global_buffer
      - .address_space:  global
        .offset:         184
        .size:           8
        .value_kind:     global_buffer
      - .address_space:  global
        .offset:         192
        .size:           8
        .value_kind:     global_buffer
      - .offset:         200
        .size:           4
        .value_kind:     hidden_block_count_x
      - .offset:         204
        .size:           4
        .value_kind:     hidden_block_count_y
      - .offset:         208
        .size:           4
        .value_kind:     hidden_block_count_z
      - .offset:         212
        .size:           2
        .value_kind:     hidden_group_size_x
      - .offset:         214
        .size:           2
        .value_kind:     hidden_group_size_y
      - .offset:         216
        .size:           2
        .value_kind:     hidden_group_size_z
      - .offset:         218
        .size:           2
        .value_kind:     hidden_remainder_x
      - .offset:         220
        .size:           2
        .value_kind:     hidden_remainder_y
      - .offset:         222
        .size:           2
        .value_kind:     hidden_remainder_z
      - .offset:         240
        .size:           8
        .value_kind:     hidden_global_offset_x
      - .offset:         248
        .size:           8
        .value_kind:     hidden_global_offset_y
      - .offset:         256
        .size:           8
        .value_kind:     hidden_global_offset_z
      - .offset:         264
        .size:           2
        .value_kind:     hidden_grid_dims
    .group_segment_fixed_size: 0
    .kernarg_segment_align: 8
    .kernarg_segment_size: 456
    .language:       OpenCL C
    .language_version:
      - 2
      - 0
    .max_flat_workgroup_size: 1024
    .name:           _ZL11k_bin_bcastIXadL_ZL6op_addffEEfffJPKfS1_S1_S1_S1_S1_S1_EEvPKT0_PKT1_PT2_iii15HIP_vector_typeIjLj3EESB_SB_SB_SB_iiiiiiiiiiiDpT3_
    .private_segment_fixed_size: 0
    .sgpr_count:     46
    .sgpr_spill_count: 0
    .symbol:         _ZL11k_bin_bcastIXadL_ZL6op_addffEEfffJPKfS1_S1_S1_S1_S1_S1_EEvPKT0_PKT1_PT2_iii15HIP_vector_typeIjLj3EESB_SB_SB_SB_iiiiiiiiiiiDpT3_.kd
    .uniform_work_group_size: 1
    .uses_dynamic_stack: false
    .vgpr_count:     21
    .vgpr_spill_count: 0
    .wavefront_size: 32
  - .args:
      - .address_space:  global
        .offset:         0
        .size:           8
        .value_kind:     global_buffer
      - .address_space:  global
        .offset:         8
        .size:           8
        .value_kind:     global_buffer
      - .address_space:  global
        .offset:         16
        .size:           8
        .value_kind:     global_buffer
      - .offset:         24
        .size:           12
        .value_kind:     by_value
      - .offset:         36
        .size:           12
        .value_kind:     by_value
      - .offset:         48
        .size:           12
        .value_kind:     by_value
      - .offset:         60
        .size:           4
        .value_kind:     by_value
      - .offset:         64
        .size:           12
        .value_kind:     by_value
      - .offset:         76
        .size:           12
        .value_kind:     by_value
      - .offset:         88
        .size:           12
        .value_kind:     by_value
      - .offset:         100
        .size:           12
        .value_kind:     by_value
      - .offset:         112
        .size:           12
        .value_kind:     by_value
      - .offset:         124
        .size:           12
        .value_kind:     by_value
      - .offset:         136
        .size:           4
        .value_kind:     by_value
      - .offset:         140
        .size:           4
        .value_kind:     by_value
      - .offset:         144
        .size:           4
        .value_kind:     by_value
      - .offset:         148
        .size:           4
        .value_kind:     by_value
      - .offset:         152
        .size:           4
        .value_kind:     by_value
      - .offset:         156
        .size:           4
        .value_kind:     by_value
      - .offset:         160
        .size:           4
        .value_kind:     by_value
      - .offset:         164
        .size:           4
        .value_kind:     by_value
      - .offset:         168
        .size:           4
        .value_kind:     by_value
      - .offset:         172
        .size:           4
        .value_kind:     by_value
      - .offset:         176
        .size:           4
        .value_kind:     by_value
      - .address_space:  global
        .offset:         184
        .size:           8
        .value_kind:     global_buffer
      - .address_space:  global
        .offset:         192
        .size:           8
        .value_kind:     global_buffer
      - .address_space:  global
        .offset:         200
        .size:           8
        .value_kind:     global_buffer
      - .address_space:  global
        .offset:         208
        .size:           8
        .value_kind:     global_buffer
      - .address_space:  global
        .offset:         216
        .size:           8
        .value_kind:     global_buffer
      - .address_space:  global
        .offset:         224
        .size:           8
        .value_kind:     global_buffer
      - .address_space:  global
        .offset:         232
        .size:           8
        .value_kind:     global_buffer
      - .offset:         240
        .size:           4
        .value_kind:     hidden_block_count_x
      - .offset:         244
        .size:           4
        .value_kind:     hidden_block_count_y
      - .offset:         248
        .size:           4
        .value_kind:     hidden_block_count_z
      - .offset:         252
        .size:           2
        .value_kind:     hidden_group_size_x
      - .offset:         254
        .size:           2
        .value_kind:     hidden_group_size_y
      - .offset:         256
        .size:           2
        .value_kind:     hidden_group_size_z
      - .offset:         258
        .size:           2
        .value_kind:     hidden_remainder_x
      - .offset:         260
        .size:           2
        .value_kind:     hidden_remainder_y
      - .offset:         262
        .size:           2
        .value_kind:     hidden_remainder_z
      - .offset:         280
        .size:           8
        .value_kind:     hidden_global_offset_x
      - .offset:         288
        .size:           8
        .value_kind:     hidden_global_offset_y
      - .offset:         296
        .size:           8
        .value_kind:     hidden_global_offset_z
      - .offset:         304
        .size:           2
        .value_kind:     hidden_grid_dims
    .group_segment_fixed_size: 0
    .kernarg_segment_align: 8
    .kernarg_segment_size: 496
    .language:       OpenCL C
    .language_version:
      - 2
      - 0
    .max_flat_workgroup_size: 1024
    .name:           _ZL19k_bin_bcast_unravelIXadL_ZL6op_addffEE6__halfS0_S0_JPKS0_S2_S2_S2_S2_S2_S2_EEvPKT0_PKT1_PT2_15HIP_vector_typeIjLj3EESC_SC_jSC_SC_SC_SC_SC_SC_iiiiiiiiiiiDpT3_
    .private_segment_fixed_size: 0
    .sgpr_count:     29
    .sgpr_spill_count: 0
    .symbol:         _ZL19k_bin_bcast_unravelIXadL_ZL6op_addffEE6__halfS0_S0_JPKS0_S2_S2_S2_S2_S2_S2_EEvPKT0_PKT1_PT2_15HIP_vector_typeIjLj3EESC_SC_jSC_SC_SC_SC_SC_SC_iiiiiiiiiiiDpT3_.kd
    .uniform_work_group_size: 1
    .uses_dynamic_stack: false
    .vgpr_count:     17
    .vgpr_spill_count: 0
    .wavefront_size: 32
  - .args:
      - .address_space:  global
        .offset:         0
        .size:           8
        .value_kind:     global_buffer
      - .address_space:  global
        .offset:         8
        .size:           8
        .value_kind:     global_buffer
      - .address_space:  global
        .offset:         16
        .size:           8
        .value_kind:     global_buffer
      - .offset:         24
        .size:           4
        .value_kind:     by_value
      - .offset:         28
        .size:           4
        .value_kind:     by_value
      - .offset:         32
        .size:           4
        .value_kind:     by_value
      - .offset:         36
        .size:           12
        .value_kind:     by_value
      - .offset:         48
        .size:           12
        .value_kind:     by_value
      - .offset:         60
        .size:           12
        .value_kind:     by_value
      - .offset:         72
        .size:           12
        .value_kind:     by_value
      - .offset:         84
        .size:           12
        .value_kind:     by_value
      - .offset:         96
        .size:           4
        .value_kind:     by_value
      - .offset:         100
        .size:           4
        .value_kind:     by_value
      - .offset:         104
        .size:           4
        .value_kind:     by_value
      - .offset:         108
        .size:           4
        .value_kind:     by_value
      - .offset:         112
        .size:           4
        .value_kind:     by_value
      - .offset:         116
        .size:           4
        .value_kind:     by_value
      - .offset:         120
        .size:           4
        .value_kind:     by_value
      - .offset:         124
        .size:           4
        .value_kind:     by_value
      - .offset:         128
        .size:           4
        .value_kind:     by_value
      - .offset:         132
        .size:           4
        .value_kind:     by_value
      - .offset:         136
        .size:           4
        .value_kind:     by_value
      - .address_space:  global
        .offset:         144
        .size:           8
        .value_kind:     global_buffer
      - .address_space:  global
        .offset:         152
        .size:           8
        .value_kind:     global_buffer
      - .address_space:  global
        .offset:         160
        .size:           8
        .value_kind:     global_buffer
      - .address_space:  global
        .offset:         168
        .size:           8
        .value_kind:     global_buffer
      - .address_space:  global
        .offset:         176
        .size:           8
        .value_kind:     global_buffer
      - .address_space:  global
        .offset:         184
        .size:           8
        .value_kind:     global_buffer
      - .address_space:  global
        .offset:         192
        .size:           8
        .value_kind:     global_buffer
      - .offset:         200
        .size:           4
        .value_kind:     hidden_block_count_x
      - .offset:         204
        .size:           4
        .value_kind:     hidden_block_count_y
      - .offset:         208
        .size:           4
        .value_kind:     hidden_block_count_z
      - .offset:         212
        .size:           2
        .value_kind:     hidden_group_size_x
      - .offset:         214
        .size:           2
        .value_kind:     hidden_group_size_y
      - .offset:         216
        .size:           2
        .value_kind:     hidden_group_size_z
      - .offset:         218
        .size:           2
        .value_kind:     hidden_remainder_x
      - .offset:         220
        .size:           2
        .value_kind:     hidden_remainder_y
      - .offset:         222
        .size:           2
        .value_kind:     hidden_remainder_z
      - .offset:         240
        .size:           8
        .value_kind:     hidden_global_offset_x
      - .offset:         248
        .size:           8
        .value_kind:     hidden_global_offset_y
      - .offset:         256
        .size:           8
        .value_kind:     hidden_global_offset_z
      - .offset:         264
        .size:           2
        .value_kind:     hidden_grid_dims
    .group_segment_fixed_size: 0
    .kernarg_segment_align: 8
    .kernarg_segment_size: 456
    .language:       OpenCL C
    .language_version:
      - 2
      - 0
    .max_flat_workgroup_size: 1024
    .name:           _ZL11k_bin_bcastIXadL_ZL6op_addffEE6__halfS0_S0_JPKS0_S2_S2_S2_S2_S2_S2_EEvPKT0_PKT1_PT2_iii15HIP_vector_typeIjLj3EESC_SC_SC_SC_iiiiiiiiiiiDpT3_
    .private_segment_fixed_size: 0
    .sgpr_count:     46
    .sgpr_spill_count: 0
    .symbol:         _ZL11k_bin_bcastIXadL_ZL6op_addffEE6__halfS0_S0_JPKS0_S2_S2_S2_S2_S2_S2_EEvPKT0_PKT1_PT2_iii15HIP_vector_typeIjLj3EESC_SC_SC_SC_iiiiiiiiiiiDpT3_.kd
    .uniform_work_group_size: 1
    .uses_dynamic_stack: false
    .vgpr_count:     21
    .vgpr_spill_count: 0
    .wavefront_size: 32
  - .args:
      - .address_space:  global
        .offset:         0
        .size:           8
        .value_kind:     global_buffer
      - .address_space:  global
        .offset:         8
        .size:           8
        .value_kind:     global_buffer
      - .address_space:  global
        .offset:         16
        .size:           8
        .value_kind:     global_buffer
      - .offset:         24
        .size:           12
        .value_kind:     by_value
      - .offset:         36
        .size:           12
        .value_kind:     by_value
      - .offset:         48
        .size:           12
        .value_kind:     by_value
      - .offset:         60
        .size:           4
        .value_kind:     by_value
      - .offset:         64
        .size:           12
        .value_kind:     by_value
      - .offset:         76
        .size:           12
        .value_kind:     by_value
      - .offset:         88
        .size:           12
        .value_kind:     by_value
      - .offset:         100
        .size:           12
        .value_kind:     by_value
      - .offset:         112
        .size:           12
        .value_kind:     by_value
      - .offset:         124
        .size:           12
        .value_kind:     by_value
      - .offset:         136
        .size:           4
        .value_kind:     by_value
      - .offset:         140
        .size:           4
        .value_kind:     by_value
      - .offset:         144
        .size:           4
        .value_kind:     by_value
      - .offset:         148
        .size:           4
        .value_kind:     by_value
      - .offset:         152
        .size:           4
        .value_kind:     by_value
      - .offset:         156
        .size:           4
        .value_kind:     by_value
      - .offset:         160
        .size:           4
        .value_kind:     by_value
      - .offset:         164
        .size:           4
        .value_kind:     by_value
      - .offset:         168
        .size:           4
        .value_kind:     by_value
      - .offset:         172
        .size:           4
        .value_kind:     by_value
      - .offset:         176
        .size:           4
        .value_kind:     by_value
      - .address_space:  global
        .offset:         184
        .size:           8
        .value_kind:     global_buffer
      - .address_space:  global
        .offset:         192
        .size:           8
        .value_kind:     global_buffer
      - .address_space:  global
        .offset:         200
        .size:           8
        .value_kind:     global_buffer
      - .address_space:  global
        .offset:         208
        .size:           8
        .value_kind:     global_buffer
      - .address_space:  global
        .offset:         216
        .size:           8
        .value_kind:     global_buffer
      - .address_space:  global
        .offset:         224
        .size:           8
        .value_kind:     global_buffer
      - .address_space:  global
        .offset:         232
        .size:           8
        .value_kind:     global_buffer
      - .offset:         240
        .size:           4
        .value_kind:     hidden_block_count_x
      - .offset:         244
        .size:           4
        .value_kind:     hidden_block_count_y
      - .offset:         248
        .size:           4
        .value_kind:     hidden_block_count_z
      - .offset:         252
        .size:           2
        .value_kind:     hidden_group_size_x
      - .offset:         254
        .size:           2
        .value_kind:     hidden_group_size_y
      - .offset:         256
        .size:           2
        .value_kind:     hidden_group_size_z
      - .offset:         258
        .size:           2
        .value_kind:     hidden_remainder_x
      - .offset:         260
        .size:           2
        .value_kind:     hidden_remainder_y
      - .offset:         262
        .size:           2
        .value_kind:     hidden_remainder_z
      - .offset:         280
        .size:           8
        .value_kind:     hidden_global_offset_x
      - .offset:         288
        .size:           8
        .value_kind:     hidden_global_offset_y
      - .offset:         296
        .size:           8
        .value_kind:     hidden_global_offset_z
      - .offset:         304
        .size:           2
        .value_kind:     hidden_grid_dims
    .group_segment_fixed_size: 0
    .kernarg_segment_align: 8
    .kernarg_segment_size: 496
    .language:       OpenCL C
    .language_version:
      - 2
      - 0
    .max_flat_workgroup_size: 1024
    .name:           _ZL19k_bin_bcast_unravelIXadL_ZL6op_addffEE6__halffS0_JPKfS2_S2_S2_S2_S2_S2_EEvPKT0_PKT1_PT2_15HIP_vector_typeIjLj3EESC_SC_jSC_SC_SC_SC_SC_SC_iiiiiiiiiiiDpT3_
    .private_segment_fixed_size: 0
    .sgpr_count:     29
    .sgpr_spill_count: 0
    .symbol:         _ZL19k_bin_bcast_unravelIXadL_ZL6op_addffEE6__halffS0_JPKfS2_S2_S2_S2_S2_S2_EEvPKT0_PKT1_PT2_15HIP_vector_typeIjLj3EESC_SC_jSC_SC_SC_SC_SC_SC_iiiiiiiiiiiDpT3_.kd
    .uniform_work_group_size: 1
    .uses_dynamic_stack: false
    .vgpr_count:     17
    .vgpr_spill_count: 0
    .wavefront_size: 32
  - .args:
      - .address_space:  global
        .offset:         0
        .size:           8
        .value_kind:     global_buffer
      - .address_space:  global
        .offset:         8
        .size:           8
        .value_kind:     global_buffer
      - .address_space:  global
        .offset:         16
        .size:           8
        .value_kind:     global_buffer
      - .offset:         24
        .size:           4
        .value_kind:     by_value
      - .offset:         28
        .size:           4
        .value_kind:     by_value
      - .offset:         32
        .size:           4
        .value_kind:     by_value
      - .offset:         36
        .size:           12
        .value_kind:     by_value
      - .offset:         48
        .size:           12
        .value_kind:     by_value
      - .offset:         60
        .size:           12
        .value_kind:     by_value
      - .offset:         72
        .size:           12
        .value_kind:     by_value
      - .offset:         84
        .size:           12
        .value_kind:     by_value
      - .offset:         96
        .size:           4
        .value_kind:     by_value
      - .offset:         100
        .size:           4
        .value_kind:     by_value
      - .offset:         104
        .size:           4
        .value_kind:     by_value
      - .offset:         108
        .size:           4
        .value_kind:     by_value
      - .offset:         112
        .size:           4
        .value_kind:     by_value
      - .offset:         116
        .size:           4
        .value_kind:     by_value
      - .offset:         120
        .size:           4
        .value_kind:     by_value
      - .offset:         124
        .size:           4
        .value_kind:     by_value
      - .offset:         128
        .size:           4
        .value_kind:     by_value
      - .offset:         132
        .size:           4
        .value_kind:     by_value
      - .offset:         136
        .size:           4
        .value_kind:     by_value
      - .address_space:  global
        .offset:         144
        .size:           8
        .value_kind:     global_buffer
      - .address_space:  global
        .offset:         152
        .size:           8
        .value_kind:     global_buffer
      - .address_space:  global
        .offset:         160
        .size:           8
        .value_kind:     global_buffer
      - .address_space:  global
        .offset:         168
        .size:           8
        .value_kind:     global_buffer
      - .address_space:  global
        .offset:         176
        .size:           8
        .value_kind:     global_buffer
      - .address_space:  global
        .offset:         184
        .size:           8
        .value_kind:     global_buffer
      - .address_space:  global
        .offset:         192
        .size:           8
        .value_kind:     global_buffer
      - .offset:         200
        .size:           4
        .value_kind:     hidden_block_count_x
      - .offset:         204
        .size:           4
        .value_kind:     hidden_block_count_y
      - .offset:         208
        .size:           4
        .value_kind:     hidden_block_count_z
      - .offset:         212
        .size:           2
        .value_kind:     hidden_group_size_x
      - .offset:         214
        .size:           2
        .value_kind:     hidden_group_size_y
      - .offset:         216
        .size:           2
        .value_kind:     hidden_group_size_z
      - .offset:         218
        .size:           2
        .value_kind:     hidden_remainder_x
      - .offset:         220
        .size:           2
        .value_kind:     hidden_remainder_y
      - .offset:         222
        .size:           2
        .value_kind:     hidden_remainder_z
      - .offset:         240
        .size:           8
        .value_kind:     hidden_global_offset_x
      - .offset:         248
        .size:           8
        .value_kind:     hidden_global_offset_y
      - .offset:         256
        .size:           8
        .value_kind:     hidden_global_offset_z
      - .offset:         264
        .size:           2
        .value_kind:     hidden_grid_dims
    .group_segment_fixed_size: 0
    .kernarg_segment_align: 8
    .kernarg_segment_size: 456
    .language:       OpenCL C
    .language_version:
      - 2
      - 0
    .max_flat_workgroup_size: 1024
    .name:           _ZL11k_bin_bcastIXadL_ZL6op_addffEE6__halffS0_JPKfS2_S2_S2_S2_S2_S2_EEvPKT0_PKT1_PT2_iii15HIP_vector_typeIjLj3EESC_SC_SC_SC_iiiiiiiiiiiDpT3_
    .private_segment_fixed_size: 0
    .sgpr_count:     46
    .sgpr_spill_count: 0
    .symbol:         _ZL11k_bin_bcastIXadL_ZL6op_addffEE6__halffS0_JPKfS2_S2_S2_S2_S2_S2_EEvPKT0_PKT1_PT2_iii15HIP_vector_typeIjLj3EESC_SC_SC_SC_iiiiiiiiiiiDpT3_.kd
    .uniform_work_group_size: 1
    .uses_dynamic_stack: false
    .vgpr_count:     21
    .vgpr_spill_count: 0
    .wavefront_size: 32
  - .args:
      - .address_space:  global
        .offset:         0
        .size:           8
        .value_kind:     global_buffer
      - .address_space:  global
        .offset:         8
        .size:           8
        .value_kind:     global_buffer
      - .address_space:  global
        .offset:         16
        .size:           8
        .value_kind:     global_buffer
      - .offset:         24
        .size:           12
        .value_kind:     by_value
      - .offset:         36
        .size:           12
        .value_kind:     by_value
      - .offset:         48
        .size:           12
        .value_kind:     by_value
      - .offset:         60
        .size:           4
        .value_kind:     by_value
      - .offset:         64
        .size:           12
        .value_kind:     by_value
      - .offset:         76
        .size:           12
        .value_kind:     by_value
      - .offset:         88
        .size:           12
        .value_kind:     by_value
      - .offset:         100
        .size:           12
        .value_kind:     by_value
      - .offset:         112
        .size:           12
        .value_kind:     by_value
      - .offset:         124
        .size:           12
        .value_kind:     by_value
      - .offset:         136
        .size:           4
        .value_kind:     by_value
      - .offset:         140
        .size:           4
        .value_kind:     by_value
      - .offset:         144
        .size:           4
        .value_kind:     by_value
      - .offset:         148
        .size:           4
        .value_kind:     by_value
      - .offset:         152
        .size:           4
        .value_kind:     by_value
      - .offset:         156
        .size:           4
        .value_kind:     by_value
      - .offset:         160
        .size:           4
        .value_kind:     by_value
      - .offset:         164
        .size:           4
        .value_kind:     by_value
      - .offset:         168
        .size:           4
        .value_kind:     by_value
      - .offset:         172
        .size:           4
        .value_kind:     by_value
      - .offset:         176
        .size:           4
        .value_kind:     by_value
      - .address_space:  global
        .offset:         184
        .size:           8
        .value_kind:     global_buffer
      - .address_space:  global
        .offset:         192
        .size:           8
        .value_kind:     global_buffer
      - .address_space:  global
        .offset:         200
        .size:           8
        .value_kind:     global_buffer
      - .address_space:  global
        .offset:         208
        .size:           8
        .value_kind:     global_buffer
      - .address_space:  global
        .offset:         216
        .size:           8
        .value_kind:     global_buffer
      - .address_space:  global
        .offset:         224
        .size:           8
        .value_kind:     global_buffer
      - .address_space:  global
        .offset:         232
        .size:           8
        .value_kind:     global_buffer
      - .offset:         240
        .size:           4
        .value_kind:     hidden_block_count_x
      - .offset:         244
        .size:           4
        .value_kind:     hidden_block_count_y
      - .offset:         248
        .size:           4
        .value_kind:     hidden_block_count_z
      - .offset:         252
        .size:           2
        .value_kind:     hidden_group_size_x
      - .offset:         254
        .size:           2
        .value_kind:     hidden_group_size_y
      - .offset:         256
        .size:           2
        .value_kind:     hidden_group_size_z
      - .offset:         258
        .size:           2
        .value_kind:     hidden_remainder_x
      - .offset:         260
        .size:           2
        .value_kind:     hidden_remainder_y
      - .offset:         262
        .size:           2
        .value_kind:     hidden_remainder_z
      - .offset:         280
        .size:           8
        .value_kind:     hidden_global_offset_x
      - .offset:         288
        .size:           8
        .value_kind:     hidden_global_offset_y
      - .offset:         296
        .size:           8
        .value_kind:     hidden_global_offset_z
      - .offset:         304
        .size:           2
        .value_kind:     hidden_grid_dims
    .group_segment_fixed_size: 0
    .kernarg_segment_align: 8
    .kernarg_segment_size: 496
    .language:       OpenCL C
    .language_version:
      - 2
      - 0
    .max_flat_workgroup_size: 1024
    .name:           _ZL19k_bin_bcast_unravelIXadL_ZL6op_addffEE6__halfffJPKfS2_S2_S2_S2_S2_S2_EEvPKT0_PKT1_PT2_15HIP_vector_typeIjLj3EESC_SC_jSC_SC_SC_SC_SC_SC_iiiiiiiiiiiDpT3_
    .private_segment_fixed_size: 0
    .sgpr_count:     29
    .sgpr_spill_count: 0
    .symbol:         _ZL19k_bin_bcast_unravelIXadL_ZL6op_addffEE6__halfffJPKfS2_S2_S2_S2_S2_S2_EEvPKT0_PKT1_PT2_15HIP_vector_typeIjLj3EESC_SC_jSC_SC_SC_SC_SC_SC_iiiiiiiiiiiDpT3_.kd
    .uniform_work_group_size: 1
    .uses_dynamic_stack: false
    .vgpr_count:     17
    .vgpr_spill_count: 0
    .wavefront_size: 32
  - .args:
      - .address_space:  global
        .offset:         0
        .size:           8
        .value_kind:     global_buffer
      - .address_space:  global
        .offset:         8
        .size:           8
        .value_kind:     global_buffer
      - .address_space:  global
        .offset:         16
        .size:           8
        .value_kind:     global_buffer
      - .offset:         24
        .size:           4
        .value_kind:     by_value
      - .offset:         28
        .size:           4
        .value_kind:     by_value
      - .offset:         32
        .size:           4
        .value_kind:     by_value
      - .offset:         36
        .size:           12
        .value_kind:     by_value
      - .offset:         48
        .size:           12
        .value_kind:     by_value
      - .offset:         60
        .size:           12
        .value_kind:     by_value
      - .offset:         72
        .size:           12
        .value_kind:     by_value
      - .offset:         84
        .size:           12
        .value_kind:     by_value
      - .offset:         96
        .size:           4
        .value_kind:     by_value
      - .offset:         100
        .size:           4
        .value_kind:     by_value
      - .offset:         104
        .size:           4
        .value_kind:     by_value
      - .offset:         108
        .size:           4
        .value_kind:     by_value
      - .offset:         112
        .size:           4
        .value_kind:     by_value
      - .offset:         116
        .size:           4
        .value_kind:     by_value
      - .offset:         120
        .size:           4
        .value_kind:     by_value
      - .offset:         124
        .size:           4
        .value_kind:     by_value
      - .offset:         128
        .size:           4
        .value_kind:     by_value
      - .offset:         132
        .size:           4
        .value_kind:     by_value
      - .offset:         136
        .size:           4
        .value_kind:     by_value
      - .address_space:  global
        .offset:         144
        .size:           8
        .value_kind:     global_buffer
      - .address_space:  global
        .offset:         152
        .size:           8
        .value_kind:     global_buffer
      - .address_space:  global
        .offset:         160
        .size:           8
        .value_kind:     global_buffer
      - .address_space:  global
        .offset:         168
        .size:           8
        .value_kind:     global_buffer
      - .address_space:  global
        .offset:         176
        .size:           8
        .value_kind:     global_buffer
      - .address_space:  global
        .offset:         184
        .size:           8
        .value_kind:     global_buffer
      - .address_space:  global
        .offset:         192
        .size:           8
        .value_kind:     global_buffer
      - .offset:         200
        .size:           4
        .value_kind:     hidden_block_count_x
      - .offset:         204
        .size:           4
        .value_kind:     hidden_block_count_y
      - .offset:         208
        .size:           4
        .value_kind:     hidden_block_count_z
      - .offset:         212
        .size:           2
        .value_kind:     hidden_group_size_x
      - .offset:         214
        .size:           2
        .value_kind:     hidden_group_size_y
      - .offset:         216
        .size:           2
        .value_kind:     hidden_group_size_z
      - .offset:         218
        .size:           2
        .value_kind:     hidden_remainder_x
      - .offset:         220
        .size:           2
        .value_kind:     hidden_remainder_y
      - .offset:         222
        .size:           2
        .value_kind:     hidden_remainder_z
      - .offset:         240
        .size:           8
        .value_kind:     hidden_global_offset_x
      - .offset:         248
        .size:           8
        .value_kind:     hidden_global_offset_y
      - .offset:         256
        .size:           8
        .value_kind:     hidden_global_offset_z
      - .offset:         264
        .size:           2
        .value_kind:     hidden_grid_dims
    .group_segment_fixed_size: 0
    .kernarg_segment_align: 8
    .kernarg_segment_size: 456
    .language:       OpenCL C
    .language_version:
      - 2
      - 0
    .max_flat_workgroup_size: 1024
    .name:           _ZL11k_bin_bcastIXadL_ZL6op_addffEE6__halfffJPKfS2_S2_S2_S2_S2_S2_EEvPKT0_PKT1_PT2_iii15HIP_vector_typeIjLj3EESC_SC_SC_SC_iiiiiiiiiiiDpT3_
    .private_segment_fixed_size: 0
    .sgpr_count:     46
    .sgpr_spill_count: 0
    .symbol:         _ZL11k_bin_bcastIXadL_ZL6op_addffEE6__halfffJPKfS2_S2_S2_S2_S2_S2_EEvPKT0_PKT1_PT2_iii15HIP_vector_typeIjLj3EESC_SC_SC_SC_iiiiiiiiiiiDpT3_.kd
    .uniform_work_group_size: 1
    .uses_dynamic_stack: false
    .vgpr_count:     21
    .vgpr_spill_count: 0
    .wavefront_size: 32
  - .args:
      - .address_space:  global
        .offset:         0
        .size:           8
        .value_kind:     global_buffer
      - .address_space:  global
        .offset:         8
        .size:           8
        .value_kind:     global_buffer
      - .address_space:  global
        .offset:         16
        .size:           8
        .value_kind:     global_buffer
      - .offset:         24
        .size:           12
        .value_kind:     by_value
      - .offset:         36
        .size:           12
        .value_kind:     by_value
      - .offset:         48
        .size:           12
        .value_kind:     by_value
      - .offset:         60
        .size:           4
        .value_kind:     by_value
      - .offset:         64
        .size:           12
        .value_kind:     by_value
      - .offset:         76
        .size:           12
        .value_kind:     by_value
      - .offset:         88
        .size:           12
        .value_kind:     by_value
      - .offset:         100
        .size:           12
        .value_kind:     by_value
      - .offset:         112
        .size:           12
        .value_kind:     by_value
      - .offset:         124
        .size:           12
        .value_kind:     by_value
      - .offset:         136
        .size:           4
        .value_kind:     by_value
      - .offset:         140
        .size:           4
        .value_kind:     by_value
      - .offset:         144
        .size:           4
        .value_kind:     by_value
      - .offset:         148
        .size:           4
        .value_kind:     by_value
      - .offset:         152
        .size:           4
        .value_kind:     by_value
      - .offset:         156
        .size:           4
        .value_kind:     by_value
      - .offset:         160
        .size:           4
        .value_kind:     by_value
      - .offset:         164
        .size:           4
        .value_kind:     by_value
      - .offset:         168
        .size:           4
        .value_kind:     by_value
      - .offset:         172
        .size:           4
        .value_kind:     by_value
      - .offset:         176
        .size:           4
        .value_kind:     by_value
      - .address_space:  global
        .offset:         184
        .size:           8
        .value_kind:     global_buffer
      - .address_space:  global
        .offset:         192
        .size:           8
        .value_kind:     global_buffer
      - .address_space:  global
        .offset:         200
        .size:           8
        .value_kind:     global_buffer
      - .address_space:  global
        .offset:         208
        .size:           8
        .value_kind:     global_buffer
      - .address_space:  global
        .offset:         216
        .size:           8
        .value_kind:     global_buffer
      - .address_space:  global
        .offset:         224
        .size:           8
        .value_kind:     global_buffer
      - .address_space:  global
        .offset:         232
        .size:           8
        .value_kind:     global_buffer
      - .address_space:  global
        .offset:         240
        .size:           8
        .value_kind:     global_buffer
      - .offset:         248
        .size:           4
        .value_kind:     hidden_block_count_x
      - .offset:         252
        .size:           4
        .value_kind:     hidden_block_count_y
      - .offset:         256
        .size:           4
        .value_kind:     hidden_block_count_z
      - .offset:         260
        .size:           2
        .value_kind:     hidden_group_size_x
      - .offset:         262
        .size:           2
        .value_kind:     hidden_group_size_y
      - .offset:         264
        .size:           2
        .value_kind:     hidden_group_size_z
      - .offset:         266
        .size:           2
        .value_kind:     hidden_remainder_x
      - .offset:         268
        .size:           2
        .value_kind:     hidden_remainder_y
      - .offset:         270
        .size:           2
        .value_kind:     hidden_remainder_z
      - .offset:         288
        .size:           8
        .value_kind:     hidden_global_offset_x
      - .offset:         296
        .size:           8
        .value_kind:     hidden_global_offset_y
      - .offset:         304
        .size:           8
        .value_kind:     hidden_global_offset_z
      - .offset:         312
        .size:           2
        .value_kind:     hidden_grid_dims
    .group_segment_fixed_size: 0
    .kernarg_segment_align: 8
    .kernarg_segment_size: 504
    .language:       OpenCL C
    .language_version:
      - 2
      - 0
    .max_flat_workgroup_size: 1024
    .name:           _ZL19k_bin_bcast_unravelIXadL_ZL6op_addffEEfffJPKfS1_S1_S1_S1_S1_S1_S1_EEvPKT0_PKT1_PT2_15HIP_vector_typeIjLj3EESB_SB_jSB_SB_SB_SB_SB_SB_iiiiiiiiiiiDpT3_
    .private_segment_fixed_size: 0
    .sgpr_count:     30
    .sgpr_spill_count: 0
    .symbol:         _ZL19k_bin_bcast_unravelIXadL_ZL6op_addffEEfffJPKfS1_S1_S1_S1_S1_S1_S1_EEvPKT0_PKT1_PT2_15HIP_vector_typeIjLj3EESB_SB_jSB_SB_SB_SB_SB_SB_iiiiiiiiiiiDpT3_.kd
    .uniform_work_group_size: 1
    .uses_dynamic_stack: false
    .vgpr_count:     18
    .vgpr_spill_count: 0
    .wavefront_size: 32
  - .args:
      - .address_space:  global
        .offset:         0
        .size:           8
        .value_kind:     global_buffer
      - .address_space:  global
        .offset:         8
        .size:           8
        .value_kind:     global_buffer
      - .address_space:  global
        .offset:         16
        .size:           8
        .value_kind:     global_buffer
      - .offset:         24
        .size:           4
        .value_kind:     by_value
      - .offset:         28
        .size:           4
        .value_kind:     by_value
      - .offset:         32
        .size:           4
        .value_kind:     by_value
      - .offset:         36
        .size:           12
        .value_kind:     by_value
      - .offset:         48
        .size:           12
        .value_kind:     by_value
      - .offset:         60
        .size:           12
        .value_kind:     by_value
      - .offset:         72
        .size:           12
        .value_kind:     by_value
      - .offset:         84
        .size:           12
        .value_kind:     by_value
      - .offset:         96
        .size:           4
        .value_kind:     by_value
      - .offset:         100
        .size:           4
        .value_kind:     by_value
      - .offset:         104
        .size:           4
        .value_kind:     by_value
      - .offset:         108
        .size:           4
        .value_kind:     by_value
      - .offset:         112
        .size:           4
        .value_kind:     by_value
      - .offset:         116
        .size:           4
        .value_kind:     by_value
      - .offset:         120
        .size:           4
        .value_kind:     by_value
      - .offset:         124
        .size:           4
        .value_kind:     by_value
      - .offset:         128
        .size:           4
        .value_kind:     by_value
      - .offset:         132
        .size:           4
        .value_kind:     by_value
      - .offset:         136
        .size:           4
        .value_kind:     by_value
      - .address_space:  global
        .offset:         144
        .size:           8
        .value_kind:     global_buffer
      - .address_space:  global
        .offset:         152
        .size:           8
        .value_kind:     global_buffer
      - .address_space:  global
        .offset:         160
        .size:           8
        .value_kind:     global_buffer
      - .address_space:  global
        .offset:         168
        .size:           8
        .value_kind:     global_buffer
      - .address_space:  global
        .offset:         176
        .size:           8
        .value_kind:     global_buffer
      - .address_space:  global
        .offset:         184
        .size:           8
        .value_kind:     global_buffer
      - .address_space:  global
        .offset:         192
        .size:           8
        .value_kind:     global_buffer
      - .address_space:  global
        .offset:         200
        .size:           8
        .value_kind:     global_buffer
      - .offset:         208
        .size:           4
        .value_kind:     hidden_block_count_x
      - .offset:         212
        .size:           4
        .value_kind:     hidden_block_count_y
      - .offset:         216
        .size:           4
        .value_kind:     hidden_block_count_z
      - .offset:         220
        .size:           2
        .value_kind:     hidden_group_size_x
      - .offset:         222
        .size:           2
        .value_kind:     hidden_group_size_y
      - .offset:         224
        .size:           2
        .value_kind:     hidden_group_size_z
      - .offset:         226
        .size:           2
        .value_kind:     hidden_remainder_x
      - .offset:         228
        .size:           2
        .value_kind:     hidden_remainder_y
      - .offset:         230
        .size:           2
        .value_kind:     hidden_remainder_z
      - .offset:         248
        .size:           8
        .value_kind:     hidden_global_offset_x
      - .offset:         256
        .size:           8
        .value_kind:     hidden_global_offset_y
      - .offset:         264
        .size:           8
        .value_kind:     hidden_global_offset_z
      - .offset:         272
        .size:           2
        .value_kind:     hidden_grid_dims
    .group_segment_fixed_size: 0
    .kernarg_segment_align: 8
    .kernarg_segment_size: 464
    .language:       OpenCL C
    .language_version:
      - 2
      - 0
    .max_flat_workgroup_size: 1024
    .name:           _ZL11k_bin_bcastIXadL_ZL6op_addffEEfffJPKfS1_S1_S1_S1_S1_S1_S1_EEvPKT0_PKT1_PT2_iii15HIP_vector_typeIjLj3EESB_SB_SB_SB_iiiiiiiiiiiDpT3_
    .private_segment_fixed_size: 0
    .sgpr_count:     49
    .sgpr_spill_count: 0
    .symbol:         _ZL11k_bin_bcastIXadL_ZL6op_addffEEfffJPKfS1_S1_S1_S1_S1_S1_S1_EEvPKT0_PKT1_PT2_iii15HIP_vector_typeIjLj3EESB_SB_SB_SB_iiiiiiiiiiiDpT3_.kd
    .uniform_work_group_size: 1
    .uses_dynamic_stack: false
    .vgpr_count:     22
    .vgpr_spill_count: 0
    .wavefront_size: 32
  - .args:
      - .address_space:  global
        .offset:         0
        .size:           8
        .value_kind:     global_buffer
      - .address_space:  global
        .offset:         8
        .size:           8
        .value_kind:     global_buffer
      - .address_space:  global
        .offset:         16
        .size:           8
        .value_kind:     global_buffer
      - .offset:         24
        .size:           12
        .value_kind:     by_value
      - .offset:         36
        .size:           12
        .value_kind:     by_value
      - .offset:         48
        .size:           12
        .value_kind:     by_value
      - .offset:         60
        .size:           4
        .value_kind:     by_value
      - .offset:         64
        .size:           12
        .value_kind:     by_value
      - .offset:         76
        .size:           12
        .value_kind:     by_value
      - .offset:         88
        .size:           12
        .value_kind:     by_value
      - .offset:         100
        .size:           12
        .value_kind:     by_value
      - .offset:         112
        .size:           12
        .value_kind:     by_value
      - .offset:         124
        .size:           12
        .value_kind:     by_value
      - .offset:         136
        .size:           4
        .value_kind:     by_value
      - .offset:         140
        .size:           4
        .value_kind:     by_value
      - .offset:         144
        .size:           4
        .value_kind:     by_value
      - .offset:         148
        .size:           4
        .value_kind:     by_value
      - .offset:         152
        .size:           4
        .value_kind:     by_value
      - .offset:         156
        .size:           4
        .value_kind:     by_value
      - .offset:         160
        .size:           4
        .value_kind:     by_value
      - .offset:         164
        .size:           4
        .value_kind:     by_value
      - .offset:         168
        .size:           4
        .value_kind:     by_value
      - .offset:         172
        .size:           4
        .value_kind:     by_value
      - .offset:         176
        .size:           4
        .value_kind:     by_value
      - .address_space:  global
        .offset:         184
        .size:           8
        .value_kind:     global_buffer
      - .address_space:  global
        .offset:         192
        .size:           8
        .value_kind:     global_buffer
      - .address_space:  global
        .offset:         200
        .size:           8
        .value_kind:     global_buffer
      - .address_space:  global
        .offset:         208
        .size:           8
        .value_kind:     global_buffer
      - .address_space:  global
        .offset:         216
        .size:           8
        .value_kind:     global_buffer
      - .address_space:  global
        .offset:         224
        .size:           8
        .value_kind:     global_buffer
      - .address_space:  global
        .offset:         232
        .size:           8
        .value_kind:     global_buffer
      - .address_space:  global
        .offset:         240
        .size:           8
        .value_kind:     global_buffer
      - .offset:         248
        .size:           4
        .value_kind:     hidden_block_count_x
      - .offset:         252
        .size:           4
        .value_kind:     hidden_block_count_y
      - .offset:         256
        .size:           4
        .value_kind:     hidden_block_count_z
      - .offset:         260
        .size:           2
        .value_kind:     hidden_group_size_x
      - .offset:         262
        .size:           2
        .value_kind:     hidden_group_size_y
      - .offset:         264
        .size:           2
        .value_kind:     hidden_group_size_z
      - .offset:         266
        .size:           2
        .value_kind:     hidden_remainder_x
      - .offset:         268
        .size:           2
        .value_kind:     hidden_remainder_y
      - .offset:         270
        .size:           2
        .value_kind:     hidden_remainder_z
      - .offset:         288
        .size:           8
        .value_kind:     hidden_global_offset_x
      - .offset:         296
        .size:           8
        .value_kind:     hidden_global_offset_y
      - .offset:         304
        .size:           8
        .value_kind:     hidden_global_offset_z
      - .offset:         312
        .size:           2
        .value_kind:     hidden_grid_dims
    .group_segment_fixed_size: 0
    .kernarg_segment_align: 8
    .kernarg_segment_size: 504
    .language:       OpenCL C
    .language_version:
      - 2
      - 0
    .max_flat_workgroup_size: 1024
    .name:           _ZL19k_bin_bcast_unravelIXadL_ZL6op_addffEE6__halfS0_S0_JPKS0_S2_S2_S2_S2_S2_S2_S2_EEvPKT0_PKT1_PT2_15HIP_vector_typeIjLj3EESC_SC_jSC_SC_SC_SC_SC_SC_iiiiiiiiiiiDpT3_
    .private_segment_fixed_size: 0
    .sgpr_count:     30
    .sgpr_spill_count: 0
    .symbol:         _ZL19k_bin_bcast_unravelIXadL_ZL6op_addffEE6__halfS0_S0_JPKS0_S2_S2_S2_S2_S2_S2_S2_EEvPKT0_PKT1_PT2_15HIP_vector_typeIjLj3EESC_SC_jSC_SC_SC_SC_SC_SC_iiiiiiiiiiiDpT3_.kd
    .uniform_work_group_size: 1
    .uses_dynamic_stack: false
    .vgpr_count:     18
    .vgpr_spill_count: 0
    .wavefront_size: 32
  - .args:
      - .address_space:  global
        .offset:         0
        .size:           8
        .value_kind:     global_buffer
      - .address_space:  global
        .offset:         8
        .size:           8
        .value_kind:     global_buffer
      - .address_space:  global
        .offset:         16
        .size:           8
        .value_kind:     global_buffer
      - .offset:         24
        .size:           4
        .value_kind:     by_value
      - .offset:         28
        .size:           4
        .value_kind:     by_value
      - .offset:         32
        .size:           4
        .value_kind:     by_value
      - .offset:         36
        .size:           12
        .value_kind:     by_value
      - .offset:         48
        .size:           12
        .value_kind:     by_value
      - .offset:         60
        .size:           12
        .value_kind:     by_value
      - .offset:         72
        .size:           12
        .value_kind:     by_value
      - .offset:         84
        .size:           12
        .value_kind:     by_value
      - .offset:         96
        .size:           4
        .value_kind:     by_value
      - .offset:         100
        .size:           4
        .value_kind:     by_value
      - .offset:         104
        .size:           4
        .value_kind:     by_value
      - .offset:         108
        .size:           4
        .value_kind:     by_value
      - .offset:         112
        .size:           4
        .value_kind:     by_value
      - .offset:         116
        .size:           4
        .value_kind:     by_value
      - .offset:         120
        .size:           4
        .value_kind:     by_value
      - .offset:         124
        .size:           4
        .value_kind:     by_value
      - .offset:         128
        .size:           4
        .value_kind:     by_value
      - .offset:         132
        .size:           4
        .value_kind:     by_value
      - .offset:         136
        .size:           4
        .value_kind:     by_value
      - .address_space:  global
        .offset:         144
        .size:           8
        .value_kind:     global_buffer
      - .address_space:  global
        .offset:         152
        .size:           8
        .value_kind:     global_buffer
      - .address_space:  global
        .offset:         160
        .size:           8
        .value_kind:     global_buffer
      - .address_space:  global
        .offset:         168
        .size:           8
        .value_kind:     global_buffer
      - .address_space:  global
        .offset:         176
        .size:           8
        .value_kind:     global_buffer
      - .address_space:  global
        .offset:         184
        .size:           8
        .value_kind:     global_buffer
      - .address_space:  global
        .offset:         192
        .size:           8
        .value_kind:     global_buffer
      - .address_space:  global
        .offset:         200
        .size:           8
        .value_kind:     global_buffer
      - .offset:         208
        .size:           4
        .value_kind:     hidden_block_count_x
      - .offset:         212
        .size:           4
        .value_kind:     hidden_block_count_y
      - .offset:         216
        .size:           4
        .value_kind:     hidden_block_count_z
      - .offset:         220
        .size:           2
        .value_kind:     hidden_group_size_x
      - .offset:         222
        .size:           2
        .value_kind:     hidden_group_size_y
      - .offset:         224
        .size:           2
        .value_kind:     hidden_group_size_z
      - .offset:         226
        .size:           2
        .value_kind:     hidden_remainder_x
      - .offset:         228
        .size:           2
        .value_kind:     hidden_remainder_y
      - .offset:         230
        .size:           2
        .value_kind:     hidden_remainder_z
      - .offset:         248
        .size:           8
        .value_kind:     hidden_global_offset_x
      - .offset:         256
        .size:           8
        .value_kind:     hidden_global_offset_y
      - .offset:         264
        .size:           8
        .value_kind:     hidden_global_offset_z
      - .offset:         272
        .size:           2
        .value_kind:     hidden_grid_dims
    .group_segment_fixed_size: 0
    .kernarg_segment_align: 8
    .kernarg_segment_size: 464
    .language:       OpenCL C
    .language_version:
      - 2
      - 0
    .max_flat_workgroup_size: 1024
    .name:           _ZL11k_bin_bcastIXadL_ZL6op_addffEE6__halfS0_S0_JPKS0_S2_S2_S2_S2_S2_S2_S2_EEvPKT0_PKT1_PT2_iii15HIP_vector_typeIjLj3EESC_SC_SC_SC_iiiiiiiiiiiDpT3_
    .private_segment_fixed_size: 0
    .sgpr_count:     49
    .sgpr_spill_count: 0
    .symbol:         _ZL11k_bin_bcastIXadL_ZL6op_addffEE6__halfS0_S0_JPKS0_S2_S2_S2_S2_S2_S2_S2_EEvPKT0_PKT1_PT2_iii15HIP_vector_typeIjLj3EESC_SC_SC_SC_iiiiiiiiiiiDpT3_.kd
    .uniform_work_group_size: 1
    .uses_dynamic_stack: false
    .vgpr_count:     22
    .vgpr_spill_count: 0
    .wavefront_size: 32
  - .args:
      - .address_space:  global
        .offset:         0
        .size:           8
        .value_kind:     global_buffer
      - .address_space:  global
        .offset:         8
        .size:           8
        .value_kind:     global_buffer
      - .address_space:  global
        .offset:         16
        .size:           8
        .value_kind:     global_buffer
      - .offset:         24
        .size:           12
        .value_kind:     by_value
      - .offset:         36
        .size:           12
        .value_kind:     by_value
      - .offset:         48
        .size:           12
        .value_kind:     by_value
      - .offset:         60
        .size:           4
        .value_kind:     by_value
      - .offset:         64
        .size:           12
        .value_kind:     by_value
      - .offset:         76
        .size:           12
        .value_kind:     by_value
      - .offset:         88
        .size:           12
        .value_kind:     by_value
      - .offset:         100
        .size:           12
        .value_kind:     by_value
      - .offset:         112
        .size:           12
        .value_kind:     by_value
      - .offset:         124
        .size:           12
        .value_kind:     by_value
      - .offset:         136
        .size:           4
        .value_kind:     by_value
      - .offset:         140
        .size:           4
        .value_kind:     by_value
      - .offset:         144
        .size:           4
        .value_kind:     by_value
      - .offset:         148
        .size:           4
        .value_kind:     by_value
      - .offset:         152
        .size:           4
        .value_kind:     by_value
      - .offset:         156
        .size:           4
        .value_kind:     by_value
      - .offset:         160
        .size:           4
        .value_kind:     by_value
      - .offset:         164
        .size:           4
        .value_kind:     by_value
      - .offset:         168
        .size:           4
        .value_kind:     by_value
      - .offset:         172
        .size:           4
        .value_kind:     by_value
      - .offset:         176
        .size:           4
        .value_kind:     by_value
      - .address_space:  global
        .offset:         184
        .size:           8
        .value_kind:     global_buffer
      - .address_space:  global
        .offset:         192
        .size:           8
        .value_kind:     global_buffer
      - .address_space:  global
        .offset:         200
        .size:           8
        .value_kind:     global_buffer
      - .address_space:  global
        .offset:         208
        .size:           8
        .value_kind:     global_buffer
      - .address_space:  global
        .offset:         216
        .size:           8
        .value_kind:     global_buffer
      - .address_space:  global
        .offset:         224
        .size:           8
        .value_kind:     global_buffer
      - .address_space:  global
        .offset:         232
        .size:           8
        .value_kind:     global_buffer
      - .address_space:  global
        .offset:         240
        .size:           8
        .value_kind:     global_buffer
      - .offset:         248
        .size:           4
        .value_kind:     hidden_block_count_x
      - .offset:         252
        .size:           4
        .value_kind:     hidden_block_count_y
      - .offset:         256
        .size:           4
        .value_kind:     hidden_block_count_z
      - .offset:         260
        .size:           2
        .value_kind:     hidden_group_size_x
      - .offset:         262
        .size:           2
        .value_kind:     hidden_group_size_y
      - .offset:         264
        .size:           2
        .value_kind:     hidden_group_size_z
      - .offset:         266
        .size:           2
        .value_kind:     hidden_remainder_x
      - .offset:         268
        .size:           2
        .value_kind:     hidden_remainder_y
      - .offset:         270
        .size:           2
        .value_kind:     hidden_remainder_z
      - .offset:         288
        .size:           8
        .value_kind:     hidden_global_offset_x
      - .offset:         296
        .size:           8
        .value_kind:     hidden_global_offset_y
      - .offset:         304
        .size:           8
        .value_kind:     hidden_global_offset_z
      - .offset:         312
        .size:           2
        .value_kind:     hidden_grid_dims
    .group_segment_fixed_size: 0
    .kernarg_segment_align: 8
    .kernarg_segment_size: 504
    .language:       OpenCL C
    .language_version:
      - 2
      - 0
    .max_flat_workgroup_size: 1024
    .name:           _ZL19k_bin_bcast_unravelIXadL_ZL6op_addffEE6__halffS0_JPKfS2_S2_S2_S2_S2_S2_S2_EEvPKT0_PKT1_PT2_15HIP_vector_typeIjLj3EESC_SC_jSC_SC_SC_SC_SC_SC_iiiiiiiiiiiDpT3_
    .private_segment_fixed_size: 0
    .sgpr_count:     30
    .sgpr_spill_count: 0
    .symbol:         _ZL19k_bin_bcast_unravelIXadL_ZL6op_addffEE6__halffS0_JPKfS2_S2_S2_S2_S2_S2_S2_EEvPKT0_PKT1_PT2_15HIP_vector_typeIjLj3EESC_SC_jSC_SC_SC_SC_SC_SC_iiiiiiiiiiiDpT3_.kd
    .uniform_work_group_size: 1
    .uses_dynamic_stack: false
    .vgpr_count:     18
    .vgpr_spill_count: 0
    .wavefront_size: 32
  - .args:
      - .address_space:  global
        .offset:         0
        .size:           8
        .value_kind:     global_buffer
      - .address_space:  global
        .offset:         8
        .size:           8
        .value_kind:     global_buffer
      - .address_space:  global
        .offset:         16
        .size:           8
        .value_kind:     global_buffer
      - .offset:         24
        .size:           4
        .value_kind:     by_value
      - .offset:         28
        .size:           4
        .value_kind:     by_value
      - .offset:         32
        .size:           4
        .value_kind:     by_value
      - .offset:         36
        .size:           12
        .value_kind:     by_value
      - .offset:         48
        .size:           12
        .value_kind:     by_value
      - .offset:         60
        .size:           12
        .value_kind:     by_value
      - .offset:         72
        .size:           12
        .value_kind:     by_value
      - .offset:         84
        .size:           12
        .value_kind:     by_value
      - .offset:         96
        .size:           4
        .value_kind:     by_value
      - .offset:         100
        .size:           4
        .value_kind:     by_value
      - .offset:         104
        .size:           4
        .value_kind:     by_value
      - .offset:         108
        .size:           4
        .value_kind:     by_value
      - .offset:         112
        .size:           4
        .value_kind:     by_value
      - .offset:         116
        .size:           4
        .value_kind:     by_value
      - .offset:         120
        .size:           4
        .value_kind:     by_value
      - .offset:         124
        .size:           4
        .value_kind:     by_value
      - .offset:         128
        .size:           4
        .value_kind:     by_value
      - .offset:         132
        .size:           4
        .value_kind:     by_value
      - .offset:         136
        .size:           4
        .value_kind:     by_value
      - .address_space:  global
        .offset:         144
        .size:           8
        .value_kind:     global_buffer
      - .address_space:  global
        .offset:         152
        .size:           8
        .value_kind:     global_buffer
      - .address_space:  global
        .offset:         160
        .size:           8
        .value_kind:     global_buffer
      - .address_space:  global
        .offset:         168
        .size:           8
        .value_kind:     global_buffer
      - .address_space:  global
        .offset:         176
        .size:           8
        .value_kind:     global_buffer
      - .address_space:  global
        .offset:         184
        .size:           8
        .value_kind:     global_buffer
      - .address_space:  global
        .offset:         192
        .size:           8
        .value_kind:     global_buffer
      - .address_space:  global
        .offset:         200
        .size:           8
        .value_kind:     global_buffer
      - .offset:         208
        .size:           4
        .value_kind:     hidden_block_count_x
      - .offset:         212
        .size:           4
        .value_kind:     hidden_block_count_y
      - .offset:         216
        .size:           4
        .value_kind:     hidden_block_count_z
      - .offset:         220
        .size:           2
        .value_kind:     hidden_group_size_x
      - .offset:         222
        .size:           2
        .value_kind:     hidden_group_size_y
      - .offset:         224
        .size:           2
        .value_kind:     hidden_group_size_z
      - .offset:         226
        .size:           2
        .value_kind:     hidden_remainder_x
      - .offset:         228
        .size:           2
        .value_kind:     hidden_remainder_y
      - .offset:         230
        .size:           2
        .value_kind:     hidden_remainder_z
      - .offset:         248
        .size:           8
        .value_kind:     hidden_global_offset_x
      - .offset:         256
        .size:           8
        .value_kind:     hidden_global_offset_y
      - .offset:         264
        .size:           8
        .value_kind:     hidden_global_offset_z
      - .offset:         272
        .size:           2
        .value_kind:     hidden_grid_dims
    .group_segment_fixed_size: 0
    .kernarg_segment_align: 8
    .kernarg_segment_size: 464
    .language:       OpenCL C
    .language_version:
      - 2
      - 0
    .max_flat_workgroup_size: 1024
    .name:           _ZL11k_bin_bcastIXadL_ZL6op_addffEE6__halffS0_JPKfS2_S2_S2_S2_S2_S2_S2_EEvPKT0_PKT1_PT2_iii15HIP_vector_typeIjLj3EESC_SC_SC_SC_iiiiiiiiiiiDpT3_
    .private_segment_fixed_size: 0
    .sgpr_count:     49
    .sgpr_spill_count: 0
    .symbol:         _ZL11k_bin_bcastIXadL_ZL6op_addffEE6__halffS0_JPKfS2_S2_S2_S2_S2_S2_S2_EEvPKT0_PKT1_PT2_iii15HIP_vector_typeIjLj3EESC_SC_SC_SC_iiiiiiiiiiiDpT3_.kd
    .uniform_work_group_size: 1
    .uses_dynamic_stack: false
    .vgpr_count:     22
    .vgpr_spill_count: 0
    .wavefront_size: 32
  - .args:
      - .address_space:  global
        .offset:         0
        .size:           8
        .value_kind:     global_buffer
      - .address_space:  global
        .offset:         8
        .size:           8
        .value_kind:     global_buffer
      - .address_space:  global
        .offset:         16
        .size:           8
        .value_kind:     global_buffer
      - .offset:         24
        .size:           12
        .value_kind:     by_value
      - .offset:         36
        .size:           12
        .value_kind:     by_value
      - .offset:         48
        .size:           12
        .value_kind:     by_value
      - .offset:         60
        .size:           4
        .value_kind:     by_value
      - .offset:         64
        .size:           12
        .value_kind:     by_value
      - .offset:         76
        .size:           12
        .value_kind:     by_value
      - .offset:         88
        .size:           12
        .value_kind:     by_value
      - .offset:         100
        .size:           12
        .value_kind:     by_value
      - .offset:         112
        .size:           12
        .value_kind:     by_value
      - .offset:         124
        .size:           12
        .value_kind:     by_value
      - .offset:         136
        .size:           4
        .value_kind:     by_value
      - .offset:         140
        .size:           4
        .value_kind:     by_value
      - .offset:         144
        .size:           4
        .value_kind:     by_value
      - .offset:         148
        .size:           4
        .value_kind:     by_value
      - .offset:         152
        .size:           4
        .value_kind:     by_value
      - .offset:         156
        .size:           4
        .value_kind:     by_value
      - .offset:         160
        .size:           4
        .value_kind:     by_value
      - .offset:         164
        .size:           4
        .value_kind:     by_value
      - .offset:         168
        .size:           4
        .value_kind:     by_value
      - .offset:         172
        .size:           4
        .value_kind:     by_value
      - .offset:         176
        .size:           4
        .value_kind:     by_value
      - .address_space:  global
        .offset:         184
        .size:           8
        .value_kind:     global_buffer
      - .address_space:  global
        .offset:         192
        .size:           8
        .value_kind:     global_buffer
      - .address_space:  global
        .offset:         200
        .size:           8
        .value_kind:     global_buffer
      - .address_space:  global
        .offset:         208
        .size:           8
        .value_kind:     global_buffer
      - .address_space:  global
        .offset:         216
        .size:           8
        .value_kind:     global_buffer
      - .address_space:  global
        .offset:         224
        .size:           8
        .value_kind:     global_buffer
      - .address_space:  global
        .offset:         232
        .size:           8
        .value_kind:     global_buffer
      - .address_space:  global
        .offset:         240
        .size:           8
        .value_kind:     global_buffer
      - .offset:         248
        .size:           4
        .value_kind:     hidden_block_count_x
      - .offset:         252
        .size:           4
        .value_kind:     hidden_block_count_y
      - .offset:         256
        .size:           4
        .value_kind:     hidden_block_count_z
      - .offset:         260
        .size:           2
        .value_kind:     hidden_group_size_x
      - .offset:         262
        .size:           2
        .value_kind:     hidden_group_size_y
      - .offset:         264
        .size:           2
        .value_kind:     hidden_group_size_z
      - .offset:         266
        .size:           2
        .value_kind:     hidden_remainder_x
      - .offset:         268
        .size:           2
        .value_kind:     hidden_remainder_y
      - .offset:         270
        .size:           2
        .value_kind:     hidden_remainder_z
      - .offset:         288
        .size:           8
        .value_kind:     hidden_global_offset_x
      - .offset:         296
        .size:           8
        .value_kind:     hidden_global_offset_y
      - .offset:         304
        .size:           8
        .value_kind:     hidden_global_offset_z
      - .offset:         312
        .size:           2
        .value_kind:     hidden_grid_dims
    .group_segment_fixed_size: 0
    .kernarg_segment_align: 8
    .kernarg_segment_size: 504
    .language:       OpenCL C
    .language_version:
      - 2
      - 0
    .max_flat_workgroup_size: 1024
    .name:           _ZL19k_bin_bcast_unravelIXadL_ZL6op_addffEE6__halfffJPKfS2_S2_S2_S2_S2_S2_S2_EEvPKT0_PKT1_PT2_15HIP_vector_typeIjLj3EESC_SC_jSC_SC_SC_SC_SC_SC_iiiiiiiiiiiDpT3_
    .private_segment_fixed_size: 0
    .sgpr_count:     30
    .sgpr_spill_count: 0
    .symbol:         _ZL19k_bin_bcast_unravelIXadL_ZL6op_addffEE6__halfffJPKfS2_S2_S2_S2_S2_S2_S2_EEvPKT0_PKT1_PT2_15HIP_vector_typeIjLj3EESC_SC_jSC_SC_SC_SC_SC_SC_iiiiiiiiiiiDpT3_.kd
    .uniform_work_group_size: 1
    .uses_dynamic_stack: false
    .vgpr_count:     18
    .vgpr_spill_count: 0
    .wavefront_size: 32
  - .args:
      - .address_space:  global
        .offset:         0
        .size:           8
        .value_kind:     global_buffer
      - .address_space:  global
        .offset:         8
        .size:           8
        .value_kind:     global_buffer
      - .address_space:  global
        .offset:         16
        .size:           8
        .value_kind:     global_buffer
      - .offset:         24
        .size:           4
        .value_kind:     by_value
      - .offset:         28
        .size:           4
        .value_kind:     by_value
      - .offset:         32
        .size:           4
        .value_kind:     by_value
      - .offset:         36
        .size:           12
        .value_kind:     by_value
      - .offset:         48
        .size:           12
        .value_kind:     by_value
      - .offset:         60
        .size:           12
        .value_kind:     by_value
      - .offset:         72
        .size:           12
        .value_kind:     by_value
      - .offset:         84
        .size:           12
        .value_kind:     by_value
      - .offset:         96
        .size:           4
        .value_kind:     by_value
      - .offset:         100
        .size:           4
        .value_kind:     by_value
      - .offset:         104
        .size:           4
        .value_kind:     by_value
      - .offset:         108
        .size:           4
        .value_kind:     by_value
      - .offset:         112
        .size:           4
        .value_kind:     by_value
      - .offset:         116
        .size:           4
        .value_kind:     by_value
      - .offset:         120
        .size:           4
        .value_kind:     by_value
      - .offset:         124
        .size:           4
        .value_kind:     by_value
      - .offset:         128
        .size:           4
        .value_kind:     by_value
      - .offset:         132
        .size:           4
        .value_kind:     by_value
      - .offset:         136
        .size:           4
        .value_kind:     by_value
      - .address_space:  global
        .offset:         144
        .size:           8
        .value_kind:     global_buffer
      - .address_space:  global
        .offset:         152
        .size:           8
        .value_kind:     global_buffer
      - .address_space:  global
        .offset:         160
        .size:           8
        .value_kind:     global_buffer
      - .address_space:  global
        .offset:         168
        .size:           8
        .value_kind:     global_buffer
      - .address_space:  global
        .offset:         176
        .size:           8
        .value_kind:     global_buffer
      - .address_space:  global
        .offset:         184
        .size:           8
        .value_kind:     global_buffer
      - .address_space:  global
        .offset:         192
        .size:           8
        .value_kind:     global_buffer
      - .address_space:  global
        .offset:         200
        .size:           8
        .value_kind:     global_buffer
      - .offset:         208
        .size:           4
        .value_kind:     hidden_block_count_x
      - .offset:         212
        .size:           4
        .value_kind:     hidden_block_count_y
      - .offset:         216
        .size:           4
        .value_kind:     hidden_block_count_z
      - .offset:         220
        .size:           2
        .value_kind:     hidden_group_size_x
      - .offset:         222
        .size:           2
        .value_kind:     hidden_group_size_y
      - .offset:         224
        .size:           2
        .value_kind:     hidden_group_size_z
      - .offset:         226
        .size:           2
        .value_kind:     hidden_remainder_x
      - .offset:         228
        .size:           2
        .value_kind:     hidden_remainder_y
      - .offset:         230
        .size:           2
        .value_kind:     hidden_remainder_z
      - .offset:         248
        .size:           8
        .value_kind:     hidden_global_offset_x
      - .offset:         256
        .size:           8
        .value_kind:     hidden_global_offset_y
      - .offset:         264
        .size:           8
        .value_kind:     hidden_global_offset_z
      - .offset:         272
        .size:           2
        .value_kind:     hidden_grid_dims
    .group_segment_fixed_size: 0
    .kernarg_segment_align: 8
    .kernarg_segment_size: 464
    .language:       OpenCL C
    .language_version:
      - 2
      - 0
    .max_flat_workgroup_size: 1024
    .name:           _ZL11k_bin_bcastIXadL_ZL6op_addffEE6__halfffJPKfS2_S2_S2_S2_S2_S2_S2_EEvPKT0_PKT1_PT2_iii15HIP_vector_typeIjLj3EESC_SC_SC_SC_iiiiiiiiiiiDpT3_
    .private_segment_fixed_size: 0
    .sgpr_count:     49
    .sgpr_spill_count: 0
    .symbol:         _ZL11k_bin_bcastIXadL_ZL6op_addffEE6__halfffJPKfS2_S2_S2_S2_S2_S2_S2_EEvPKT0_PKT1_PT2_iii15HIP_vector_typeIjLj3EESC_SC_SC_SC_iiiiiiiiiiiDpT3_.kd
    .uniform_work_group_size: 1
    .uses_dynamic_stack: false
    .vgpr_count:     22
    .vgpr_spill_count: 0
    .wavefront_size: 32
  - .args:
      - .address_space:  global
        .offset:         0
        .size:           8
        .value_kind:     global_buffer
      - .address_space:  global
        .offset:         8
        .size:           8
        .value_kind:     global_buffer
      - .address_space:  global
        .offset:         16
        .size:           8
        .value_kind:     global_buffer
      - .offset:         24
        .size:           12
        .value_kind:     by_value
      - .offset:         36
        .size:           12
        .value_kind:     by_value
      - .offset:         48
        .size:           12
        .value_kind:     by_value
      - .offset:         60
        .size:           4
        .value_kind:     by_value
      - .offset:         64
        .size:           12
        .value_kind:     by_value
      - .offset:         76
        .size:           12
        .value_kind:     by_value
      - .offset:         88
        .size:           12
        .value_kind:     by_value
      - .offset:         100
        .size:           12
        .value_kind:     by_value
      - .offset:         112
        .size:           12
        .value_kind:     by_value
      - .offset:         124
        .size:           12
        .value_kind:     by_value
      - .offset:         136
        .size:           4
        .value_kind:     by_value
      - .offset:         140
        .size:           4
        .value_kind:     by_value
      - .offset:         144
        .size:           4
        .value_kind:     by_value
      - .offset:         148
        .size:           4
        .value_kind:     by_value
      - .offset:         152
        .size:           4
        .value_kind:     by_value
      - .offset:         156
        .size:           4
        .value_kind:     by_value
      - .offset:         160
        .size:           4
        .value_kind:     by_value
      - .offset:         164
        .size:           4
        .value_kind:     by_value
      - .offset:         168
        .size:           4
        .value_kind:     by_value
      - .offset:         172
        .size:           4
        .value_kind:     by_value
      - .offset:         176
        .size:           4
        .value_kind:     by_value
      - .address_space:  global
        .offset:         184
        .size:           8
        .value_kind:     global_buffer
      - .address_space:  global
        .offset:         192
        .size:           8
        .value_kind:     global_buffer
      - .offset:         200
        .size:           4
        .value_kind:     hidden_block_count_x
      - .offset:         204
        .size:           4
        .value_kind:     hidden_block_count_y
      - .offset:         208
        .size:           4
        .value_kind:     hidden_block_count_z
      - .offset:         212
        .size:           2
        .value_kind:     hidden_group_size_x
      - .offset:         214
        .size:           2
        .value_kind:     hidden_group_size_y
      - .offset:         216
        .size:           2
        .value_kind:     hidden_group_size_z
      - .offset:         218
        .size:           2
        .value_kind:     hidden_remainder_x
      - .offset:         220
        .size:           2
        .value_kind:     hidden_remainder_y
      - .offset:         222
        .size:           2
        .value_kind:     hidden_remainder_z
      - .offset:         240
        .size:           8
        .value_kind:     hidden_global_offset_x
      - .offset:         248
        .size:           8
        .value_kind:     hidden_global_offset_y
      - .offset:         256
        .size:           8
        .value_kind:     hidden_global_offset_z
      - .offset:         264
        .size:           2
        .value_kind:     hidden_grid_dims
    .group_segment_fixed_size: 0
    .kernarg_segment_align: 8
    .kernarg_segment_size: 456
    .language:       OpenCL C
    .language_version:
      - 2
      - 0
    .max_flat_workgroup_size: 1024
    .name:           _ZL19k_bin_bcast_unravelIXadL_ZL6op_mulffEEfffJPKfS1_EEvPKT0_PKT1_PT2_15HIP_vector_typeIjLj3EESB_SB_jSB_SB_SB_SB_SB_SB_iiiiiiiiiiiDpT3_
    .private_segment_fixed_size: 0
    .sgpr_count:     29
    .sgpr_spill_count: 0
    .symbol:         _ZL19k_bin_bcast_unravelIXadL_ZL6op_mulffEEfffJPKfS1_EEvPKT0_PKT1_PT2_15HIP_vector_typeIjLj3EESB_SB_jSB_SB_SB_SB_SB_SB_iiiiiiiiiiiDpT3_.kd
    .uniform_work_group_size: 1
    .uses_dynamic_stack: false
    .vgpr_count:     12
    .vgpr_spill_count: 0
    .wavefront_size: 32
  - .args:
      - .address_space:  global
        .offset:         0
        .size:           8
        .value_kind:     global_buffer
      - .address_space:  global
        .offset:         8
        .size:           8
        .value_kind:     global_buffer
      - .address_space:  global
        .offset:         16
        .size:           8
        .value_kind:     global_buffer
      - .offset:         24
        .size:           4
        .value_kind:     by_value
      - .offset:         28
        .size:           4
        .value_kind:     by_value
      - .offset:         32
        .size:           4
        .value_kind:     by_value
      - .offset:         36
        .size:           12
        .value_kind:     by_value
      - .offset:         48
        .size:           12
        .value_kind:     by_value
      - .offset:         60
        .size:           12
        .value_kind:     by_value
      - .offset:         72
        .size:           12
        .value_kind:     by_value
      - .offset:         84
        .size:           12
        .value_kind:     by_value
      - .offset:         96
        .size:           4
        .value_kind:     by_value
      - .offset:         100
        .size:           4
        .value_kind:     by_value
      - .offset:         104
        .size:           4
        .value_kind:     by_value
      - .offset:         108
        .size:           4
        .value_kind:     by_value
      - .offset:         112
        .size:           4
        .value_kind:     by_value
      - .offset:         116
        .size:           4
        .value_kind:     by_value
      - .offset:         120
        .size:           4
        .value_kind:     by_value
      - .offset:         124
        .size:           4
        .value_kind:     by_value
      - .offset:         128
        .size:           4
        .value_kind:     by_value
      - .offset:         132
        .size:           4
        .value_kind:     by_value
      - .offset:         136
        .size:           4
        .value_kind:     by_value
      - .address_space:  global
        .offset:         144
        .size:           8
        .value_kind:     global_buffer
      - .address_space:  global
        .offset:         152
        .size:           8
        .value_kind:     global_buffer
      - .offset:         160
        .size:           4
        .value_kind:     hidden_block_count_x
      - .offset:         164
        .size:           4
        .value_kind:     hidden_block_count_y
      - .offset:         168
        .size:           4
        .value_kind:     hidden_block_count_z
      - .offset:         172
        .size:           2
        .value_kind:     hidden_group_size_x
      - .offset:         174
        .size:           2
        .value_kind:     hidden_group_size_y
      - .offset:         176
        .size:           2
        .value_kind:     hidden_group_size_z
      - .offset:         178
        .size:           2
        .value_kind:     hidden_remainder_x
      - .offset:         180
        .size:           2
        .value_kind:     hidden_remainder_y
      - .offset:         182
        .size:           2
        .value_kind:     hidden_remainder_z
      - .offset:         200
        .size:           8
        .value_kind:     hidden_global_offset_x
      - .offset:         208
        .size:           8
        .value_kind:     hidden_global_offset_y
      - .offset:         216
        .size:           8
        .value_kind:     hidden_global_offset_z
      - .offset:         224
        .size:           2
        .value_kind:     hidden_grid_dims
    .group_segment_fixed_size: 0
    .kernarg_segment_align: 8
    .kernarg_segment_size: 416
    .language:       OpenCL C
    .language_version:
      - 2
      - 0
    .max_flat_workgroup_size: 1024
    .name:           _ZL11k_bin_bcastIXadL_ZL6op_mulffEEfffJPKfS1_EEvPKT0_PKT1_PT2_iii15HIP_vector_typeIjLj3EESB_SB_SB_SB_iiiiiiiiiiiDpT3_
    .private_segment_fixed_size: 0
    .sgpr_count:     41
    .sgpr_spill_count: 0
    .symbol:         _ZL11k_bin_bcastIXadL_ZL6op_mulffEEfffJPKfS1_EEvPKT0_PKT1_PT2_iii15HIP_vector_typeIjLj3EESB_SB_SB_SB_iiiiiiiiiiiDpT3_.kd
    .uniform_work_group_size: 1
    .uses_dynamic_stack: false
    .vgpr_count:     16
    .vgpr_spill_count: 0
    .wavefront_size: 32
  - .args:
      - .address_space:  global
        .offset:         0
        .size:           8
        .value_kind:     global_buffer
      - .address_space:  global
        .offset:         8
        .size:           8
        .value_kind:     global_buffer
      - .address_space:  global
        .offset:         16
        .size:           8
        .value_kind:     global_buffer
      - .offset:         24
        .size:           12
        .value_kind:     by_value
      - .offset:         36
        .size:           12
        .value_kind:     by_value
      - .offset:         48
        .size:           12
        .value_kind:     by_value
      - .offset:         60
        .size:           4
        .value_kind:     by_value
      - .offset:         64
        .size:           12
        .value_kind:     by_value
      - .offset:         76
        .size:           12
        .value_kind:     by_value
      - .offset:         88
        .size:           12
        .value_kind:     by_value
      - .offset:         100
        .size:           12
        .value_kind:     by_value
      - .offset:         112
        .size:           12
        .value_kind:     by_value
      - .offset:         124
        .size:           12
        .value_kind:     by_value
      - .offset:         136
        .size:           4
        .value_kind:     by_value
      - .offset:         140
        .size:           4
        .value_kind:     by_value
      - .offset:         144
        .size:           4
        .value_kind:     by_value
      - .offset:         148
        .size:           4
        .value_kind:     by_value
      - .offset:         152
        .size:           4
        .value_kind:     by_value
      - .offset:         156
        .size:           4
        .value_kind:     by_value
      - .offset:         160
        .size:           4
        .value_kind:     by_value
      - .offset:         164
        .size:           4
        .value_kind:     by_value
      - .offset:         168
        .size:           4
        .value_kind:     by_value
      - .offset:         172
        .size:           4
        .value_kind:     by_value
      - .offset:         176
        .size:           4
        .value_kind:     by_value
      - .address_space:  global
        .offset:         184
        .size:           8
        .value_kind:     global_buffer
      - .address_space:  global
        .offset:         192
        .size:           8
        .value_kind:     global_buffer
      - .offset:         200
        .size:           4
        .value_kind:     hidden_block_count_x
      - .offset:         204
        .size:           4
        .value_kind:     hidden_block_count_y
      - .offset:         208
        .size:           4
        .value_kind:     hidden_block_count_z
      - .offset:         212
        .size:           2
        .value_kind:     hidden_group_size_x
      - .offset:         214
        .size:           2
        .value_kind:     hidden_group_size_y
      - .offset:         216
        .size:           2
        .value_kind:     hidden_group_size_z
      - .offset:         218
        .size:           2
        .value_kind:     hidden_remainder_x
      - .offset:         220
        .size:           2
        .value_kind:     hidden_remainder_y
      - .offset:         222
        .size:           2
        .value_kind:     hidden_remainder_z
      - .offset:         240
        .size:           8
        .value_kind:     hidden_global_offset_x
      - .offset:         248
        .size:           8
        .value_kind:     hidden_global_offset_y
      - .offset:         256
        .size:           8
        .value_kind:     hidden_global_offset_z
      - .offset:         264
        .size:           2
        .value_kind:     hidden_grid_dims
    .group_segment_fixed_size: 0
    .kernarg_segment_align: 8
    .kernarg_segment_size: 456
    .language:       OpenCL C
    .language_version:
      - 2
      - 0
    .max_flat_workgroup_size: 1024
    .name:           _ZL19k_bin_bcast_unravelIXadL_ZL6op_mulffEE6__halfS0_S0_JPKS0_S2_EEvPKT0_PKT1_PT2_15HIP_vector_typeIjLj3EESC_SC_jSC_SC_SC_SC_SC_SC_iiiiiiiiiiiDpT3_
    .private_segment_fixed_size: 0
    .sgpr_count:     29
    .sgpr_spill_count: 0
    .symbol:         _ZL19k_bin_bcast_unravelIXadL_ZL6op_mulffEE6__halfS0_S0_JPKS0_S2_EEvPKT0_PKT1_PT2_15HIP_vector_typeIjLj3EESC_SC_jSC_SC_SC_SC_SC_SC_iiiiiiiiiiiDpT3_.kd
    .uniform_work_group_size: 1
    .uses_dynamic_stack: false
    .vgpr_count:     10
    .vgpr_spill_count: 0
    .wavefront_size: 32
  - .args:
      - .address_space:  global
        .offset:         0
        .size:           8
        .value_kind:     global_buffer
      - .address_space:  global
        .offset:         8
        .size:           8
        .value_kind:     global_buffer
      - .address_space:  global
        .offset:         16
        .size:           8
        .value_kind:     global_buffer
      - .offset:         24
        .size:           4
        .value_kind:     by_value
      - .offset:         28
        .size:           4
        .value_kind:     by_value
      - .offset:         32
        .size:           4
        .value_kind:     by_value
      - .offset:         36
        .size:           12
        .value_kind:     by_value
      - .offset:         48
        .size:           12
        .value_kind:     by_value
      - .offset:         60
        .size:           12
        .value_kind:     by_value
      - .offset:         72
        .size:           12
        .value_kind:     by_value
      - .offset:         84
        .size:           12
        .value_kind:     by_value
      - .offset:         96
        .size:           4
        .value_kind:     by_value
      - .offset:         100
        .size:           4
        .value_kind:     by_value
      - .offset:         104
        .size:           4
        .value_kind:     by_value
      - .offset:         108
        .size:           4
        .value_kind:     by_value
      - .offset:         112
        .size:           4
        .value_kind:     by_value
      - .offset:         116
        .size:           4
        .value_kind:     by_value
      - .offset:         120
        .size:           4
        .value_kind:     by_value
      - .offset:         124
        .size:           4
        .value_kind:     by_value
      - .offset:         128
        .size:           4
        .value_kind:     by_value
      - .offset:         132
        .size:           4
        .value_kind:     by_value
      - .offset:         136
        .size:           4
        .value_kind:     by_value
      - .address_space:  global
        .offset:         144
        .size:           8
        .value_kind:     global_buffer
      - .address_space:  global
        .offset:         152
        .size:           8
        .value_kind:     global_buffer
      - .offset:         160
        .size:           4
        .value_kind:     hidden_block_count_x
      - .offset:         164
        .size:           4
        .value_kind:     hidden_block_count_y
      - .offset:         168
        .size:           4
        .value_kind:     hidden_block_count_z
      - .offset:         172
        .size:           2
        .value_kind:     hidden_group_size_x
      - .offset:         174
        .size:           2
        .value_kind:     hidden_group_size_y
      - .offset:         176
        .size:           2
        .value_kind:     hidden_group_size_z
      - .offset:         178
        .size:           2
        .value_kind:     hidden_remainder_x
      - .offset:         180
        .size:           2
        .value_kind:     hidden_remainder_y
      - .offset:         182
        .size:           2
        .value_kind:     hidden_remainder_z
      - .offset:         200
        .size:           8
        .value_kind:     hidden_global_offset_x
      - .offset:         208
        .size:           8
        .value_kind:     hidden_global_offset_y
      - .offset:         216
        .size:           8
        .value_kind:     hidden_global_offset_z
      - .offset:         224
        .size:           2
        .value_kind:     hidden_grid_dims
    .group_segment_fixed_size: 0
    .kernarg_segment_align: 8
    .kernarg_segment_size: 416
    .language:       OpenCL C
    .language_version:
      - 2
      - 0
    .max_flat_workgroup_size: 1024
    .name:           _ZL11k_bin_bcastIXadL_ZL6op_mulffEE6__halfS0_S0_JPKS0_S2_EEvPKT0_PKT1_PT2_iii15HIP_vector_typeIjLj3EESC_SC_SC_SC_iiiiiiiiiiiDpT3_
    .private_segment_fixed_size: 0
    .sgpr_count:     41
    .sgpr_spill_count: 0
    .symbol:         _ZL11k_bin_bcastIXadL_ZL6op_mulffEE6__halfS0_S0_JPKS0_S2_EEvPKT0_PKT1_PT2_iii15HIP_vector_typeIjLj3EESC_SC_SC_SC_iiiiiiiiiiiDpT3_.kd
    .uniform_work_group_size: 1
    .uses_dynamic_stack: false
    .vgpr_count:     14
    .vgpr_spill_count: 0
    .wavefront_size: 32
  - .args:
      - .address_space:  global
        .offset:         0
        .size:           8
        .value_kind:     global_buffer
      - .address_space:  global
        .offset:         8
        .size:           8
        .value_kind:     global_buffer
      - .address_space:  global
        .offset:         16
        .size:           8
        .value_kind:     global_buffer
      - .offset:         24
        .size:           12
        .value_kind:     by_value
      - .offset:         36
        .size:           12
        .value_kind:     by_value
      - .offset:         48
        .size:           12
        .value_kind:     by_value
      - .offset:         60
        .size:           4
        .value_kind:     by_value
      - .offset:         64
        .size:           12
        .value_kind:     by_value
      - .offset:         76
        .size:           12
        .value_kind:     by_value
      - .offset:         88
        .size:           12
        .value_kind:     by_value
      - .offset:         100
        .size:           12
        .value_kind:     by_value
      - .offset:         112
        .size:           12
        .value_kind:     by_value
      - .offset:         124
        .size:           12
        .value_kind:     by_value
      - .offset:         136
        .size:           4
        .value_kind:     by_value
      - .offset:         140
        .size:           4
        .value_kind:     by_value
      - .offset:         144
        .size:           4
        .value_kind:     by_value
      - .offset:         148
        .size:           4
        .value_kind:     by_value
      - .offset:         152
        .size:           4
        .value_kind:     by_value
      - .offset:         156
        .size:           4
        .value_kind:     by_value
      - .offset:         160
        .size:           4
        .value_kind:     by_value
      - .offset:         164
        .size:           4
        .value_kind:     by_value
      - .offset:         168
        .size:           4
        .value_kind:     by_value
      - .offset:         172
        .size:           4
        .value_kind:     by_value
      - .offset:         176
        .size:           4
        .value_kind:     by_value
      - .address_space:  global
        .offset:         184
        .size:           8
        .value_kind:     global_buffer
      - .address_space:  global
        .offset:         192
        .size:           8
        .value_kind:     global_buffer
      - .offset:         200
        .size:           4
        .value_kind:     hidden_block_count_x
      - .offset:         204
        .size:           4
        .value_kind:     hidden_block_count_y
      - .offset:         208
        .size:           4
        .value_kind:     hidden_block_count_z
      - .offset:         212
        .size:           2
        .value_kind:     hidden_group_size_x
      - .offset:         214
        .size:           2
        .value_kind:     hidden_group_size_y
      - .offset:         216
        .size:           2
        .value_kind:     hidden_group_size_z
      - .offset:         218
        .size:           2
        .value_kind:     hidden_remainder_x
      - .offset:         220
        .size:           2
        .value_kind:     hidden_remainder_y
      - .offset:         222
        .size:           2
        .value_kind:     hidden_remainder_z
      - .offset:         240
        .size:           8
        .value_kind:     hidden_global_offset_x
      - .offset:         248
        .size:           8
        .value_kind:     hidden_global_offset_y
      - .offset:         256
        .size:           8
        .value_kind:     hidden_global_offset_z
      - .offset:         264
        .size:           2
        .value_kind:     hidden_grid_dims
    .group_segment_fixed_size: 0
    .kernarg_segment_align: 8
    .kernarg_segment_size: 456
    .language:       OpenCL C
    .language_version:
      - 2
      - 0
    .max_flat_workgroup_size: 1024
    .name:           _ZL19k_bin_bcast_unravelIXadL_ZL6op_mulffEE6__halffS0_JPKfS2_EEvPKT0_PKT1_PT2_15HIP_vector_typeIjLj3EESC_SC_jSC_SC_SC_SC_SC_SC_iiiiiiiiiiiDpT3_
    .private_segment_fixed_size: 0
    .sgpr_count:     29
    .sgpr_spill_count: 0
    .symbol:         _ZL19k_bin_bcast_unravelIXadL_ZL6op_mulffEE6__halffS0_JPKfS2_EEvPKT0_PKT1_PT2_15HIP_vector_typeIjLj3EESC_SC_jSC_SC_SC_SC_SC_SC_iiiiiiiiiiiDpT3_.kd
    .uniform_work_group_size: 1
    .uses_dynamic_stack: false
    .vgpr_count:     12
    .vgpr_spill_count: 0
    .wavefront_size: 32
  - .args:
      - .address_space:  global
        .offset:         0
        .size:           8
        .value_kind:     global_buffer
      - .address_space:  global
        .offset:         8
        .size:           8
        .value_kind:     global_buffer
      - .address_space:  global
        .offset:         16
        .size:           8
        .value_kind:     global_buffer
      - .offset:         24
        .size:           4
        .value_kind:     by_value
      - .offset:         28
        .size:           4
        .value_kind:     by_value
      - .offset:         32
        .size:           4
        .value_kind:     by_value
      - .offset:         36
        .size:           12
        .value_kind:     by_value
      - .offset:         48
        .size:           12
        .value_kind:     by_value
      - .offset:         60
        .size:           12
        .value_kind:     by_value
      - .offset:         72
        .size:           12
        .value_kind:     by_value
      - .offset:         84
        .size:           12
        .value_kind:     by_value
      - .offset:         96
        .size:           4
        .value_kind:     by_value
      - .offset:         100
        .size:           4
        .value_kind:     by_value
      - .offset:         104
        .size:           4
        .value_kind:     by_value
      - .offset:         108
        .size:           4
        .value_kind:     by_value
      - .offset:         112
        .size:           4
        .value_kind:     by_value
      - .offset:         116
        .size:           4
        .value_kind:     by_value
      - .offset:         120
        .size:           4
        .value_kind:     by_value
      - .offset:         124
        .size:           4
        .value_kind:     by_value
      - .offset:         128
        .size:           4
        .value_kind:     by_value
      - .offset:         132
        .size:           4
        .value_kind:     by_value
      - .offset:         136
        .size:           4
        .value_kind:     by_value
      - .address_space:  global
        .offset:         144
        .size:           8
        .value_kind:     global_buffer
      - .address_space:  global
        .offset:         152
        .size:           8
        .value_kind:     global_buffer
      - .offset:         160
        .size:           4
        .value_kind:     hidden_block_count_x
      - .offset:         164
        .size:           4
        .value_kind:     hidden_block_count_y
      - .offset:         168
        .size:           4
        .value_kind:     hidden_block_count_z
      - .offset:         172
        .size:           2
        .value_kind:     hidden_group_size_x
      - .offset:         174
        .size:           2
        .value_kind:     hidden_group_size_y
      - .offset:         176
        .size:           2
        .value_kind:     hidden_group_size_z
      - .offset:         178
        .size:           2
        .value_kind:     hidden_remainder_x
      - .offset:         180
        .size:           2
        .value_kind:     hidden_remainder_y
      - .offset:         182
        .size:           2
        .value_kind:     hidden_remainder_z
      - .offset:         200
        .size:           8
        .value_kind:     hidden_global_offset_x
      - .offset:         208
        .size:           8
        .value_kind:     hidden_global_offset_y
      - .offset:         216
        .size:           8
        .value_kind:     hidden_global_offset_z
      - .offset:         224
        .size:           2
        .value_kind:     hidden_grid_dims
    .group_segment_fixed_size: 0
    .kernarg_segment_align: 8
    .kernarg_segment_size: 416
    .language:       OpenCL C
    .language_version:
      - 2
      - 0
    .max_flat_workgroup_size: 1024
    .name:           _ZL11k_bin_bcastIXadL_ZL6op_mulffEE6__halffS0_JPKfS2_EEvPKT0_PKT1_PT2_iii15HIP_vector_typeIjLj3EESC_SC_SC_SC_iiiiiiiiiiiDpT3_
    .private_segment_fixed_size: 0
    .sgpr_count:     41
    .sgpr_spill_count: 0
    .symbol:         _ZL11k_bin_bcastIXadL_ZL6op_mulffEE6__halffS0_JPKfS2_EEvPKT0_PKT1_PT2_iii15HIP_vector_typeIjLj3EESC_SC_SC_SC_iiiiiiiiiiiDpT3_.kd
    .uniform_work_group_size: 1
    .uses_dynamic_stack: false
    .vgpr_count:     16
    .vgpr_spill_count: 0
    .wavefront_size: 32
  - .args:
      - .address_space:  global
        .offset:         0
        .size:           8
        .value_kind:     global_buffer
      - .address_space:  global
        .offset:         8
        .size:           8
        .value_kind:     global_buffer
      - .address_space:  global
        .offset:         16
        .size:           8
        .value_kind:     global_buffer
      - .offset:         24
        .size:           12
        .value_kind:     by_value
      - .offset:         36
        .size:           12
        .value_kind:     by_value
      - .offset:         48
        .size:           12
        .value_kind:     by_value
      - .offset:         60
        .size:           4
        .value_kind:     by_value
      - .offset:         64
        .size:           12
        .value_kind:     by_value
      - .offset:         76
        .size:           12
        .value_kind:     by_value
      - .offset:         88
        .size:           12
        .value_kind:     by_value
      - .offset:         100
        .size:           12
        .value_kind:     by_value
      - .offset:         112
        .size:           12
        .value_kind:     by_value
      - .offset:         124
        .size:           12
        .value_kind:     by_value
      - .offset:         136
        .size:           4
        .value_kind:     by_value
      - .offset:         140
        .size:           4
        .value_kind:     by_value
      - .offset:         144
        .size:           4
        .value_kind:     by_value
      - .offset:         148
        .size:           4
        .value_kind:     by_value
      - .offset:         152
        .size:           4
        .value_kind:     by_value
      - .offset:         156
        .size:           4
        .value_kind:     by_value
      - .offset:         160
        .size:           4
        .value_kind:     by_value
      - .offset:         164
        .size:           4
        .value_kind:     by_value
      - .offset:         168
        .size:           4
        .value_kind:     by_value
      - .offset:         172
        .size:           4
        .value_kind:     by_value
      - .offset:         176
        .size:           4
        .value_kind:     by_value
      - .address_space:  global
        .offset:         184
        .size:           8
        .value_kind:     global_buffer
      - .address_space:  global
        .offset:         192
        .size:           8
        .value_kind:     global_buffer
      - .offset:         200
        .size:           4
        .value_kind:     hidden_block_count_x
      - .offset:         204
        .size:           4
        .value_kind:     hidden_block_count_y
      - .offset:         208
        .size:           4
        .value_kind:     hidden_block_count_z
      - .offset:         212
        .size:           2
        .value_kind:     hidden_group_size_x
      - .offset:         214
        .size:           2
        .value_kind:     hidden_group_size_y
      - .offset:         216
        .size:           2
        .value_kind:     hidden_group_size_z
      - .offset:         218
        .size:           2
        .value_kind:     hidden_remainder_x
      - .offset:         220
        .size:           2
        .value_kind:     hidden_remainder_y
      - .offset:         222
        .size:           2
        .value_kind:     hidden_remainder_z
      - .offset:         240
        .size:           8
        .value_kind:     hidden_global_offset_x
      - .offset:         248
        .size:           8
        .value_kind:     hidden_global_offset_y
      - .offset:         256
        .size:           8
        .value_kind:     hidden_global_offset_z
      - .offset:         264
        .size:           2
        .value_kind:     hidden_grid_dims
    .group_segment_fixed_size: 0
    .kernarg_segment_align: 8
    .kernarg_segment_size: 456
    .language:       OpenCL C
    .language_version:
      - 2
      - 0
    .max_flat_workgroup_size: 1024
    .name:           _ZL19k_bin_bcast_unravelIXadL_ZL6op_mulffEE6__halfffJPKfS2_EEvPKT0_PKT1_PT2_15HIP_vector_typeIjLj3EESC_SC_jSC_SC_SC_SC_SC_SC_iiiiiiiiiiiDpT3_
    .private_segment_fixed_size: 0
    .sgpr_count:     29
    .sgpr_spill_count: 0
    .symbol:         _ZL19k_bin_bcast_unravelIXadL_ZL6op_mulffEE6__halfffJPKfS2_EEvPKT0_PKT1_PT2_15HIP_vector_typeIjLj3EESC_SC_jSC_SC_SC_SC_SC_SC_iiiiiiiiiiiDpT3_.kd
    .uniform_work_group_size: 1
    .uses_dynamic_stack: false
    .vgpr_count:     12
    .vgpr_spill_count: 0
    .wavefront_size: 32
  - .args:
      - .address_space:  global
        .offset:         0
        .size:           8
        .value_kind:     global_buffer
      - .address_space:  global
        .offset:         8
        .size:           8
        .value_kind:     global_buffer
      - .address_space:  global
        .offset:         16
        .size:           8
        .value_kind:     global_buffer
      - .offset:         24
        .size:           4
        .value_kind:     by_value
      - .offset:         28
        .size:           4
        .value_kind:     by_value
      - .offset:         32
        .size:           4
        .value_kind:     by_value
      - .offset:         36
        .size:           12
        .value_kind:     by_value
      - .offset:         48
        .size:           12
        .value_kind:     by_value
      - .offset:         60
        .size:           12
        .value_kind:     by_value
      - .offset:         72
        .size:           12
        .value_kind:     by_value
      - .offset:         84
        .size:           12
        .value_kind:     by_value
      - .offset:         96
        .size:           4
        .value_kind:     by_value
      - .offset:         100
        .size:           4
        .value_kind:     by_value
      - .offset:         104
        .size:           4
        .value_kind:     by_value
      - .offset:         108
        .size:           4
        .value_kind:     by_value
      - .offset:         112
        .size:           4
        .value_kind:     by_value
      - .offset:         116
        .size:           4
        .value_kind:     by_value
      - .offset:         120
        .size:           4
        .value_kind:     by_value
      - .offset:         124
        .size:           4
        .value_kind:     by_value
      - .offset:         128
        .size:           4
        .value_kind:     by_value
      - .offset:         132
        .size:           4
        .value_kind:     by_value
      - .offset:         136
        .size:           4
        .value_kind:     by_value
      - .address_space:  global
        .offset:         144
        .size:           8
        .value_kind:     global_buffer
      - .address_space:  global
        .offset:         152
        .size:           8
        .value_kind:     global_buffer
      - .offset:         160
        .size:           4
        .value_kind:     hidden_block_count_x
      - .offset:         164
        .size:           4
        .value_kind:     hidden_block_count_y
      - .offset:         168
        .size:           4
        .value_kind:     hidden_block_count_z
      - .offset:         172
        .size:           2
        .value_kind:     hidden_group_size_x
      - .offset:         174
        .size:           2
        .value_kind:     hidden_group_size_y
      - .offset:         176
        .size:           2
        .value_kind:     hidden_group_size_z
      - .offset:         178
        .size:           2
        .value_kind:     hidden_remainder_x
      - .offset:         180
        .size:           2
        .value_kind:     hidden_remainder_y
      - .offset:         182
        .size:           2
        .value_kind:     hidden_remainder_z
      - .offset:         200
        .size:           8
        .value_kind:     hidden_global_offset_x
      - .offset:         208
        .size:           8
        .value_kind:     hidden_global_offset_y
      - .offset:         216
        .size:           8
        .value_kind:     hidden_global_offset_z
      - .offset:         224
        .size:           2
        .value_kind:     hidden_grid_dims
    .group_segment_fixed_size: 0
    .kernarg_segment_align: 8
    .kernarg_segment_size: 416
    .language:       OpenCL C
    .language_version:
      - 2
      - 0
    .max_flat_workgroup_size: 1024
    .name:           _ZL11k_bin_bcastIXadL_ZL6op_mulffEE6__halfffJPKfS2_EEvPKT0_PKT1_PT2_iii15HIP_vector_typeIjLj3EESC_SC_SC_SC_iiiiiiiiiiiDpT3_
    .private_segment_fixed_size: 0
    .sgpr_count:     41
    .sgpr_spill_count: 0
    .symbol:         _ZL11k_bin_bcastIXadL_ZL6op_mulffEE6__halfffJPKfS2_EEvPKT0_PKT1_PT2_iii15HIP_vector_typeIjLj3EESC_SC_SC_SC_iiiiiiiiiiiDpT3_.kd
    .uniform_work_group_size: 1
    .uses_dynamic_stack: false
    .vgpr_count:     16
    .vgpr_spill_count: 0
    .wavefront_size: 32
  - .args:
      - .address_space:  global
        .offset:         0
        .size:           8
        .value_kind:     global_buffer
      - .address_space:  global
        .offset:         8
        .size:           8
        .value_kind:     global_buffer
      - .address_space:  global
        .offset:         16
        .size:           8
        .value_kind:     global_buffer
      - .offset:         24
        .size:           12
        .value_kind:     by_value
      - .offset:         36
        .size:           12
        .value_kind:     by_value
      - .offset:         48
        .size:           12
        .value_kind:     by_value
      - .offset:         60
        .size:           4
        .value_kind:     by_value
      - .offset:         64
        .size:           12
        .value_kind:     by_value
      - .offset:         76
        .size:           12
        .value_kind:     by_value
      - .offset:         88
        .size:           12
        .value_kind:     by_value
      - .offset:         100
        .size:           12
        .value_kind:     by_value
      - .offset:         112
        .size:           12
        .value_kind:     by_value
      - .offset:         124
        .size:           12
        .value_kind:     by_value
      - .offset:         136
        .size:           4
        .value_kind:     by_value
      - .offset:         140
        .size:           4
        .value_kind:     by_value
      - .offset:         144
        .size:           4
        .value_kind:     by_value
      - .offset:         148
        .size:           4
        .value_kind:     by_value
      - .offset:         152
        .size:           4
        .value_kind:     by_value
      - .offset:         156
        .size:           4
        .value_kind:     by_value
      - .offset:         160
        .size:           4
        .value_kind:     by_value
      - .offset:         164
        .size:           4
        .value_kind:     by_value
      - .offset:         168
        .size:           4
        .value_kind:     by_value
      - .offset:         172
        .size:           4
        .value_kind:     by_value
      - .offset:         176
        .size:           4
        .value_kind:     by_value
      - .address_space:  global
        .offset:         184
        .size:           8
        .value_kind:     global_buffer
      - .address_space:  global
        .offset:         192
        .size:           8
        .value_kind:     global_buffer
      - .address_space:  global
        .offset:         200
        .size:           8
        .value_kind:     global_buffer
      - .offset:         208
        .size:           4
        .value_kind:     hidden_block_count_x
      - .offset:         212
        .size:           4
        .value_kind:     hidden_block_count_y
      - .offset:         216
        .size:           4
        .value_kind:     hidden_block_count_z
      - .offset:         220
        .size:           2
        .value_kind:     hidden_group_size_x
      - .offset:         222
        .size:           2
        .value_kind:     hidden_group_size_y
      - .offset:         224
        .size:           2
        .value_kind:     hidden_group_size_z
      - .offset:         226
        .size:           2
        .value_kind:     hidden_remainder_x
      - .offset:         228
        .size:           2
        .value_kind:     hidden_remainder_y
      - .offset:         230
        .size:           2
        .value_kind:     hidden_remainder_z
      - .offset:         248
        .size:           8
        .value_kind:     hidden_global_offset_x
      - .offset:         256
        .size:           8
        .value_kind:     hidden_global_offset_y
      - .offset:         264
        .size:           8
        .value_kind:     hidden_global_offset_z
      - .offset:         272
        .size:           2
        .value_kind:     hidden_grid_dims
    .group_segment_fixed_size: 0
    .kernarg_segment_align: 8
    .kernarg_segment_size: 464
    .language:       OpenCL C
    .language_version:
      - 2
      - 0
    .max_flat_workgroup_size: 1024
    .name:           _ZL19k_bin_bcast_unravelIXadL_ZL6op_mulffEEfffJPKfS1_S1_EEvPKT0_PKT1_PT2_15HIP_vector_typeIjLj3EESB_SB_jSB_SB_SB_SB_SB_SB_iiiiiiiiiiiDpT3_
    .private_segment_fixed_size: 0
    .sgpr_count:     29
    .sgpr_spill_count: 0
    .symbol:         _ZL19k_bin_bcast_unravelIXadL_ZL6op_mulffEEfffJPKfS1_S1_EEvPKT0_PKT1_PT2_15HIP_vector_typeIjLj3EESB_SB_jSB_SB_SB_SB_SB_SB_iiiiiiiiiiiDpT3_.kd
    .uniform_work_group_size: 1
    .uses_dynamic_stack: false
    .vgpr_count:     13
    .vgpr_spill_count: 0
    .wavefront_size: 32
  - .args:
      - .address_space:  global
        .offset:         0
        .size:           8
        .value_kind:     global_buffer
      - .address_space:  global
        .offset:         8
        .size:           8
        .value_kind:     global_buffer
      - .address_space:  global
        .offset:         16
        .size:           8
        .value_kind:     global_buffer
      - .offset:         24
        .size:           4
        .value_kind:     by_value
      - .offset:         28
        .size:           4
        .value_kind:     by_value
      - .offset:         32
        .size:           4
        .value_kind:     by_value
      - .offset:         36
        .size:           12
        .value_kind:     by_value
      - .offset:         48
        .size:           12
        .value_kind:     by_value
      - .offset:         60
        .size:           12
        .value_kind:     by_value
      - .offset:         72
        .size:           12
        .value_kind:     by_value
      - .offset:         84
        .size:           12
        .value_kind:     by_value
      - .offset:         96
        .size:           4
        .value_kind:     by_value
      - .offset:         100
        .size:           4
        .value_kind:     by_value
      - .offset:         104
        .size:           4
        .value_kind:     by_value
      - .offset:         108
        .size:           4
        .value_kind:     by_value
      - .offset:         112
        .size:           4
        .value_kind:     by_value
      - .offset:         116
        .size:           4
        .value_kind:     by_value
      - .offset:         120
        .size:           4
        .value_kind:     by_value
      - .offset:         124
        .size:           4
        .value_kind:     by_value
      - .offset:         128
        .size:           4
        .value_kind:     by_value
      - .offset:         132
        .size:           4
        .value_kind:     by_value
      - .offset:         136
        .size:           4
        .value_kind:     by_value
      - .address_space:  global
        .offset:         144
        .size:           8
        .value_kind:     global_buffer
      - .address_space:  global
        .offset:         152
        .size:           8
        .value_kind:     global_buffer
      - .address_space:  global
        .offset:         160
        .size:           8
        .value_kind:     global_buffer
      - .offset:         168
        .size:           4
        .value_kind:     hidden_block_count_x
      - .offset:         172
        .size:           4
        .value_kind:     hidden_block_count_y
      - .offset:         176
        .size:           4
        .value_kind:     hidden_block_count_z
      - .offset:         180
        .size:           2
        .value_kind:     hidden_group_size_x
      - .offset:         182
        .size:           2
        .value_kind:     hidden_group_size_y
      - .offset:         184
        .size:           2
        .value_kind:     hidden_group_size_z
      - .offset:         186
        .size:           2
        .value_kind:     hidden_remainder_x
      - .offset:         188
        .size:           2
        .value_kind:     hidden_remainder_y
      - .offset:         190
        .size:           2
        .value_kind:     hidden_remainder_z
      - .offset:         208
        .size:           8
        .value_kind:     hidden_global_offset_x
      - .offset:         216
        .size:           8
        .value_kind:     hidden_global_offset_y
      - .offset:         224
        .size:           8
        .value_kind:     hidden_global_offset_z
      - .offset:         232
        .size:           2
        .value_kind:     hidden_grid_dims
    .group_segment_fixed_size: 0
    .kernarg_segment_align: 8
    .kernarg_segment_size: 424
    .language:       OpenCL C
    .language_version:
      - 2
      - 0
    .max_flat_workgroup_size: 1024
    .name:           _ZL11k_bin_bcastIXadL_ZL6op_mulffEEfffJPKfS1_S1_EEvPKT0_PKT1_PT2_iii15HIP_vector_typeIjLj3EESB_SB_SB_SB_iiiiiiiiiiiDpT3_
    .private_segment_fixed_size: 0
    .sgpr_count:     41
    .sgpr_spill_count: 0
    .symbol:         _ZL11k_bin_bcastIXadL_ZL6op_mulffEEfffJPKfS1_S1_EEvPKT0_PKT1_PT2_iii15HIP_vector_typeIjLj3EESB_SB_SB_SB_iiiiiiiiiiiDpT3_.kd
    .uniform_work_group_size: 1
    .uses_dynamic_stack: false
    .vgpr_count:     17
    .vgpr_spill_count: 0
    .wavefront_size: 32
  - .args:
      - .address_space:  global
        .offset:         0
        .size:           8
        .value_kind:     global_buffer
      - .address_space:  global
        .offset:         8
        .size:           8
        .value_kind:     global_buffer
      - .address_space:  global
        .offset:         16
        .size:           8
        .value_kind:     global_buffer
      - .offset:         24
        .size:           12
        .value_kind:     by_value
      - .offset:         36
        .size:           12
        .value_kind:     by_value
      - .offset:         48
        .size:           12
        .value_kind:     by_value
      - .offset:         60
        .size:           4
        .value_kind:     by_value
      - .offset:         64
        .size:           12
        .value_kind:     by_value
      - .offset:         76
        .size:           12
        .value_kind:     by_value
      - .offset:         88
        .size:           12
        .value_kind:     by_value
      - .offset:         100
        .size:           12
        .value_kind:     by_value
      - .offset:         112
        .size:           12
        .value_kind:     by_value
      - .offset:         124
        .size:           12
        .value_kind:     by_value
      - .offset:         136
        .size:           4
        .value_kind:     by_value
      - .offset:         140
        .size:           4
        .value_kind:     by_value
      - .offset:         144
        .size:           4
        .value_kind:     by_value
      - .offset:         148
        .size:           4
        .value_kind:     by_value
      - .offset:         152
        .size:           4
        .value_kind:     by_value
      - .offset:         156
        .size:           4
        .value_kind:     by_value
      - .offset:         160
        .size:           4
        .value_kind:     by_value
      - .offset:         164
        .size:           4
        .value_kind:     by_value
      - .offset:         168
        .size:           4
        .value_kind:     by_value
      - .offset:         172
        .size:           4
        .value_kind:     by_value
      - .offset:         176
        .size:           4
        .value_kind:     by_value
      - .address_space:  global
        .offset:         184
        .size:           8
        .value_kind:     global_buffer
      - .address_space:  global
        .offset:         192
        .size:           8
        .value_kind:     global_buffer
      - .address_space:  global
        .offset:         200
        .size:           8
        .value_kind:     global_buffer
      - .offset:         208
        .size:           4
        .value_kind:     hidden_block_count_x
      - .offset:         212
        .size:           4
        .value_kind:     hidden_block_count_y
      - .offset:         216
        .size:           4
        .value_kind:     hidden_block_count_z
      - .offset:         220
        .size:           2
        .value_kind:     hidden_group_size_x
      - .offset:         222
        .size:           2
        .value_kind:     hidden_group_size_y
      - .offset:         224
        .size:           2
        .value_kind:     hidden_group_size_z
      - .offset:         226
        .size:           2
        .value_kind:     hidden_remainder_x
      - .offset:         228
        .size:           2
        .value_kind:     hidden_remainder_y
      - .offset:         230
        .size:           2
        .value_kind:     hidden_remainder_z
      - .offset:         248
        .size:           8
        .value_kind:     hidden_global_offset_x
      - .offset:         256
        .size:           8
        .value_kind:     hidden_global_offset_y
      - .offset:         264
        .size:           8
        .value_kind:     hidden_global_offset_z
      - .offset:         272
        .size:           2
        .value_kind:     hidden_grid_dims
    .group_segment_fixed_size: 0
    .kernarg_segment_align: 8
    .kernarg_segment_size: 464
    .language:       OpenCL C
    .language_version:
      - 2
      - 0
    .max_flat_workgroup_size: 1024
    .name:           _ZL19k_bin_bcast_unravelIXadL_ZL6op_mulffEE6__halfS0_S0_JPKS0_S2_S2_EEvPKT0_PKT1_PT2_15HIP_vector_typeIjLj3EESC_SC_jSC_SC_SC_SC_SC_SC_iiiiiiiiiiiDpT3_
    .private_segment_fixed_size: 0
    .sgpr_count:     29
    .sgpr_spill_count: 0
    .symbol:         _ZL19k_bin_bcast_unravelIXadL_ZL6op_mulffEE6__halfS0_S0_JPKS0_S2_S2_EEvPKT0_PKT1_PT2_15HIP_vector_typeIjLj3EESC_SC_jSC_SC_SC_SC_SC_SC_iiiiiiiiiiiDpT3_.kd
    .uniform_work_group_size: 1
    .uses_dynamic_stack: false
    .vgpr_count:     14
    .vgpr_spill_count: 0
    .wavefront_size: 32
  - .args:
      - .address_space:  global
        .offset:         0
        .size:           8
        .value_kind:     global_buffer
      - .address_space:  global
        .offset:         8
        .size:           8
        .value_kind:     global_buffer
      - .address_space:  global
        .offset:         16
        .size:           8
        .value_kind:     global_buffer
      - .offset:         24
        .size:           4
        .value_kind:     by_value
      - .offset:         28
        .size:           4
        .value_kind:     by_value
      - .offset:         32
        .size:           4
        .value_kind:     by_value
      - .offset:         36
        .size:           12
        .value_kind:     by_value
      - .offset:         48
        .size:           12
        .value_kind:     by_value
      - .offset:         60
        .size:           12
        .value_kind:     by_value
      - .offset:         72
        .size:           12
        .value_kind:     by_value
      - .offset:         84
        .size:           12
        .value_kind:     by_value
      - .offset:         96
        .size:           4
        .value_kind:     by_value
      - .offset:         100
        .size:           4
        .value_kind:     by_value
      - .offset:         104
        .size:           4
        .value_kind:     by_value
      - .offset:         108
        .size:           4
        .value_kind:     by_value
      - .offset:         112
        .size:           4
        .value_kind:     by_value
      - .offset:         116
        .size:           4
        .value_kind:     by_value
      - .offset:         120
        .size:           4
        .value_kind:     by_value
      - .offset:         124
        .size:           4
        .value_kind:     by_value
      - .offset:         128
        .size:           4
        .value_kind:     by_value
      - .offset:         132
        .size:           4
        .value_kind:     by_value
      - .offset:         136
        .size:           4
        .value_kind:     by_value
      - .address_space:  global
        .offset:         144
        .size:           8
        .value_kind:     global_buffer
      - .address_space:  global
        .offset:         152
        .size:           8
        .value_kind:     global_buffer
      - .address_space:  global
        .offset:         160
        .size:           8
        .value_kind:     global_buffer
      - .offset:         168
        .size:           4
        .value_kind:     hidden_block_count_x
      - .offset:         172
        .size:           4
        .value_kind:     hidden_block_count_y
      - .offset:         176
        .size:           4
        .value_kind:     hidden_block_count_z
      - .offset:         180
        .size:           2
        .value_kind:     hidden_group_size_x
      - .offset:         182
        .size:           2
        .value_kind:     hidden_group_size_y
      - .offset:         184
        .size:           2
        .value_kind:     hidden_group_size_z
      - .offset:         186
        .size:           2
        .value_kind:     hidden_remainder_x
      - .offset:         188
        .size:           2
        .value_kind:     hidden_remainder_y
      - .offset:         190
        .size:           2
        .value_kind:     hidden_remainder_z
      - .offset:         208
        .size:           8
        .value_kind:     hidden_global_offset_x
      - .offset:         216
        .size:           8
        .value_kind:     hidden_global_offset_y
      - .offset:         224
        .size:           8
        .value_kind:     hidden_global_offset_z
      - .offset:         232
        .size:           2
        .value_kind:     hidden_grid_dims
    .group_segment_fixed_size: 0
    .kernarg_segment_align: 8
    .kernarg_segment_size: 424
    .language:       OpenCL C
    .language_version:
      - 2
      - 0
    .max_flat_workgroup_size: 1024
    .name:           _ZL11k_bin_bcastIXadL_ZL6op_mulffEE6__halfS0_S0_JPKS0_S2_S2_EEvPKT0_PKT1_PT2_iii15HIP_vector_typeIjLj3EESC_SC_SC_SC_iiiiiiiiiiiDpT3_
    .private_segment_fixed_size: 0
    .sgpr_count:     41
    .sgpr_spill_count: 0
    .symbol:         _ZL11k_bin_bcastIXadL_ZL6op_mulffEE6__halfS0_S0_JPKS0_S2_S2_EEvPKT0_PKT1_PT2_iii15HIP_vector_typeIjLj3EESC_SC_SC_SC_iiiiiiiiiiiDpT3_.kd
    .uniform_work_group_size: 1
    .uses_dynamic_stack: false
    .vgpr_count:     18
    .vgpr_spill_count: 0
    .wavefront_size: 32
  - .args:
      - .address_space:  global
        .offset:         0
        .size:           8
        .value_kind:     global_buffer
      - .address_space:  global
        .offset:         8
        .size:           8
        .value_kind:     global_buffer
      - .address_space:  global
        .offset:         16
        .size:           8
        .value_kind:     global_buffer
      - .offset:         24
        .size:           12
        .value_kind:     by_value
      - .offset:         36
        .size:           12
        .value_kind:     by_value
      - .offset:         48
        .size:           12
        .value_kind:     by_value
      - .offset:         60
        .size:           4
        .value_kind:     by_value
      - .offset:         64
        .size:           12
        .value_kind:     by_value
      - .offset:         76
        .size:           12
        .value_kind:     by_value
      - .offset:         88
        .size:           12
        .value_kind:     by_value
      - .offset:         100
        .size:           12
        .value_kind:     by_value
      - .offset:         112
        .size:           12
        .value_kind:     by_value
      - .offset:         124
        .size:           12
        .value_kind:     by_value
      - .offset:         136
        .size:           4
        .value_kind:     by_value
      - .offset:         140
        .size:           4
        .value_kind:     by_value
      - .offset:         144
        .size:           4
        .value_kind:     by_value
      - .offset:         148
        .size:           4
        .value_kind:     by_value
      - .offset:         152
        .size:           4
        .value_kind:     by_value
      - .offset:         156
        .size:           4
        .value_kind:     by_value
      - .offset:         160
        .size:           4
        .value_kind:     by_value
      - .offset:         164
        .size:           4
        .value_kind:     by_value
      - .offset:         168
        .size:           4
        .value_kind:     by_value
      - .offset:         172
        .size:           4
        .value_kind:     by_value
      - .offset:         176
        .size:           4
        .value_kind:     by_value
      - .address_space:  global
        .offset:         184
        .size:           8
        .value_kind:     global_buffer
      - .address_space:  global
        .offset:         192
        .size:           8
        .value_kind:     global_buffer
      - .address_space:  global
        .offset:         200
        .size:           8
        .value_kind:     global_buffer
      - .offset:         208
        .size:           4
        .value_kind:     hidden_block_count_x
      - .offset:         212
        .size:           4
        .value_kind:     hidden_block_count_y
      - .offset:         216
        .size:           4
        .value_kind:     hidden_block_count_z
      - .offset:         220
        .size:           2
        .value_kind:     hidden_group_size_x
      - .offset:         222
        .size:           2
        .value_kind:     hidden_group_size_y
      - .offset:         224
        .size:           2
        .value_kind:     hidden_group_size_z
      - .offset:         226
        .size:           2
        .value_kind:     hidden_remainder_x
      - .offset:         228
        .size:           2
        .value_kind:     hidden_remainder_y
      - .offset:         230
        .size:           2
        .value_kind:     hidden_remainder_z
      - .offset:         248
        .size:           8
        .value_kind:     hidden_global_offset_x
      - .offset:         256
        .size:           8
        .value_kind:     hidden_global_offset_y
      - .offset:         264
        .size:           8
        .value_kind:     hidden_global_offset_z
      - .offset:         272
        .size:           2
        .value_kind:     hidden_grid_dims
    .group_segment_fixed_size: 0
    .kernarg_segment_align: 8
    .kernarg_segment_size: 464
    .language:       OpenCL C
    .language_version:
      - 2
      - 0
    .max_flat_workgroup_size: 1024
    .name:           _ZL19k_bin_bcast_unravelIXadL_ZL6op_mulffEE6__halffS0_JPKfS2_S2_EEvPKT0_PKT1_PT2_15HIP_vector_typeIjLj3EESC_SC_jSC_SC_SC_SC_SC_SC_iiiiiiiiiiiDpT3_
    .private_segment_fixed_size: 0
    .sgpr_count:     29
    .sgpr_spill_count: 0
    .symbol:         _ZL19k_bin_bcast_unravelIXadL_ZL6op_mulffEE6__halffS0_JPKfS2_S2_EEvPKT0_PKT1_PT2_15HIP_vector_typeIjLj3EESC_SC_jSC_SC_SC_SC_SC_SC_iiiiiiiiiiiDpT3_.kd
    .uniform_work_group_size: 1
    .uses_dynamic_stack: false
    .vgpr_count:     13
    .vgpr_spill_count: 0
    .wavefront_size: 32
  - .args:
      - .address_space:  global
        .offset:         0
        .size:           8
        .value_kind:     global_buffer
      - .address_space:  global
        .offset:         8
        .size:           8
        .value_kind:     global_buffer
      - .address_space:  global
        .offset:         16
        .size:           8
        .value_kind:     global_buffer
      - .offset:         24
        .size:           4
        .value_kind:     by_value
      - .offset:         28
        .size:           4
        .value_kind:     by_value
      - .offset:         32
        .size:           4
        .value_kind:     by_value
      - .offset:         36
        .size:           12
        .value_kind:     by_value
      - .offset:         48
        .size:           12
        .value_kind:     by_value
      - .offset:         60
        .size:           12
        .value_kind:     by_value
      - .offset:         72
        .size:           12
        .value_kind:     by_value
      - .offset:         84
        .size:           12
        .value_kind:     by_value
      - .offset:         96
        .size:           4
        .value_kind:     by_value
      - .offset:         100
        .size:           4
        .value_kind:     by_value
      - .offset:         104
        .size:           4
        .value_kind:     by_value
      - .offset:         108
        .size:           4
        .value_kind:     by_value
      - .offset:         112
        .size:           4
        .value_kind:     by_value
      - .offset:         116
        .size:           4
        .value_kind:     by_value
      - .offset:         120
        .size:           4
        .value_kind:     by_value
      - .offset:         124
        .size:           4
        .value_kind:     by_value
      - .offset:         128
        .size:           4
        .value_kind:     by_value
      - .offset:         132
        .size:           4
        .value_kind:     by_value
      - .offset:         136
        .size:           4
        .value_kind:     by_value
      - .address_space:  global
        .offset:         144
        .size:           8
        .value_kind:     global_buffer
      - .address_space:  global
        .offset:         152
        .size:           8
        .value_kind:     global_buffer
      - .address_space:  global
        .offset:         160
        .size:           8
        .value_kind:     global_buffer
      - .offset:         168
        .size:           4
        .value_kind:     hidden_block_count_x
      - .offset:         172
        .size:           4
        .value_kind:     hidden_block_count_y
      - .offset:         176
        .size:           4
        .value_kind:     hidden_block_count_z
      - .offset:         180
        .size:           2
        .value_kind:     hidden_group_size_x
      - .offset:         182
        .size:           2
        .value_kind:     hidden_group_size_y
      - .offset:         184
        .size:           2
        .value_kind:     hidden_group_size_z
      - .offset:         186
        .size:           2
        .value_kind:     hidden_remainder_x
      - .offset:         188
        .size:           2
        .value_kind:     hidden_remainder_y
      - .offset:         190
        .size:           2
        .value_kind:     hidden_remainder_z
      - .offset:         208
        .size:           8
        .value_kind:     hidden_global_offset_x
      - .offset:         216
        .size:           8
        .value_kind:     hidden_global_offset_y
      - .offset:         224
        .size:           8
        .value_kind:     hidden_global_offset_z
      - .offset:         232
        .size:           2
        .value_kind:     hidden_grid_dims
    .group_segment_fixed_size: 0
    .kernarg_segment_align: 8
    .kernarg_segment_size: 424
    .language:       OpenCL C
    .language_version:
      - 2
      - 0
    .max_flat_workgroup_size: 1024
    .name:           _ZL11k_bin_bcastIXadL_ZL6op_mulffEE6__halffS0_JPKfS2_S2_EEvPKT0_PKT1_PT2_iii15HIP_vector_typeIjLj3EESC_SC_SC_SC_iiiiiiiiiiiDpT3_
    .private_segment_fixed_size: 0
    .sgpr_count:     41
    .sgpr_spill_count: 0
    .symbol:         _ZL11k_bin_bcastIXadL_ZL6op_mulffEE6__halffS0_JPKfS2_S2_EEvPKT0_PKT1_PT2_iii15HIP_vector_typeIjLj3EESC_SC_SC_SC_iiiiiiiiiiiDpT3_.kd
    .uniform_work_group_size: 1
    .uses_dynamic_stack: false
    .vgpr_count:     17
    .vgpr_spill_count: 0
    .wavefront_size: 32
  - .args:
      - .address_space:  global
        .offset:         0
        .size:           8
        .value_kind:     global_buffer
      - .address_space:  global
        .offset:         8
        .size:           8
        .value_kind:     global_buffer
      - .address_space:  global
        .offset:         16
        .size:           8
        .value_kind:     global_buffer
      - .offset:         24
        .size:           12
        .value_kind:     by_value
      - .offset:         36
        .size:           12
        .value_kind:     by_value
      - .offset:         48
        .size:           12
        .value_kind:     by_value
      - .offset:         60
        .size:           4
        .value_kind:     by_value
      - .offset:         64
        .size:           12
        .value_kind:     by_value
      - .offset:         76
        .size:           12
        .value_kind:     by_value
      - .offset:         88
        .size:           12
        .value_kind:     by_value
      - .offset:         100
        .size:           12
        .value_kind:     by_value
      - .offset:         112
        .size:           12
        .value_kind:     by_value
      - .offset:         124
        .size:           12
        .value_kind:     by_value
      - .offset:         136
        .size:           4
        .value_kind:     by_value
      - .offset:         140
        .size:           4
        .value_kind:     by_value
      - .offset:         144
        .size:           4
        .value_kind:     by_value
      - .offset:         148
        .size:           4
        .value_kind:     by_value
      - .offset:         152
        .size:           4
        .value_kind:     by_value
      - .offset:         156
        .size:           4
        .value_kind:     by_value
      - .offset:         160
        .size:           4
        .value_kind:     by_value
      - .offset:         164
        .size:           4
        .value_kind:     by_value
      - .offset:         168
        .size:           4
        .value_kind:     by_value
      - .offset:         172
        .size:           4
        .value_kind:     by_value
      - .offset:         176
        .size:           4
        .value_kind:     by_value
      - .address_space:  global
        .offset:         184
        .size:           8
        .value_kind:     global_buffer
      - .address_space:  global
        .offset:         192
        .size:           8
        .value_kind:     global_buffer
      - .address_space:  global
        .offset:         200
        .size:           8
        .value_kind:     global_buffer
      - .offset:         208
        .size:           4
        .value_kind:     hidden_block_count_x
      - .offset:         212
        .size:           4
        .value_kind:     hidden_block_count_y
      - .offset:         216
        .size:           4
        .value_kind:     hidden_block_count_z
      - .offset:         220
        .size:           2
        .value_kind:     hidden_group_size_x
      - .offset:         222
        .size:           2
        .value_kind:     hidden_group_size_y
      - .offset:         224
        .size:           2
        .value_kind:     hidden_group_size_z
      - .offset:         226
        .size:           2
        .value_kind:     hidden_remainder_x
      - .offset:         228
        .size:           2
        .value_kind:     hidden_remainder_y
      - .offset:         230
        .size:           2
        .value_kind:     hidden_remainder_z
      - .offset:         248
        .size:           8
        .value_kind:     hidden_global_offset_x
      - .offset:         256
        .size:           8
        .value_kind:     hidden_global_offset_y
      - .offset:         264
        .size:           8
        .value_kind:     hidden_global_offset_z
      - .offset:         272
        .size:           2
        .value_kind:     hidden_grid_dims
    .group_segment_fixed_size: 0
    .kernarg_segment_align: 8
    .kernarg_segment_size: 464
    .language:       OpenCL C
    .language_version:
      - 2
      - 0
    .max_flat_workgroup_size: 1024
    .name:           _ZL19k_bin_bcast_unravelIXadL_ZL6op_mulffEE6__halfffJPKfS2_S2_EEvPKT0_PKT1_PT2_15HIP_vector_typeIjLj3EESC_SC_jSC_SC_SC_SC_SC_SC_iiiiiiiiiiiDpT3_
    .private_segment_fixed_size: 0
    .sgpr_count:     29
    .sgpr_spill_count: 0
    .symbol:         _ZL19k_bin_bcast_unravelIXadL_ZL6op_mulffEE6__halfffJPKfS2_S2_EEvPKT0_PKT1_PT2_15HIP_vector_typeIjLj3EESC_SC_jSC_SC_SC_SC_SC_SC_iiiiiiiiiiiDpT3_.kd
    .uniform_work_group_size: 1
    .uses_dynamic_stack: false
    .vgpr_count:     13
    .vgpr_spill_count: 0
    .wavefront_size: 32
  - .args:
      - .address_space:  global
        .offset:         0
        .size:           8
        .value_kind:     global_buffer
      - .address_space:  global
        .offset:         8
        .size:           8
        .value_kind:     global_buffer
      - .address_space:  global
        .offset:         16
        .size:           8
        .value_kind:     global_buffer
      - .offset:         24
        .size:           4
        .value_kind:     by_value
      - .offset:         28
        .size:           4
        .value_kind:     by_value
      - .offset:         32
        .size:           4
        .value_kind:     by_value
      - .offset:         36
        .size:           12
        .value_kind:     by_value
      - .offset:         48
        .size:           12
        .value_kind:     by_value
      - .offset:         60
        .size:           12
        .value_kind:     by_value
      - .offset:         72
        .size:           12
        .value_kind:     by_value
      - .offset:         84
        .size:           12
        .value_kind:     by_value
      - .offset:         96
        .size:           4
        .value_kind:     by_value
      - .offset:         100
        .size:           4
        .value_kind:     by_value
      - .offset:         104
        .size:           4
        .value_kind:     by_value
      - .offset:         108
        .size:           4
        .value_kind:     by_value
      - .offset:         112
        .size:           4
        .value_kind:     by_value
      - .offset:         116
        .size:           4
        .value_kind:     by_value
      - .offset:         120
        .size:           4
        .value_kind:     by_value
      - .offset:         124
        .size:           4
        .value_kind:     by_value
      - .offset:         128
        .size:           4
        .value_kind:     by_value
      - .offset:         132
        .size:           4
        .value_kind:     by_value
      - .offset:         136
        .size:           4
        .value_kind:     by_value
      - .address_space:  global
        .offset:         144
        .size:           8
        .value_kind:     global_buffer
      - .address_space:  global
        .offset:         152
        .size:           8
        .value_kind:     global_buffer
      - .address_space:  global
        .offset:         160
        .size:           8
        .value_kind:     global_buffer
      - .offset:         168
        .size:           4
        .value_kind:     hidden_block_count_x
      - .offset:         172
        .size:           4
        .value_kind:     hidden_block_count_y
      - .offset:         176
        .size:           4
        .value_kind:     hidden_block_count_z
      - .offset:         180
        .size:           2
        .value_kind:     hidden_group_size_x
      - .offset:         182
        .size:           2
        .value_kind:     hidden_group_size_y
      - .offset:         184
        .size:           2
        .value_kind:     hidden_group_size_z
      - .offset:         186
        .size:           2
        .value_kind:     hidden_remainder_x
      - .offset:         188
        .size:           2
        .value_kind:     hidden_remainder_y
      - .offset:         190
        .size:           2
        .value_kind:     hidden_remainder_z
      - .offset:         208
        .size:           8
        .value_kind:     hidden_global_offset_x
      - .offset:         216
        .size:           8
        .value_kind:     hidden_global_offset_y
      - .offset:         224
        .size:           8
        .value_kind:     hidden_global_offset_z
      - .offset:         232
        .size:           2
        .value_kind:     hidden_grid_dims
    .group_segment_fixed_size: 0
    .kernarg_segment_align: 8
    .kernarg_segment_size: 424
    .language:       OpenCL C
    .language_version:
      - 2
      - 0
    .max_flat_workgroup_size: 1024
    .name:           _ZL11k_bin_bcastIXadL_ZL6op_mulffEE6__halfffJPKfS2_S2_EEvPKT0_PKT1_PT2_iii15HIP_vector_typeIjLj3EESC_SC_SC_SC_iiiiiiiiiiiDpT3_
    .private_segment_fixed_size: 0
    .sgpr_count:     41
    .sgpr_spill_count: 0
    .symbol:         _ZL11k_bin_bcastIXadL_ZL6op_mulffEE6__halfffJPKfS2_S2_EEvPKT0_PKT1_PT2_iii15HIP_vector_typeIjLj3EESC_SC_SC_SC_iiiiiiiiiiiDpT3_.kd
    .uniform_work_group_size: 1
    .uses_dynamic_stack: false
    .vgpr_count:     17
    .vgpr_spill_count: 0
    .wavefront_size: 32
  - .args:
      - .address_space:  global
        .offset:         0
        .size:           8
        .value_kind:     global_buffer
      - .address_space:  global
        .offset:         8
        .size:           8
        .value_kind:     global_buffer
      - .address_space:  global
        .offset:         16
        .size:           8
        .value_kind:     global_buffer
      - .offset:         24
        .size:           12
        .value_kind:     by_value
      - .offset:         36
        .size:           12
        .value_kind:     by_value
      - .offset:         48
        .size:           12
        .value_kind:     by_value
      - .offset:         60
        .size:           4
        .value_kind:     by_value
      - .offset:         64
        .size:           12
        .value_kind:     by_value
      - .offset:         76
        .size:           12
        .value_kind:     by_value
      - .offset:         88
        .size:           12
        .value_kind:     by_value
      - .offset:         100
        .size:           12
        .value_kind:     by_value
      - .offset:         112
        .size:           12
        .value_kind:     by_value
      - .offset:         124
        .size:           12
        .value_kind:     by_value
      - .offset:         136
        .size:           4
        .value_kind:     by_value
      - .offset:         140
        .size:           4
        .value_kind:     by_value
      - .offset:         144
        .size:           4
        .value_kind:     by_value
      - .offset:         148
        .size:           4
        .value_kind:     by_value
      - .offset:         152
        .size:           4
        .value_kind:     by_value
      - .offset:         156
        .size:           4
        .value_kind:     by_value
      - .offset:         160
        .size:           4
        .value_kind:     by_value
      - .offset:         164
        .size:           4
        .value_kind:     by_value
      - .offset:         168
        .size:           4
        .value_kind:     by_value
      - .offset:         172
        .size:           4
        .value_kind:     by_value
      - .offset:         176
        .size:           4
        .value_kind:     by_value
      - .address_space:  global
        .offset:         184
        .size:           8
        .value_kind:     global_buffer
      - .address_space:  global
        .offset:         192
        .size:           8
        .value_kind:     global_buffer
      - .address_space:  global
        .offset:         200
        .size:           8
        .value_kind:     global_buffer
      - .address_space:  global
        .offset:         208
        .size:           8
        .value_kind:     global_buffer
      - .offset:         216
        .size:           4
        .value_kind:     hidden_block_count_x
      - .offset:         220
        .size:           4
        .value_kind:     hidden_block_count_y
      - .offset:         224
        .size:           4
        .value_kind:     hidden_block_count_z
      - .offset:         228
        .size:           2
        .value_kind:     hidden_group_size_x
      - .offset:         230
        .size:           2
        .value_kind:     hidden_group_size_y
      - .offset:         232
        .size:           2
        .value_kind:     hidden_group_size_z
      - .offset:         234
        .size:           2
        .value_kind:     hidden_remainder_x
      - .offset:         236
        .size:           2
        .value_kind:     hidden_remainder_y
      - .offset:         238
        .size:           2
        .value_kind:     hidden_remainder_z
      - .offset:         256
        .size:           8
        .value_kind:     hidden_global_offset_x
      - .offset:         264
        .size:           8
        .value_kind:     hidden_global_offset_y
      - .offset:         272
        .size:           8
        .value_kind:     hidden_global_offset_z
      - .offset:         280
        .size:           2
        .value_kind:     hidden_grid_dims
    .group_segment_fixed_size: 0
    .kernarg_segment_align: 8
    .kernarg_segment_size: 472
    .language:       OpenCL C
    .language_version:
      - 2
      - 0
    .max_flat_workgroup_size: 1024
    .name:           _ZL19k_bin_bcast_unravelIXadL_ZL6op_mulffEEfffJPKfS1_S1_S1_EEvPKT0_PKT1_PT2_15HIP_vector_typeIjLj3EESB_SB_jSB_SB_SB_SB_SB_SB_iiiiiiiiiiiDpT3_
    .private_segment_fixed_size: 0
    .sgpr_count:     29
    .sgpr_spill_count: 0
    .symbol:         _ZL19k_bin_bcast_unravelIXadL_ZL6op_mulffEEfffJPKfS1_S1_S1_EEvPKT0_PKT1_PT2_15HIP_vector_typeIjLj3EESB_SB_jSB_SB_SB_SB_SB_SB_iiiiiiiiiiiDpT3_.kd
    .uniform_work_group_size: 1
    .uses_dynamic_stack: false
    .vgpr_count:     14
    .vgpr_spill_count: 0
    .wavefront_size: 32
  - .args:
      - .address_space:  global
        .offset:         0
        .size:           8
        .value_kind:     global_buffer
      - .address_space:  global
        .offset:         8
        .size:           8
        .value_kind:     global_buffer
      - .address_space:  global
        .offset:         16
        .size:           8
        .value_kind:     global_buffer
      - .offset:         24
        .size:           4
        .value_kind:     by_value
      - .offset:         28
        .size:           4
        .value_kind:     by_value
      - .offset:         32
        .size:           4
        .value_kind:     by_value
      - .offset:         36
        .size:           12
        .value_kind:     by_value
      - .offset:         48
        .size:           12
        .value_kind:     by_value
      - .offset:         60
        .size:           12
        .value_kind:     by_value
      - .offset:         72
        .size:           12
        .value_kind:     by_value
      - .offset:         84
        .size:           12
        .value_kind:     by_value
      - .offset:         96
        .size:           4
        .value_kind:     by_value
      - .offset:         100
        .size:           4
        .value_kind:     by_value
      - .offset:         104
        .size:           4
        .value_kind:     by_value
      - .offset:         108
        .size:           4
        .value_kind:     by_value
      - .offset:         112
        .size:           4
        .value_kind:     by_value
      - .offset:         116
        .size:           4
        .value_kind:     by_value
      - .offset:         120
        .size:           4
        .value_kind:     by_value
      - .offset:         124
        .size:           4
        .value_kind:     by_value
      - .offset:         128
        .size:           4
        .value_kind:     by_value
      - .offset:         132
        .size:           4
        .value_kind:     by_value
      - .offset:         136
        .size:           4
        .value_kind:     by_value
      - .address_space:  global
        .offset:         144
        .size:           8
        .value_kind:     global_buffer
      - .address_space:  global
        .offset:         152
        .size:           8
        .value_kind:     global_buffer
      - .address_space:  global
        .offset:         160
        .size:           8
        .value_kind:     global_buffer
      - .address_space:  global
        .offset:         168
        .size:           8
        .value_kind:     global_buffer
      - .offset:         176
        .size:           4
        .value_kind:     hidden_block_count_x
      - .offset:         180
        .size:           4
        .value_kind:     hidden_block_count_y
      - .offset:         184
        .size:           4
        .value_kind:     hidden_block_count_z
      - .offset:         188
        .size:           2
        .value_kind:     hidden_group_size_x
      - .offset:         190
        .size:           2
        .value_kind:     hidden_group_size_y
      - .offset:         192
        .size:           2
        .value_kind:     hidden_group_size_z
      - .offset:         194
        .size:           2
        .value_kind:     hidden_remainder_x
      - .offset:         196
        .size:           2
        .value_kind:     hidden_remainder_y
      - .offset:         198
        .size:           2
        .value_kind:     hidden_remainder_z
      - .offset:         216
        .size:           8
        .value_kind:     hidden_global_offset_x
      - .offset:         224
        .size:           8
        .value_kind:     hidden_global_offset_y
      - .offset:         232
        .size:           8
        .value_kind:     hidden_global_offset_z
      - .offset:         240
        .size:           2
        .value_kind:     hidden_grid_dims
    .group_segment_fixed_size: 0
    .kernarg_segment_align: 8
    .kernarg_segment_size: 432
    .language:       OpenCL C
    .language_version:
      - 2
      - 0
    .max_flat_workgroup_size: 1024
    .name:           _ZL11k_bin_bcastIXadL_ZL6op_mulffEEfffJPKfS1_S1_S1_EEvPKT0_PKT1_PT2_iii15HIP_vector_typeIjLj3EESB_SB_SB_SB_iiiiiiiiiiiDpT3_
    .private_segment_fixed_size: 0
    .sgpr_count:     41
    .sgpr_spill_count: 0
    .symbol:         _ZL11k_bin_bcastIXadL_ZL6op_mulffEEfffJPKfS1_S1_S1_EEvPKT0_PKT1_PT2_iii15HIP_vector_typeIjLj3EESB_SB_SB_SB_iiiiiiiiiiiDpT3_.kd
    .uniform_work_group_size: 1
    .uses_dynamic_stack: false
    .vgpr_count:     18
    .vgpr_spill_count: 0
    .wavefront_size: 32
  - .args:
      - .address_space:  global
        .offset:         0
        .size:           8
        .value_kind:     global_buffer
      - .address_space:  global
        .offset:         8
        .size:           8
        .value_kind:     global_buffer
      - .address_space:  global
        .offset:         16
        .size:           8
        .value_kind:     global_buffer
      - .offset:         24
        .size:           12
        .value_kind:     by_value
      - .offset:         36
        .size:           12
        .value_kind:     by_value
      - .offset:         48
        .size:           12
        .value_kind:     by_value
      - .offset:         60
        .size:           4
        .value_kind:     by_value
      - .offset:         64
        .size:           12
        .value_kind:     by_value
      - .offset:         76
        .size:           12
        .value_kind:     by_value
      - .offset:         88
        .size:           12
        .value_kind:     by_value
      - .offset:         100
        .size:           12
        .value_kind:     by_value
      - .offset:         112
        .size:           12
        .value_kind:     by_value
      - .offset:         124
        .size:           12
        .value_kind:     by_value
      - .offset:         136
        .size:           4
        .value_kind:     by_value
      - .offset:         140
        .size:           4
        .value_kind:     by_value
      - .offset:         144
        .size:           4
        .value_kind:     by_value
      - .offset:         148
        .size:           4
        .value_kind:     by_value
      - .offset:         152
        .size:           4
        .value_kind:     by_value
      - .offset:         156
        .size:           4
        .value_kind:     by_value
      - .offset:         160
        .size:           4
        .value_kind:     by_value
      - .offset:         164
        .size:           4
        .value_kind:     by_value
      - .offset:         168
        .size:           4
        .value_kind:     by_value
      - .offset:         172
        .size:           4
        .value_kind:     by_value
      - .offset:         176
        .size:           4
        .value_kind:     by_value
      - .address_space:  global
        .offset:         184
        .size:           8
        .value_kind:     global_buffer
      - .address_space:  global
        .offset:         192
        .size:           8
        .value_kind:     global_buffer
      - .address_space:  global
        .offset:         200
        .size:           8
        .value_kind:     global_buffer
      - .address_space:  global
        .offset:         208
        .size:           8
        .value_kind:     global_buffer
      - .offset:         216
        .size:           4
        .value_kind:     hidden_block_count_x
      - .offset:         220
        .size:           4
        .value_kind:     hidden_block_count_y
      - .offset:         224
        .size:           4
        .value_kind:     hidden_block_count_z
      - .offset:         228
        .size:           2
        .value_kind:     hidden_group_size_x
      - .offset:         230
        .size:           2
        .value_kind:     hidden_group_size_y
      - .offset:         232
        .size:           2
        .value_kind:     hidden_group_size_z
      - .offset:         234
        .size:           2
        .value_kind:     hidden_remainder_x
      - .offset:         236
        .size:           2
        .value_kind:     hidden_remainder_y
      - .offset:         238
        .size:           2
        .value_kind:     hidden_remainder_z
      - .offset:         256
        .size:           8
        .value_kind:     hidden_global_offset_x
      - .offset:         264
        .size:           8
        .value_kind:     hidden_global_offset_y
      - .offset:         272
        .size:           8
        .value_kind:     hidden_global_offset_z
      - .offset:         280
        .size:           2
        .value_kind:     hidden_grid_dims
    .group_segment_fixed_size: 0
    .kernarg_segment_align: 8
    .kernarg_segment_size: 472
    .language:       OpenCL C
    .language_version:
      - 2
      - 0
    .max_flat_workgroup_size: 1024
    .name:           _ZL19k_bin_bcast_unravelIXadL_ZL6op_mulffEE6__halfS0_S0_JPKS0_S2_S2_S2_EEvPKT0_PKT1_PT2_15HIP_vector_typeIjLj3EESC_SC_jSC_SC_SC_SC_SC_SC_iiiiiiiiiiiDpT3_
    .private_segment_fixed_size: 0
    .sgpr_count:     29
    .sgpr_spill_count: 0
    .symbol:         _ZL19k_bin_bcast_unravelIXadL_ZL6op_mulffEE6__halfS0_S0_JPKS0_S2_S2_S2_EEvPKT0_PKT1_PT2_15HIP_vector_typeIjLj3EESC_SC_jSC_SC_SC_SC_SC_SC_iiiiiiiiiiiDpT3_.kd
    .uniform_work_group_size: 1
    .uses_dynamic_stack: false
    .vgpr_count:     15
    .vgpr_spill_count: 0
    .wavefront_size: 32
  - .args:
      - .address_space:  global
        .offset:         0
        .size:           8
        .value_kind:     global_buffer
      - .address_space:  global
        .offset:         8
        .size:           8
        .value_kind:     global_buffer
      - .address_space:  global
        .offset:         16
        .size:           8
        .value_kind:     global_buffer
      - .offset:         24
        .size:           4
        .value_kind:     by_value
      - .offset:         28
        .size:           4
        .value_kind:     by_value
      - .offset:         32
        .size:           4
        .value_kind:     by_value
      - .offset:         36
        .size:           12
        .value_kind:     by_value
      - .offset:         48
        .size:           12
        .value_kind:     by_value
      - .offset:         60
        .size:           12
        .value_kind:     by_value
      - .offset:         72
        .size:           12
        .value_kind:     by_value
      - .offset:         84
        .size:           12
        .value_kind:     by_value
      - .offset:         96
        .size:           4
        .value_kind:     by_value
      - .offset:         100
        .size:           4
        .value_kind:     by_value
      - .offset:         104
        .size:           4
        .value_kind:     by_value
      - .offset:         108
        .size:           4
        .value_kind:     by_value
      - .offset:         112
        .size:           4
        .value_kind:     by_value
      - .offset:         116
        .size:           4
        .value_kind:     by_value
      - .offset:         120
        .size:           4
        .value_kind:     by_value
      - .offset:         124
        .size:           4
        .value_kind:     by_value
      - .offset:         128
        .size:           4
        .value_kind:     by_value
      - .offset:         132
        .size:           4
        .value_kind:     by_value
      - .offset:         136
        .size:           4
        .value_kind:     by_value
      - .address_space:  global
        .offset:         144
        .size:           8
        .value_kind:     global_buffer
      - .address_space:  global
        .offset:         152
        .size:           8
        .value_kind:     global_buffer
      - .address_space:  global
        .offset:         160
        .size:           8
        .value_kind:     global_buffer
      - .address_space:  global
        .offset:         168
        .size:           8
        .value_kind:     global_buffer
      - .offset:         176
        .size:           4
        .value_kind:     hidden_block_count_x
      - .offset:         180
        .size:           4
        .value_kind:     hidden_block_count_y
      - .offset:         184
        .size:           4
        .value_kind:     hidden_block_count_z
      - .offset:         188
        .size:           2
        .value_kind:     hidden_group_size_x
      - .offset:         190
        .size:           2
        .value_kind:     hidden_group_size_y
      - .offset:         192
        .size:           2
        .value_kind:     hidden_group_size_z
      - .offset:         194
        .size:           2
        .value_kind:     hidden_remainder_x
      - .offset:         196
        .size:           2
        .value_kind:     hidden_remainder_y
      - .offset:         198
        .size:           2
        .value_kind:     hidden_remainder_z
      - .offset:         216
        .size:           8
        .value_kind:     hidden_global_offset_x
      - .offset:         224
        .size:           8
        .value_kind:     hidden_global_offset_y
      - .offset:         232
        .size:           8
        .value_kind:     hidden_global_offset_z
      - .offset:         240
        .size:           2
        .value_kind:     hidden_grid_dims
    .group_segment_fixed_size: 0
    .kernarg_segment_align: 8
    .kernarg_segment_size: 432
    .language:       OpenCL C
    .language_version:
      - 2
      - 0
    .max_flat_workgroup_size: 1024
    .name:           _ZL11k_bin_bcastIXadL_ZL6op_mulffEE6__halfS0_S0_JPKS0_S2_S2_S2_EEvPKT0_PKT1_PT2_iii15HIP_vector_typeIjLj3EESC_SC_SC_SC_iiiiiiiiiiiDpT3_
    .private_segment_fixed_size: 0
    .sgpr_count:     41
    .sgpr_spill_count: 0
    .symbol:         _ZL11k_bin_bcastIXadL_ZL6op_mulffEE6__halfS0_S0_JPKS0_S2_S2_S2_EEvPKT0_PKT1_PT2_iii15HIP_vector_typeIjLj3EESC_SC_SC_SC_iiiiiiiiiiiDpT3_.kd
    .uniform_work_group_size: 1
    .uses_dynamic_stack: false
    .vgpr_count:     19
    .vgpr_spill_count: 0
    .wavefront_size: 32
  - .args:
      - .address_space:  global
        .offset:         0
        .size:           8
        .value_kind:     global_buffer
      - .address_space:  global
        .offset:         8
        .size:           8
        .value_kind:     global_buffer
      - .address_space:  global
        .offset:         16
        .size:           8
        .value_kind:     global_buffer
      - .offset:         24
        .size:           12
        .value_kind:     by_value
      - .offset:         36
        .size:           12
        .value_kind:     by_value
      - .offset:         48
        .size:           12
        .value_kind:     by_value
      - .offset:         60
        .size:           4
        .value_kind:     by_value
      - .offset:         64
        .size:           12
        .value_kind:     by_value
      - .offset:         76
        .size:           12
        .value_kind:     by_value
      - .offset:         88
        .size:           12
        .value_kind:     by_value
      - .offset:         100
        .size:           12
        .value_kind:     by_value
      - .offset:         112
        .size:           12
        .value_kind:     by_value
      - .offset:         124
        .size:           12
        .value_kind:     by_value
      - .offset:         136
        .size:           4
        .value_kind:     by_value
      - .offset:         140
        .size:           4
        .value_kind:     by_value
      - .offset:         144
        .size:           4
        .value_kind:     by_value
      - .offset:         148
        .size:           4
        .value_kind:     by_value
      - .offset:         152
        .size:           4
        .value_kind:     by_value
      - .offset:         156
        .size:           4
        .value_kind:     by_value
      - .offset:         160
        .size:           4
        .value_kind:     by_value
      - .offset:         164
        .size:           4
        .value_kind:     by_value
      - .offset:         168
        .size:           4
        .value_kind:     by_value
      - .offset:         172
        .size:           4
        .value_kind:     by_value
      - .offset:         176
        .size:           4
        .value_kind:     by_value
      - .address_space:  global
        .offset:         184
        .size:           8
        .value_kind:     global_buffer
      - .address_space:  global
        .offset:         192
        .size:           8
        .value_kind:     global_buffer
      - .address_space:  global
        .offset:         200
        .size:           8
        .value_kind:     global_buffer
      - .address_space:  global
        .offset:         208
        .size:           8
        .value_kind:     global_buffer
      - .offset:         216
        .size:           4
        .value_kind:     hidden_block_count_x
      - .offset:         220
        .size:           4
        .value_kind:     hidden_block_count_y
      - .offset:         224
        .size:           4
        .value_kind:     hidden_block_count_z
      - .offset:         228
        .size:           2
        .value_kind:     hidden_group_size_x
      - .offset:         230
        .size:           2
        .value_kind:     hidden_group_size_y
      - .offset:         232
        .size:           2
        .value_kind:     hidden_group_size_z
      - .offset:         234
        .size:           2
        .value_kind:     hidden_remainder_x
      - .offset:         236
        .size:           2
        .value_kind:     hidden_remainder_y
      - .offset:         238
        .size:           2
        .value_kind:     hidden_remainder_z
      - .offset:         256
        .size:           8
        .value_kind:     hidden_global_offset_x
      - .offset:         264
        .size:           8
        .value_kind:     hidden_global_offset_y
      - .offset:         272
        .size:           8
        .value_kind:     hidden_global_offset_z
      - .offset:         280
        .size:           2
        .value_kind:     hidden_grid_dims
    .group_segment_fixed_size: 0
    .kernarg_segment_align: 8
    .kernarg_segment_size: 472
    .language:       OpenCL C
    .language_version:
      - 2
      - 0
    .max_flat_workgroup_size: 1024
    .name:           _ZL19k_bin_bcast_unravelIXadL_ZL6op_mulffEE6__halffS0_JPKfS2_S2_S2_EEvPKT0_PKT1_PT2_15HIP_vector_typeIjLj3EESC_SC_jSC_SC_SC_SC_SC_SC_iiiiiiiiiiiDpT3_
    .private_segment_fixed_size: 0
    .sgpr_count:     29
    .sgpr_spill_count: 0
    .symbol:         _ZL19k_bin_bcast_unravelIXadL_ZL6op_mulffEE6__halffS0_JPKfS2_S2_S2_EEvPKT0_PKT1_PT2_15HIP_vector_typeIjLj3EESC_SC_jSC_SC_SC_SC_SC_SC_iiiiiiiiiiiDpT3_.kd
    .uniform_work_group_size: 1
    .uses_dynamic_stack: false
    .vgpr_count:     14
    .vgpr_spill_count: 0
    .wavefront_size: 32
  - .args:
      - .address_space:  global
        .offset:         0
        .size:           8
        .value_kind:     global_buffer
      - .address_space:  global
        .offset:         8
        .size:           8
        .value_kind:     global_buffer
      - .address_space:  global
        .offset:         16
        .size:           8
        .value_kind:     global_buffer
      - .offset:         24
        .size:           4
        .value_kind:     by_value
      - .offset:         28
        .size:           4
        .value_kind:     by_value
      - .offset:         32
        .size:           4
        .value_kind:     by_value
      - .offset:         36
        .size:           12
        .value_kind:     by_value
      - .offset:         48
        .size:           12
        .value_kind:     by_value
      - .offset:         60
        .size:           12
        .value_kind:     by_value
      - .offset:         72
        .size:           12
        .value_kind:     by_value
      - .offset:         84
        .size:           12
        .value_kind:     by_value
      - .offset:         96
        .size:           4
        .value_kind:     by_value
      - .offset:         100
        .size:           4
        .value_kind:     by_value
      - .offset:         104
        .size:           4
        .value_kind:     by_value
      - .offset:         108
        .size:           4
        .value_kind:     by_value
      - .offset:         112
        .size:           4
        .value_kind:     by_value
      - .offset:         116
        .size:           4
        .value_kind:     by_value
      - .offset:         120
        .size:           4
        .value_kind:     by_value
      - .offset:         124
        .size:           4
        .value_kind:     by_value
      - .offset:         128
        .size:           4
        .value_kind:     by_value
      - .offset:         132
        .size:           4
        .value_kind:     by_value
      - .offset:         136
        .size:           4
        .value_kind:     by_value
      - .address_space:  global
        .offset:         144
        .size:           8
        .value_kind:     global_buffer
      - .address_space:  global
        .offset:         152
        .size:           8
        .value_kind:     global_buffer
      - .address_space:  global
        .offset:         160
        .size:           8
        .value_kind:     global_buffer
      - .address_space:  global
        .offset:         168
        .size:           8
        .value_kind:     global_buffer
      - .offset:         176
        .size:           4
        .value_kind:     hidden_block_count_x
      - .offset:         180
        .size:           4
        .value_kind:     hidden_block_count_y
      - .offset:         184
        .size:           4
        .value_kind:     hidden_block_count_z
      - .offset:         188
        .size:           2
        .value_kind:     hidden_group_size_x
      - .offset:         190
        .size:           2
        .value_kind:     hidden_group_size_y
      - .offset:         192
        .size:           2
        .value_kind:     hidden_group_size_z
      - .offset:         194
        .size:           2
        .value_kind:     hidden_remainder_x
      - .offset:         196
        .size:           2
        .value_kind:     hidden_remainder_y
      - .offset:         198
        .size:           2
        .value_kind:     hidden_remainder_z
      - .offset:         216
        .size:           8
        .value_kind:     hidden_global_offset_x
      - .offset:         224
        .size:           8
        .value_kind:     hidden_global_offset_y
      - .offset:         232
        .size:           8
        .value_kind:     hidden_global_offset_z
      - .offset:         240
        .size:           2
        .value_kind:     hidden_grid_dims
    .group_segment_fixed_size: 0
    .kernarg_segment_align: 8
    .kernarg_segment_size: 432
    .language:       OpenCL C
    .language_version:
      - 2
      - 0
    .max_flat_workgroup_size: 1024
    .name:           _ZL11k_bin_bcastIXadL_ZL6op_mulffEE6__halffS0_JPKfS2_S2_S2_EEvPKT0_PKT1_PT2_iii15HIP_vector_typeIjLj3EESC_SC_SC_SC_iiiiiiiiiiiDpT3_
    .private_segment_fixed_size: 0
    .sgpr_count:     41
    .sgpr_spill_count: 0
    .symbol:         _ZL11k_bin_bcastIXadL_ZL6op_mulffEE6__halffS0_JPKfS2_S2_S2_EEvPKT0_PKT1_PT2_iii15HIP_vector_typeIjLj3EESC_SC_SC_SC_iiiiiiiiiiiDpT3_.kd
    .uniform_work_group_size: 1
    .uses_dynamic_stack: false
    .vgpr_count:     18
    .vgpr_spill_count: 0
    .wavefront_size: 32
  - .args:
      - .address_space:  global
        .offset:         0
        .size:           8
        .value_kind:     global_buffer
      - .address_space:  global
        .offset:         8
        .size:           8
        .value_kind:     global_buffer
      - .address_space:  global
        .offset:         16
        .size:           8
        .value_kind:     global_buffer
      - .offset:         24
        .size:           12
        .value_kind:     by_value
      - .offset:         36
        .size:           12
        .value_kind:     by_value
      - .offset:         48
        .size:           12
        .value_kind:     by_value
      - .offset:         60
        .size:           4
        .value_kind:     by_value
      - .offset:         64
        .size:           12
        .value_kind:     by_value
      - .offset:         76
        .size:           12
        .value_kind:     by_value
      - .offset:         88
        .size:           12
        .value_kind:     by_value
      - .offset:         100
        .size:           12
        .value_kind:     by_value
      - .offset:         112
        .size:           12
        .value_kind:     by_value
      - .offset:         124
        .size:           12
        .value_kind:     by_value
      - .offset:         136
        .size:           4
        .value_kind:     by_value
      - .offset:         140
        .size:           4
        .value_kind:     by_value
      - .offset:         144
        .size:           4
        .value_kind:     by_value
      - .offset:         148
        .size:           4
        .value_kind:     by_value
      - .offset:         152
        .size:           4
        .value_kind:     by_value
      - .offset:         156
        .size:           4
        .value_kind:     by_value
      - .offset:         160
        .size:           4
        .value_kind:     by_value
      - .offset:         164
        .size:           4
        .value_kind:     by_value
      - .offset:         168
        .size:           4
        .value_kind:     by_value
      - .offset:         172
        .size:           4
        .value_kind:     by_value
      - .offset:         176
        .size:           4
        .value_kind:     by_value
      - .address_space:  global
        .offset:         184
        .size:           8
        .value_kind:     global_buffer
      - .address_space:  global
        .offset:         192
        .size:           8
        .value_kind:     global_buffer
      - .address_space:  global
        .offset:         200
        .size:           8
        .value_kind:     global_buffer
      - .address_space:  global
        .offset:         208
        .size:           8
        .value_kind:     global_buffer
      - .offset:         216
        .size:           4
        .value_kind:     hidden_block_count_x
      - .offset:         220
        .size:           4
        .value_kind:     hidden_block_count_y
      - .offset:         224
        .size:           4
        .value_kind:     hidden_block_count_z
      - .offset:         228
        .size:           2
        .value_kind:     hidden_group_size_x
      - .offset:         230
        .size:           2
        .value_kind:     hidden_group_size_y
      - .offset:         232
        .size:           2
        .value_kind:     hidden_group_size_z
      - .offset:         234
        .size:           2
        .value_kind:     hidden_remainder_x
      - .offset:         236
        .size:           2
        .value_kind:     hidden_remainder_y
      - .offset:         238
        .size:           2
        .value_kind:     hidden_remainder_z
      - .offset:         256
        .size:           8
        .value_kind:     hidden_global_offset_x
      - .offset:         264
        .size:           8
        .value_kind:     hidden_global_offset_y
      - .offset:         272
        .size:           8
        .value_kind:     hidden_global_offset_z
      - .offset:         280
        .size:           2
        .value_kind:     hidden_grid_dims
    .group_segment_fixed_size: 0
    .kernarg_segment_align: 8
    .kernarg_segment_size: 472
    .language:       OpenCL C
    .language_version:
      - 2
      - 0
    .max_flat_workgroup_size: 1024
    .name:           _ZL19k_bin_bcast_unravelIXadL_ZL6op_mulffEE6__halfffJPKfS2_S2_S2_EEvPKT0_PKT1_PT2_15HIP_vector_typeIjLj3EESC_SC_jSC_SC_SC_SC_SC_SC_iiiiiiiiiiiDpT3_
    .private_segment_fixed_size: 0
    .sgpr_count:     29
    .sgpr_spill_count: 0
    .symbol:         _ZL19k_bin_bcast_unravelIXadL_ZL6op_mulffEE6__halfffJPKfS2_S2_S2_EEvPKT0_PKT1_PT2_15HIP_vector_typeIjLj3EESC_SC_jSC_SC_SC_SC_SC_SC_iiiiiiiiiiiDpT3_.kd
    .uniform_work_group_size: 1
    .uses_dynamic_stack: false
    .vgpr_count:     14
    .vgpr_spill_count: 0
    .wavefront_size: 32
  - .args:
      - .address_space:  global
        .offset:         0
        .size:           8
        .value_kind:     global_buffer
      - .address_space:  global
        .offset:         8
        .size:           8
        .value_kind:     global_buffer
      - .address_space:  global
        .offset:         16
        .size:           8
        .value_kind:     global_buffer
      - .offset:         24
        .size:           4
        .value_kind:     by_value
      - .offset:         28
        .size:           4
        .value_kind:     by_value
      - .offset:         32
        .size:           4
        .value_kind:     by_value
      - .offset:         36
        .size:           12
        .value_kind:     by_value
      - .offset:         48
        .size:           12
        .value_kind:     by_value
      - .offset:         60
        .size:           12
        .value_kind:     by_value
      - .offset:         72
        .size:           12
        .value_kind:     by_value
      - .offset:         84
        .size:           12
        .value_kind:     by_value
      - .offset:         96
        .size:           4
        .value_kind:     by_value
      - .offset:         100
        .size:           4
        .value_kind:     by_value
      - .offset:         104
        .size:           4
        .value_kind:     by_value
      - .offset:         108
        .size:           4
        .value_kind:     by_value
      - .offset:         112
        .size:           4
        .value_kind:     by_value
      - .offset:         116
        .size:           4
        .value_kind:     by_value
      - .offset:         120
        .size:           4
        .value_kind:     by_value
      - .offset:         124
        .size:           4
        .value_kind:     by_value
      - .offset:         128
        .size:           4
        .value_kind:     by_value
      - .offset:         132
        .size:           4
        .value_kind:     by_value
      - .offset:         136
        .size:           4
        .value_kind:     by_value
      - .address_space:  global
        .offset:         144
        .size:           8
        .value_kind:     global_buffer
      - .address_space:  global
        .offset:         152
        .size:           8
        .value_kind:     global_buffer
      - .address_space:  global
        .offset:         160
        .size:           8
        .value_kind:     global_buffer
      - .address_space:  global
        .offset:         168
        .size:           8
        .value_kind:     global_buffer
      - .offset:         176
        .size:           4
        .value_kind:     hidden_block_count_x
      - .offset:         180
        .size:           4
        .value_kind:     hidden_block_count_y
      - .offset:         184
        .size:           4
        .value_kind:     hidden_block_count_z
      - .offset:         188
        .size:           2
        .value_kind:     hidden_group_size_x
      - .offset:         190
        .size:           2
        .value_kind:     hidden_group_size_y
      - .offset:         192
        .size:           2
        .value_kind:     hidden_group_size_z
      - .offset:         194
        .size:           2
        .value_kind:     hidden_remainder_x
      - .offset:         196
        .size:           2
        .value_kind:     hidden_remainder_y
      - .offset:         198
        .size:           2
        .value_kind:     hidden_remainder_z
      - .offset:         216
        .size:           8
        .value_kind:     hidden_global_offset_x
      - .offset:         224
        .size:           8
        .value_kind:     hidden_global_offset_y
      - .offset:         232
        .size:           8
        .value_kind:     hidden_global_offset_z
      - .offset:         240
        .size:           2
        .value_kind:     hidden_grid_dims
    .group_segment_fixed_size: 0
    .kernarg_segment_align: 8
    .kernarg_segment_size: 432
    .language:       OpenCL C
    .language_version:
      - 2
      - 0
    .max_flat_workgroup_size: 1024
    .name:           _ZL11k_bin_bcastIXadL_ZL6op_mulffEE6__halfffJPKfS2_S2_S2_EEvPKT0_PKT1_PT2_iii15HIP_vector_typeIjLj3EESC_SC_SC_SC_iiiiiiiiiiiDpT3_
    .private_segment_fixed_size: 0
    .sgpr_count:     41
    .sgpr_spill_count: 0
    .symbol:         _ZL11k_bin_bcastIXadL_ZL6op_mulffEE6__halfffJPKfS2_S2_S2_EEvPKT0_PKT1_PT2_iii15HIP_vector_typeIjLj3EESC_SC_SC_SC_iiiiiiiiiiiDpT3_.kd
    .uniform_work_group_size: 1
    .uses_dynamic_stack: false
    .vgpr_count:     18
    .vgpr_spill_count: 0
    .wavefront_size: 32
  - .args:
      - .address_space:  global
        .offset:         0
        .size:           8
        .value_kind:     global_buffer
      - .address_space:  global
        .offset:         8
        .size:           8
        .value_kind:     global_buffer
      - .address_space:  global
        .offset:         16
        .size:           8
        .value_kind:     global_buffer
      - .offset:         24
        .size:           12
        .value_kind:     by_value
      - .offset:         36
        .size:           12
        .value_kind:     by_value
      - .offset:         48
        .size:           12
        .value_kind:     by_value
      - .offset:         60
        .size:           4
        .value_kind:     by_value
      - .offset:         64
        .size:           12
        .value_kind:     by_value
      - .offset:         76
        .size:           12
        .value_kind:     by_value
      - .offset:         88
        .size:           12
        .value_kind:     by_value
      - .offset:         100
        .size:           12
        .value_kind:     by_value
      - .offset:         112
        .size:           12
        .value_kind:     by_value
      - .offset:         124
        .size:           12
        .value_kind:     by_value
      - .offset:         136
        .size:           4
        .value_kind:     by_value
      - .offset:         140
        .size:           4
        .value_kind:     by_value
      - .offset:         144
        .size:           4
        .value_kind:     by_value
      - .offset:         148
        .size:           4
        .value_kind:     by_value
      - .offset:         152
        .size:           4
        .value_kind:     by_value
      - .offset:         156
        .size:           4
        .value_kind:     by_value
      - .offset:         160
        .size:           4
        .value_kind:     by_value
      - .offset:         164
        .size:           4
        .value_kind:     by_value
      - .offset:         168
        .size:           4
        .value_kind:     by_value
      - .offset:         172
        .size:           4
        .value_kind:     by_value
      - .offset:         176
        .size:           4
        .value_kind:     by_value
      - .address_space:  global
        .offset:         184
        .size:           8
        .value_kind:     global_buffer
      - .address_space:  global
        .offset:         192
        .size:           8
        .value_kind:     global_buffer
      - .address_space:  global
        .offset:         200
        .size:           8
        .value_kind:     global_buffer
      - .address_space:  global
        .offset:         208
        .size:           8
        .value_kind:     global_buffer
      - .address_space:  global
        .offset:         216
        .size:           8
        .value_kind:     global_buffer
      - .offset:         224
        .size:           4
        .value_kind:     hidden_block_count_x
      - .offset:         228
        .size:           4
        .value_kind:     hidden_block_count_y
      - .offset:         232
        .size:           4
        .value_kind:     hidden_block_count_z
      - .offset:         236
        .size:           2
        .value_kind:     hidden_group_size_x
      - .offset:         238
        .size:           2
        .value_kind:     hidden_group_size_y
      - .offset:         240
        .size:           2
        .value_kind:     hidden_group_size_z
      - .offset:         242
        .size:           2
        .value_kind:     hidden_remainder_x
      - .offset:         244
        .size:           2
        .value_kind:     hidden_remainder_y
      - .offset:         246
        .size:           2
        .value_kind:     hidden_remainder_z
      - .offset:         264
        .size:           8
        .value_kind:     hidden_global_offset_x
      - .offset:         272
        .size:           8
        .value_kind:     hidden_global_offset_y
      - .offset:         280
        .size:           8
        .value_kind:     hidden_global_offset_z
      - .offset:         288
        .size:           2
        .value_kind:     hidden_grid_dims
    .group_segment_fixed_size: 0
    .kernarg_segment_align: 8
    .kernarg_segment_size: 480
    .language:       OpenCL C
    .language_version:
      - 2
      - 0
    .max_flat_workgroup_size: 1024
    .name:           _ZL19k_bin_bcast_unravelIXadL_ZL6op_mulffEEfffJPKfS1_S1_S1_S1_EEvPKT0_PKT1_PT2_15HIP_vector_typeIjLj3EESB_SB_jSB_SB_SB_SB_SB_SB_iiiiiiiiiiiDpT3_
    .private_segment_fixed_size: 0
    .sgpr_count:     29
    .sgpr_spill_count: 0
    .symbol:         _ZL19k_bin_bcast_unravelIXadL_ZL6op_mulffEEfffJPKfS1_S1_S1_S1_EEvPKT0_PKT1_PT2_15HIP_vector_typeIjLj3EESB_SB_jSB_SB_SB_SB_SB_SB_iiiiiiiiiiiDpT3_.kd
    .uniform_work_group_size: 1
    .uses_dynamic_stack: false
    .vgpr_count:     15
    .vgpr_spill_count: 0
    .wavefront_size: 32
  - .args:
      - .address_space:  global
        .offset:         0
        .size:           8
        .value_kind:     global_buffer
      - .address_space:  global
        .offset:         8
        .size:           8
        .value_kind:     global_buffer
      - .address_space:  global
        .offset:         16
        .size:           8
        .value_kind:     global_buffer
      - .offset:         24
        .size:           4
        .value_kind:     by_value
      - .offset:         28
        .size:           4
        .value_kind:     by_value
      - .offset:         32
        .size:           4
        .value_kind:     by_value
      - .offset:         36
        .size:           12
        .value_kind:     by_value
      - .offset:         48
        .size:           12
        .value_kind:     by_value
      - .offset:         60
        .size:           12
        .value_kind:     by_value
      - .offset:         72
        .size:           12
        .value_kind:     by_value
      - .offset:         84
        .size:           12
        .value_kind:     by_value
      - .offset:         96
        .size:           4
        .value_kind:     by_value
      - .offset:         100
        .size:           4
        .value_kind:     by_value
      - .offset:         104
        .size:           4
        .value_kind:     by_value
      - .offset:         108
        .size:           4
        .value_kind:     by_value
      - .offset:         112
        .size:           4
        .value_kind:     by_value
      - .offset:         116
        .size:           4
        .value_kind:     by_value
      - .offset:         120
        .size:           4
        .value_kind:     by_value
      - .offset:         124
        .size:           4
        .value_kind:     by_value
      - .offset:         128
        .size:           4
        .value_kind:     by_value
      - .offset:         132
        .size:           4
        .value_kind:     by_value
      - .offset:         136
        .size:           4
        .value_kind:     by_value
      - .address_space:  global
        .offset:         144
        .size:           8
        .value_kind:     global_buffer
      - .address_space:  global
        .offset:         152
        .size:           8
        .value_kind:     global_buffer
      - .address_space:  global
        .offset:         160
        .size:           8
        .value_kind:     global_buffer
      - .address_space:  global
        .offset:         168
        .size:           8
        .value_kind:     global_buffer
      - .address_space:  global
        .offset:         176
        .size:           8
        .value_kind:     global_buffer
      - .offset:         184
        .size:           4
        .value_kind:     hidden_block_count_x
      - .offset:         188
        .size:           4
        .value_kind:     hidden_block_count_y
      - .offset:         192
        .size:           4
        .value_kind:     hidden_block_count_z
      - .offset:         196
        .size:           2
        .value_kind:     hidden_group_size_x
      - .offset:         198
        .size:           2
        .value_kind:     hidden_group_size_y
      - .offset:         200
        .size:           2
        .value_kind:     hidden_group_size_z
      - .offset:         202
        .size:           2
        .value_kind:     hidden_remainder_x
      - .offset:         204
        .size:           2
        .value_kind:     hidden_remainder_y
      - .offset:         206
        .size:           2
        .value_kind:     hidden_remainder_z
      - .offset:         224
        .size:           8
        .value_kind:     hidden_global_offset_x
      - .offset:         232
        .size:           8
        .value_kind:     hidden_global_offset_y
      - .offset:         240
        .size:           8
        .value_kind:     hidden_global_offset_z
      - .offset:         248
        .size:           2
        .value_kind:     hidden_grid_dims
    .group_segment_fixed_size: 0
    .kernarg_segment_align: 8
    .kernarg_segment_size: 440
    .language:       OpenCL C
    .language_version:
      - 2
      - 0
    .max_flat_workgroup_size: 1024
    .name:           _ZL11k_bin_bcastIXadL_ZL6op_mulffEEfffJPKfS1_S1_S1_S1_EEvPKT0_PKT1_PT2_iii15HIP_vector_typeIjLj3EESB_SB_SB_SB_iiiiiiiiiiiDpT3_
    .private_segment_fixed_size: 0
    .sgpr_count:     34
    .sgpr_spill_count: 0
    .symbol:         _ZL11k_bin_bcastIXadL_ZL6op_mulffEEfffJPKfS1_S1_S1_S1_EEvPKT0_PKT1_PT2_iii15HIP_vector_typeIjLj3EESB_SB_SB_SB_iiiiiiiiiiiDpT3_.kd
    .uniform_work_group_size: 1
    .uses_dynamic_stack: false
    .vgpr_count:     19
    .vgpr_spill_count: 0
    .wavefront_size: 32
  - .args:
      - .address_space:  global
        .offset:         0
        .size:           8
        .value_kind:     global_buffer
      - .address_space:  global
        .offset:         8
        .size:           8
        .value_kind:     global_buffer
      - .address_space:  global
        .offset:         16
        .size:           8
        .value_kind:     global_buffer
      - .offset:         24
        .size:           12
        .value_kind:     by_value
      - .offset:         36
        .size:           12
        .value_kind:     by_value
      - .offset:         48
        .size:           12
        .value_kind:     by_value
      - .offset:         60
        .size:           4
        .value_kind:     by_value
      - .offset:         64
        .size:           12
        .value_kind:     by_value
      - .offset:         76
        .size:           12
        .value_kind:     by_value
      - .offset:         88
        .size:           12
        .value_kind:     by_value
      - .offset:         100
        .size:           12
        .value_kind:     by_value
      - .offset:         112
        .size:           12
        .value_kind:     by_value
      - .offset:         124
        .size:           12
        .value_kind:     by_value
      - .offset:         136
        .size:           4
        .value_kind:     by_value
      - .offset:         140
        .size:           4
        .value_kind:     by_value
      - .offset:         144
        .size:           4
        .value_kind:     by_value
      - .offset:         148
        .size:           4
        .value_kind:     by_value
      - .offset:         152
        .size:           4
        .value_kind:     by_value
      - .offset:         156
        .size:           4
        .value_kind:     by_value
      - .offset:         160
        .size:           4
        .value_kind:     by_value
      - .offset:         164
        .size:           4
        .value_kind:     by_value
      - .offset:         168
        .size:           4
        .value_kind:     by_value
      - .offset:         172
        .size:           4
        .value_kind:     by_value
      - .offset:         176
        .size:           4
        .value_kind:     by_value
      - .address_space:  global
        .offset:         184
        .size:           8
        .value_kind:     global_buffer
      - .address_space:  global
        .offset:         192
        .size:           8
        .value_kind:     global_buffer
      - .address_space:  global
        .offset:         200
        .size:           8
        .value_kind:     global_buffer
      - .address_space:  global
        .offset:         208
        .size:           8
        .value_kind:     global_buffer
      - .address_space:  global
        .offset:         216
        .size:           8
        .value_kind:     global_buffer
      - .offset:         224
        .size:           4
        .value_kind:     hidden_block_count_x
      - .offset:         228
        .size:           4
        .value_kind:     hidden_block_count_y
      - .offset:         232
        .size:           4
        .value_kind:     hidden_block_count_z
      - .offset:         236
        .size:           2
        .value_kind:     hidden_group_size_x
      - .offset:         238
        .size:           2
        .value_kind:     hidden_group_size_y
      - .offset:         240
        .size:           2
        .value_kind:     hidden_group_size_z
      - .offset:         242
        .size:           2
        .value_kind:     hidden_remainder_x
      - .offset:         244
        .size:           2
        .value_kind:     hidden_remainder_y
      - .offset:         246
        .size:           2
        .value_kind:     hidden_remainder_z
      - .offset:         264
        .size:           8
        .value_kind:     hidden_global_offset_x
      - .offset:         272
        .size:           8
        .value_kind:     hidden_global_offset_y
      - .offset:         280
        .size:           8
        .value_kind:     hidden_global_offset_z
      - .offset:         288
        .size:           2
        .value_kind:     hidden_grid_dims
    .group_segment_fixed_size: 0
    .kernarg_segment_align: 8
    .kernarg_segment_size: 480
    .language:       OpenCL C
    .language_version:
      - 2
      - 0
    .max_flat_workgroup_size: 1024
    .name:           _ZL19k_bin_bcast_unravelIXadL_ZL6op_mulffEE6__halfS0_S0_JPKS0_S2_S2_S2_S2_EEvPKT0_PKT1_PT2_15HIP_vector_typeIjLj3EESC_SC_jSC_SC_SC_SC_SC_SC_iiiiiiiiiiiDpT3_
    .private_segment_fixed_size: 0
    .sgpr_count:     29
    .sgpr_spill_count: 0
    .symbol:         _ZL19k_bin_bcast_unravelIXadL_ZL6op_mulffEE6__halfS0_S0_JPKS0_S2_S2_S2_S2_EEvPKT0_PKT1_PT2_15HIP_vector_typeIjLj3EESC_SC_jSC_SC_SC_SC_SC_SC_iiiiiiiiiiiDpT3_.kd
    .uniform_work_group_size: 1
    .uses_dynamic_stack: false
    .vgpr_count:     16
    .vgpr_spill_count: 0
    .wavefront_size: 32
  - .args:
      - .address_space:  global
        .offset:         0
        .size:           8
        .value_kind:     global_buffer
      - .address_space:  global
        .offset:         8
        .size:           8
        .value_kind:     global_buffer
      - .address_space:  global
        .offset:         16
        .size:           8
        .value_kind:     global_buffer
      - .offset:         24
        .size:           4
        .value_kind:     by_value
      - .offset:         28
        .size:           4
        .value_kind:     by_value
      - .offset:         32
        .size:           4
        .value_kind:     by_value
      - .offset:         36
        .size:           12
        .value_kind:     by_value
      - .offset:         48
        .size:           12
        .value_kind:     by_value
      - .offset:         60
        .size:           12
        .value_kind:     by_value
      - .offset:         72
        .size:           12
        .value_kind:     by_value
      - .offset:         84
        .size:           12
        .value_kind:     by_value
      - .offset:         96
        .size:           4
        .value_kind:     by_value
      - .offset:         100
        .size:           4
        .value_kind:     by_value
      - .offset:         104
        .size:           4
        .value_kind:     by_value
      - .offset:         108
        .size:           4
        .value_kind:     by_value
      - .offset:         112
        .size:           4
        .value_kind:     by_value
      - .offset:         116
        .size:           4
        .value_kind:     by_value
      - .offset:         120
        .size:           4
        .value_kind:     by_value
      - .offset:         124
        .size:           4
        .value_kind:     by_value
      - .offset:         128
        .size:           4
        .value_kind:     by_value
      - .offset:         132
        .size:           4
        .value_kind:     by_value
      - .offset:         136
        .size:           4
        .value_kind:     by_value
      - .address_space:  global
        .offset:         144
        .size:           8
        .value_kind:     global_buffer
      - .address_space:  global
        .offset:         152
        .size:           8
        .value_kind:     global_buffer
      - .address_space:  global
        .offset:         160
        .size:           8
        .value_kind:     global_buffer
      - .address_space:  global
        .offset:         168
        .size:           8
        .value_kind:     global_buffer
      - .address_space:  global
        .offset:         176
        .size:           8
        .value_kind:     global_buffer
      - .offset:         184
        .size:           4
        .value_kind:     hidden_block_count_x
      - .offset:         188
        .size:           4
        .value_kind:     hidden_block_count_y
      - .offset:         192
        .size:           4
        .value_kind:     hidden_block_count_z
      - .offset:         196
        .size:           2
        .value_kind:     hidden_group_size_x
      - .offset:         198
        .size:           2
        .value_kind:     hidden_group_size_y
      - .offset:         200
        .size:           2
        .value_kind:     hidden_group_size_z
      - .offset:         202
        .size:           2
        .value_kind:     hidden_remainder_x
      - .offset:         204
        .size:           2
        .value_kind:     hidden_remainder_y
      - .offset:         206
        .size:           2
        .value_kind:     hidden_remainder_z
      - .offset:         224
        .size:           8
        .value_kind:     hidden_global_offset_x
      - .offset:         232
        .size:           8
        .value_kind:     hidden_global_offset_y
      - .offset:         240
        .size:           8
        .value_kind:     hidden_global_offset_z
      - .offset:         248
        .size:           2
        .value_kind:     hidden_grid_dims
    .group_segment_fixed_size: 0
    .kernarg_segment_align: 8
    .kernarg_segment_size: 440
    .language:       OpenCL C
    .language_version:
      - 2
      - 0
    .max_flat_workgroup_size: 1024
    .name:           _ZL11k_bin_bcastIXadL_ZL6op_mulffEE6__halfS0_S0_JPKS0_S2_S2_S2_S2_EEvPKT0_PKT1_PT2_iii15HIP_vector_typeIjLj3EESC_SC_SC_SC_iiiiiiiiiiiDpT3_
    .private_segment_fixed_size: 0
    .sgpr_count:     34
    .sgpr_spill_count: 0
    .symbol:         _ZL11k_bin_bcastIXadL_ZL6op_mulffEE6__halfS0_S0_JPKS0_S2_S2_S2_S2_EEvPKT0_PKT1_PT2_iii15HIP_vector_typeIjLj3EESC_SC_SC_SC_iiiiiiiiiiiDpT3_.kd
    .uniform_work_group_size: 1
    .uses_dynamic_stack: false
    .vgpr_count:     20
    .vgpr_spill_count: 0
    .wavefront_size: 32
  - .args:
      - .address_space:  global
        .offset:         0
        .size:           8
        .value_kind:     global_buffer
      - .address_space:  global
        .offset:         8
        .size:           8
        .value_kind:     global_buffer
      - .address_space:  global
        .offset:         16
        .size:           8
        .value_kind:     global_buffer
      - .offset:         24
        .size:           12
        .value_kind:     by_value
      - .offset:         36
        .size:           12
        .value_kind:     by_value
      - .offset:         48
        .size:           12
        .value_kind:     by_value
      - .offset:         60
        .size:           4
        .value_kind:     by_value
      - .offset:         64
        .size:           12
        .value_kind:     by_value
      - .offset:         76
        .size:           12
        .value_kind:     by_value
      - .offset:         88
        .size:           12
        .value_kind:     by_value
      - .offset:         100
        .size:           12
        .value_kind:     by_value
      - .offset:         112
        .size:           12
        .value_kind:     by_value
      - .offset:         124
        .size:           12
        .value_kind:     by_value
      - .offset:         136
        .size:           4
        .value_kind:     by_value
      - .offset:         140
        .size:           4
        .value_kind:     by_value
      - .offset:         144
        .size:           4
        .value_kind:     by_value
      - .offset:         148
        .size:           4
        .value_kind:     by_value
      - .offset:         152
        .size:           4
        .value_kind:     by_value
      - .offset:         156
        .size:           4
        .value_kind:     by_value
      - .offset:         160
        .size:           4
        .value_kind:     by_value
      - .offset:         164
        .size:           4
        .value_kind:     by_value
      - .offset:         168
        .size:           4
        .value_kind:     by_value
      - .offset:         172
        .size:           4
        .value_kind:     by_value
      - .offset:         176
        .size:           4
        .value_kind:     by_value
      - .address_space:  global
        .offset:         184
        .size:           8
        .value_kind:     global_buffer
      - .address_space:  global
        .offset:         192
        .size:           8
        .value_kind:     global_buffer
      - .address_space:  global
        .offset:         200
        .size:           8
        .value_kind:     global_buffer
      - .address_space:  global
        .offset:         208
        .size:           8
        .value_kind:     global_buffer
      - .address_space:  global
        .offset:         216
        .size:           8
        .value_kind:     global_buffer
      - .offset:         224
        .size:           4
        .value_kind:     hidden_block_count_x
      - .offset:         228
        .size:           4
        .value_kind:     hidden_block_count_y
      - .offset:         232
        .size:           4
        .value_kind:     hidden_block_count_z
      - .offset:         236
        .size:           2
        .value_kind:     hidden_group_size_x
      - .offset:         238
        .size:           2
        .value_kind:     hidden_group_size_y
      - .offset:         240
        .size:           2
        .value_kind:     hidden_group_size_z
      - .offset:         242
        .size:           2
        .value_kind:     hidden_remainder_x
      - .offset:         244
        .size:           2
        .value_kind:     hidden_remainder_y
      - .offset:         246
        .size:           2
        .value_kind:     hidden_remainder_z
      - .offset:         264
        .size:           8
        .value_kind:     hidden_global_offset_x
      - .offset:         272
        .size:           8
        .value_kind:     hidden_global_offset_y
      - .offset:         280
        .size:           8
        .value_kind:     hidden_global_offset_z
      - .offset:         288
        .size:           2
        .value_kind:     hidden_grid_dims
    .group_segment_fixed_size: 0
    .kernarg_segment_align: 8
    .kernarg_segment_size: 480
    .language:       OpenCL C
    .language_version:
      - 2
      - 0
    .max_flat_workgroup_size: 1024
    .name:           _ZL19k_bin_bcast_unravelIXadL_ZL6op_mulffEE6__halffS0_JPKfS2_S2_S2_S2_EEvPKT0_PKT1_PT2_15HIP_vector_typeIjLj3EESC_SC_jSC_SC_SC_SC_SC_SC_iiiiiiiiiiiDpT3_
    .private_segment_fixed_size: 0
    .sgpr_count:     29
    .sgpr_spill_count: 0
    .symbol:         _ZL19k_bin_bcast_unravelIXadL_ZL6op_mulffEE6__halffS0_JPKfS2_S2_S2_S2_EEvPKT0_PKT1_PT2_15HIP_vector_typeIjLj3EESC_SC_jSC_SC_SC_SC_SC_SC_iiiiiiiiiiiDpT3_.kd
    .uniform_work_group_size: 1
    .uses_dynamic_stack: false
    .vgpr_count:     15
    .vgpr_spill_count: 0
    .wavefront_size: 32
  - .args:
      - .address_space:  global
        .offset:         0
        .size:           8
        .value_kind:     global_buffer
      - .address_space:  global
        .offset:         8
        .size:           8
        .value_kind:     global_buffer
      - .address_space:  global
        .offset:         16
        .size:           8
        .value_kind:     global_buffer
      - .offset:         24
        .size:           4
        .value_kind:     by_value
      - .offset:         28
        .size:           4
        .value_kind:     by_value
      - .offset:         32
        .size:           4
        .value_kind:     by_value
      - .offset:         36
        .size:           12
        .value_kind:     by_value
      - .offset:         48
        .size:           12
        .value_kind:     by_value
      - .offset:         60
        .size:           12
        .value_kind:     by_value
      - .offset:         72
        .size:           12
        .value_kind:     by_value
      - .offset:         84
        .size:           12
        .value_kind:     by_value
      - .offset:         96
        .size:           4
        .value_kind:     by_value
      - .offset:         100
        .size:           4
        .value_kind:     by_value
      - .offset:         104
        .size:           4
        .value_kind:     by_value
      - .offset:         108
        .size:           4
        .value_kind:     by_value
      - .offset:         112
        .size:           4
        .value_kind:     by_value
      - .offset:         116
        .size:           4
        .value_kind:     by_value
      - .offset:         120
        .size:           4
        .value_kind:     by_value
      - .offset:         124
        .size:           4
        .value_kind:     by_value
      - .offset:         128
        .size:           4
        .value_kind:     by_value
      - .offset:         132
        .size:           4
        .value_kind:     by_value
      - .offset:         136
        .size:           4
        .value_kind:     by_value
      - .address_space:  global
        .offset:         144
        .size:           8
        .value_kind:     global_buffer
      - .address_space:  global
        .offset:         152
        .size:           8
        .value_kind:     global_buffer
      - .address_space:  global
        .offset:         160
        .size:           8
        .value_kind:     global_buffer
      - .address_space:  global
        .offset:         168
        .size:           8
        .value_kind:     global_buffer
      - .address_space:  global
        .offset:         176
        .size:           8
        .value_kind:     global_buffer
      - .offset:         184
        .size:           4
        .value_kind:     hidden_block_count_x
      - .offset:         188
        .size:           4
        .value_kind:     hidden_block_count_y
      - .offset:         192
        .size:           4
        .value_kind:     hidden_block_count_z
      - .offset:         196
        .size:           2
        .value_kind:     hidden_group_size_x
      - .offset:         198
        .size:           2
        .value_kind:     hidden_group_size_y
      - .offset:         200
        .size:           2
        .value_kind:     hidden_group_size_z
      - .offset:         202
        .size:           2
        .value_kind:     hidden_remainder_x
      - .offset:         204
        .size:           2
        .value_kind:     hidden_remainder_y
      - .offset:         206
        .size:           2
        .value_kind:     hidden_remainder_z
      - .offset:         224
        .size:           8
        .value_kind:     hidden_global_offset_x
      - .offset:         232
        .size:           8
        .value_kind:     hidden_global_offset_y
      - .offset:         240
        .size:           8
        .value_kind:     hidden_global_offset_z
      - .offset:         248
        .size:           2
        .value_kind:     hidden_grid_dims
    .group_segment_fixed_size: 0
    .kernarg_segment_align: 8
    .kernarg_segment_size: 440
    .language:       OpenCL C
    .language_version:
      - 2
      - 0
    .max_flat_workgroup_size: 1024
    .name:           _ZL11k_bin_bcastIXadL_ZL6op_mulffEE6__halffS0_JPKfS2_S2_S2_S2_EEvPKT0_PKT1_PT2_iii15HIP_vector_typeIjLj3EESC_SC_SC_SC_iiiiiiiiiiiDpT3_
    .private_segment_fixed_size: 0
    .sgpr_count:     34
    .sgpr_spill_count: 0
    .symbol:         _ZL11k_bin_bcastIXadL_ZL6op_mulffEE6__halffS0_JPKfS2_S2_S2_S2_EEvPKT0_PKT1_PT2_iii15HIP_vector_typeIjLj3EESC_SC_SC_SC_iiiiiiiiiiiDpT3_.kd
    .uniform_work_group_size: 1
    .uses_dynamic_stack: false
    .vgpr_count:     19
    .vgpr_spill_count: 0
    .wavefront_size: 32
  - .args:
      - .address_space:  global
        .offset:         0
        .size:           8
        .value_kind:     global_buffer
      - .address_space:  global
        .offset:         8
        .size:           8
        .value_kind:     global_buffer
      - .address_space:  global
        .offset:         16
        .size:           8
        .value_kind:     global_buffer
      - .offset:         24
        .size:           12
        .value_kind:     by_value
      - .offset:         36
        .size:           12
        .value_kind:     by_value
      - .offset:         48
        .size:           12
        .value_kind:     by_value
      - .offset:         60
        .size:           4
        .value_kind:     by_value
      - .offset:         64
        .size:           12
        .value_kind:     by_value
      - .offset:         76
        .size:           12
        .value_kind:     by_value
      - .offset:         88
        .size:           12
        .value_kind:     by_value
      - .offset:         100
        .size:           12
        .value_kind:     by_value
      - .offset:         112
        .size:           12
        .value_kind:     by_value
      - .offset:         124
        .size:           12
        .value_kind:     by_value
      - .offset:         136
        .size:           4
        .value_kind:     by_value
      - .offset:         140
        .size:           4
        .value_kind:     by_value
      - .offset:         144
        .size:           4
        .value_kind:     by_value
      - .offset:         148
        .size:           4
        .value_kind:     by_value
      - .offset:         152
        .size:           4
        .value_kind:     by_value
      - .offset:         156
        .size:           4
        .value_kind:     by_value
      - .offset:         160
        .size:           4
        .value_kind:     by_value
      - .offset:         164
        .size:           4
        .value_kind:     by_value
      - .offset:         168
        .size:           4
        .value_kind:     by_value
      - .offset:         172
        .size:           4
        .value_kind:     by_value
      - .offset:         176
        .size:           4
        .value_kind:     by_value
      - .address_space:  global
        .offset:         184
        .size:           8
        .value_kind:     global_buffer
      - .address_space:  global
        .offset:         192
        .size:           8
        .value_kind:     global_buffer
      - .address_space:  global
        .offset:         200
        .size:           8
        .value_kind:     global_buffer
      - .address_space:  global
        .offset:         208
        .size:           8
        .value_kind:     global_buffer
      - .address_space:  global
        .offset:         216
        .size:           8
        .value_kind:     global_buffer
      - .offset:         224
        .size:           4
        .value_kind:     hidden_block_count_x
      - .offset:         228
        .size:           4
        .value_kind:     hidden_block_count_y
      - .offset:         232
        .size:           4
        .value_kind:     hidden_block_count_z
      - .offset:         236
        .size:           2
        .value_kind:     hidden_group_size_x
      - .offset:         238
        .size:           2
        .value_kind:     hidden_group_size_y
      - .offset:         240
        .size:           2
        .value_kind:     hidden_group_size_z
      - .offset:         242
        .size:           2
        .value_kind:     hidden_remainder_x
      - .offset:         244
        .size:           2
        .value_kind:     hidden_remainder_y
      - .offset:         246
        .size:           2
        .value_kind:     hidden_remainder_z
      - .offset:         264
        .size:           8
        .value_kind:     hidden_global_offset_x
      - .offset:         272
        .size:           8
        .value_kind:     hidden_global_offset_y
      - .offset:         280
        .size:           8
        .value_kind:     hidden_global_offset_z
      - .offset:         288
        .size:           2
        .value_kind:     hidden_grid_dims
    .group_segment_fixed_size: 0
    .kernarg_segment_align: 8
    .kernarg_segment_size: 480
    .language:       OpenCL C
    .language_version:
      - 2
      - 0
    .max_flat_workgroup_size: 1024
    .name:           _ZL19k_bin_bcast_unravelIXadL_ZL6op_mulffEE6__halfffJPKfS2_S2_S2_S2_EEvPKT0_PKT1_PT2_15HIP_vector_typeIjLj3EESC_SC_jSC_SC_SC_SC_SC_SC_iiiiiiiiiiiDpT3_
    .private_segment_fixed_size: 0
    .sgpr_count:     29
    .sgpr_spill_count: 0
    .symbol:         _ZL19k_bin_bcast_unravelIXadL_ZL6op_mulffEE6__halfffJPKfS2_S2_S2_S2_EEvPKT0_PKT1_PT2_15HIP_vector_typeIjLj3EESC_SC_jSC_SC_SC_SC_SC_SC_iiiiiiiiiiiDpT3_.kd
    .uniform_work_group_size: 1
    .uses_dynamic_stack: false
    .vgpr_count:     15
    .vgpr_spill_count: 0
    .wavefront_size: 32
  - .args:
      - .address_space:  global
        .offset:         0
        .size:           8
        .value_kind:     global_buffer
      - .address_space:  global
        .offset:         8
        .size:           8
        .value_kind:     global_buffer
      - .address_space:  global
        .offset:         16
        .size:           8
        .value_kind:     global_buffer
      - .offset:         24
        .size:           4
        .value_kind:     by_value
      - .offset:         28
        .size:           4
        .value_kind:     by_value
      - .offset:         32
        .size:           4
        .value_kind:     by_value
      - .offset:         36
        .size:           12
        .value_kind:     by_value
      - .offset:         48
        .size:           12
        .value_kind:     by_value
      - .offset:         60
        .size:           12
        .value_kind:     by_value
      - .offset:         72
        .size:           12
        .value_kind:     by_value
      - .offset:         84
        .size:           12
        .value_kind:     by_value
      - .offset:         96
        .size:           4
        .value_kind:     by_value
      - .offset:         100
        .size:           4
        .value_kind:     by_value
      - .offset:         104
        .size:           4
        .value_kind:     by_value
      - .offset:         108
        .size:           4
        .value_kind:     by_value
      - .offset:         112
        .size:           4
        .value_kind:     by_value
      - .offset:         116
        .size:           4
        .value_kind:     by_value
      - .offset:         120
        .size:           4
        .value_kind:     by_value
      - .offset:         124
        .size:           4
        .value_kind:     by_value
      - .offset:         128
        .size:           4
        .value_kind:     by_value
      - .offset:         132
        .size:           4
        .value_kind:     by_value
      - .offset:         136
        .size:           4
        .value_kind:     by_value
      - .address_space:  global
        .offset:         144
        .size:           8
        .value_kind:     global_buffer
      - .address_space:  global
        .offset:         152
        .size:           8
        .value_kind:     global_buffer
      - .address_space:  global
        .offset:         160
        .size:           8
        .value_kind:     global_buffer
      - .address_space:  global
        .offset:         168
        .size:           8
        .value_kind:     global_buffer
      - .address_space:  global
        .offset:         176
        .size:           8
        .value_kind:     global_buffer
      - .offset:         184
        .size:           4
        .value_kind:     hidden_block_count_x
      - .offset:         188
        .size:           4
        .value_kind:     hidden_block_count_y
      - .offset:         192
        .size:           4
        .value_kind:     hidden_block_count_z
      - .offset:         196
        .size:           2
        .value_kind:     hidden_group_size_x
      - .offset:         198
        .size:           2
        .value_kind:     hidden_group_size_y
      - .offset:         200
        .size:           2
        .value_kind:     hidden_group_size_z
      - .offset:         202
        .size:           2
        .value_kind:     hidden_remainder_x
      - .offset:         204
        .size:           2
        .value_kind:     hidden_remainder_y
      - .offset:         206
        .size:           2
        .value_kind:     hidden_remainder_z
      - .offset:         224
        .size:           8
        .value_kind:     hidden_global_offset_x
      - .offset:         232
        .size:           8
        .value_kind:     hidden_global_offset_y
      - .offset:         240
        .size:           8
        .value_kind:     hidden_global_offset_z
      - .offset:         248
        .size:           2
        .value_kind:     hidden_grid_dims
    .group_segment_fixed_size: 0
    .kernarg_segment_align: 8
    .kernarg_segment_size: 440
    .language:       OpenCL C
    .language_version:
      - 2
      - 0
    .max_flat_workgroup_size: 1024
    .name:           _ZL11k_bin_bcastIXadL_ZL6op_mulffEE6__halfffJPKfS2_S2_S2_S2_EEvPKT0_PKT1_PT2_iii15HIP_vector_typeIjLj3EESC_SC_SC_SC_iiiiiiiiiiiDpT3_
    .private_segment_fixed_size: 0
    .sgpr_count:     34
    .sgpr_spill_count: 0
    .symbol:         _ZL11k_bin_bcastIXadL_ZL6op_mulffEE6__halfffJPKfS2_S2_S2_S2_EEvPKT0_PKT1_PT2_iii15HIP_vector_typeIjLj3EESC_SC_SC_SC_iiiiiiiiiiiDpT3_.kd
    .uniform_work_group_size: 1
    .uses_dynamic_stack: false
    .vgpr_count:     19
    .vgpr_spill_count: 0
    .wavefront_size: 32
  - .args:
      - .address_space:  global
        .offset:         0
        .size:           8
        .value_kind:     global_buffer
      - .address_space:  global
        .offset:         8
        .size:           8
        .value_kind:     global_buffer
      - .address_space:  global
        .offset:         16
        .size:           8
        .value_kind:     global_buffer
      - .offset:         24
        .size:           12
        .value_kind:     by_value
      - .offset:         36
        .size:           12
        .value_kind:     by_value
      - .offset:         48
        .size:           12
        .value_kind:     by_value
      - .offset:         60
        .size:           4
        .value_kind:     by_value
      - .offset:         64
        .size:           12
        .value_kind:     by_value
      - .offset:         76
        .size:           12
        .value_kind:     by_value
      - .offset:         88
        .size:           12
        .value_kind:     by_value
      - .offset:         100
        .size:           12
        .value_kind:     by_value
      - .offset:         112
        .size:           12
        .value_kind:     by_value
      - .offset:         124
        .size:           12
        .value_kind:     by_value
      - .offset:         136
        .size:           4
        .value_kind:     by_value
      - .offset:         140
        .size:           4
        .value_kind:     by_value
      - .offset:         144
        .size:           4
        .value_kind:     by_value
      - .offset:         148
        .size:           4
        .value_kind:     by_value
      - .offset:         152
        .size:           4
        .value_kind:     by_value
      - .offset:         156
        .size:           4
        .value_kind:     by_value
      - .offset:         160
        .size:           4
        .value_kind:     by_value
      - .offset:         164
        .size:           4
        .value_kind:     by_value
      - .offset:         168
        .size:           4
        .value_kind:     by_value
      - .offset:         172
        .size:           4
        .value_kind:     by_value
      - .offset:         176
        .size:           4
        .value_kind:     by_value
      - .address_space:  global
        .offset:         184
        .size:           8
        .value_kind:     global_buffer
      - .address_space:  global
        .offset:         192
        .size:           8
        .value_kind:     global_buffer
      - .address_space:  global
        .offset:         200
        .size:           8
        .value_kind:     global_buffer
      - .address_space:  global
        .offset:         208
        .size:           8
        .value_kind:     global_buffer
      - .address_space:  global
        .offset:         216
        .size:           8
        .value_kind:     global_buffer
      - .address_space:  global
        .offset:         224
        .size:           8
        .value_kind:     global_buffer
      - .offset:         232
        .size:           4
        .value_kind:     hidden_block_count_x
      - .offset:         236
        .size:           4
        .value_kind:     hidden_block_count_y
      - .offset:         240
        .size:           4
        .value_kind:     hidden_block_count_z
      - .offset:         244
        .size:           2
        .value_kind:     hidden_group_size_x
      - .offset:         246
        .size:           2
        .value_kind:     hidden_group_size_y
      - .offset:         248
        .size:           2
        .value_kind:     hidden_group_size_z
      - .offset:         250
        .size:           2
        .value_kind:     hidden_remainder_x
      - .offset:         252
        .size:           2
        .value_kind:     hidden_remainder_y
      - .offset:         254
        .size:           2
        .value_kind:     hidden_remainder_z
      - .offset:         272
        .size:           8
        .value_kind:     hidden_global_offset_x
      - .offset:         280
        .size:           8
        .value_kind:     hidden_global_offset_y
      - .offset:         288
        .size:           8
        .value_kind:     hidden_global_offset_z
      - .offset:         296
        .size:           2
        .value_kind:     hidden_grid_dims
    .group_segment_fixed_size: 0
    .kernarg_segment_align: 8
    .kernarg_segment_size: 488
    .language:       OpenCL C
    .language_version:
      - 2
      - 0
    .max_flat_workgroup_size: 1024
    .name:           _ZL19k_bin_bcast_unravelIXadL_ZL6op_mulffEEfffJPKfS1_S1_S1_S1_S1_EEvPKT0_PKT1_PT2_15HIP_vector_typeIjLj3EESB_SB_jSB_SB_SB_SB_SB_SB_iiiiiiiiiiiDpT3_
    .private_segment_fixed_size: 0
    .sgpr_count:     29
    .sgpr_spill_count: 0
    .symbol:         _ZL19k_bin_bcast_unravelIXadL_ZL6op_mulffEEfffJPKfS1_S1_S1_S1_S1_EEvPKT0_PKT1_PT2_15HIP_vector_typeIjLj3EESB_SB_jSB_SB_SB_SB_SB_SB_iiiiiiiiiiiDpT3_.kd
    .uniform_work_group_size: 1
    .uses_dynamic_stack: false
    .vgpr_count:     16
    .vgpr_spill_count: 0
    .wavefront_size: 32
  - .args:
      - .address_space:  global
        .offset:         0
        .size:           8
        .value_kind:     global_buffer
      - .address_space:  global
        .offset:         8
        .size:           8
        .value_kind:     global_buffer
      - .address_space:  global
        .offset:         16
        .size:           8
        .value_kind:     global_buffer
      - .offset:         24
        .size:           4
        .value_kind:     by_value
      - .offset:         28
        .size:           4
        .value_kind:     by_value
      - .offset:         32
        .size:           4
        .value_kind:     by_value
      - .offset:         36
        .size:           12
        .value_kind:     by_value
      - .offset:         48
        .size:           12
        .value_kind:     by_value
      - .offset:         60
        .size:           12
        .value_kind:     by_value
      - .offset:         72
        .size:           12
        .value_kind:     by_value
      - .offset:         84
        .size:           12
        .value_kind:     by_value
      - .offset:         96
        .size:           4
        .value_kind:     by_value
      - .offset:         100
        .size:           4
        .value_kind:     by_value
      - .offset:         104
        .size:           4
        .value_kind:     by_value
      - .offset:         108
        .size:           4
        .value_kind:     by_value
      - .offset:         112
        .size:           4
        .value_kind:     by_value
      - .offset:         116
        .size:           4
        .value_kind:     by_value
      - .offset:         120
        .size:           4
        .value_kind:     by_value
      - .offset:         124
        .size:           4
        .value_kind:     by_value
      - .offset:         128
        .size:           4
        .value_kind:     by_value
      - .offset:         132
        .size:           4
        .value_kind:     by_value
      - .offset:         136
        .size:           4
        .value_kind:     by_value
      - .address_space:  global
        .offset:         144
        .size:           8
        .value_kind:     global_buffer
      - .address_space:  global
        .offset:         152
        .size:           8
        .value_kind:     global_buffer
      - .address_space:  global
        .offset:         160
        .size:           8
        .value_kind:     global_buffer
      - .address_space:  global
        .offset:         168
        .size:           8
        .value_kind:     global_buffer
      - .address_space:  global
        .offset:         176
        .size:           8
        .value_kind:     global_buffer
      - .address_space:  global
        .offset:         184
        .size:           8
        .value_kind:     global_buffer
      - .offset:         192
        .size:           4
        .value_kind:     hidden_block_count_x
      - .offset:         196
        .size:           4
        .value_kind:     hidden_block_count_y
      - .offset:         200
        .size:           4
        .value_kind:     hidden_block_count_z
      - .offset:         204
        .size:           2
        .value_kind:     hidden_group_size_x
      - .offset:         206
        .size:           2
        .value_kind:     hidden_group_size_y
      - .offset:         208
        .size:           2
        .value_kind:     hidden_group_size_z
      - .offset:         210
        .size:           2
        .value_kind:     hidden_remainder_x
      - .offset:         212
        .size:           2
        .value_kind:     hidden_remainder_y
      - .offset:         214
        .size:           2
        .value_kind:     hidden_remainder_z
      - .offset:         232
        .size:           8
        .value_kind:     hidden_global_offset_x
      - .offset:         240
        .size:           8
        .value_kind:     hidden_global_offset_y
      - .offset:         248
        .size:           8
        .value_kind:     hidden_global_offset_z
      - .offset:         256
        .size:           2
        .value_kind:     hidden_grid_dims
    .group_segment_fixed_size: 0
    .kernarg_segment_align: 8
    .kernarg_segment_size: 448
    .language:       OpenCL C
    .language_version:
      - 2
      - 0
    .max_flat_workgroup_size: 1024
    .name:           _ZL11k_bin_bcastIXadL_ZL6op_mulffEEfffJPKfS1_S1_S1_S1_S1_EEvPKT0_PKT1_PT2_iii15HIP_vector_typeIjLj3EESB_SB_SB_SB_iiiiiiiiiiiDpT3_
    .private_segment_fixed_size: 0
    .sgpr_count:     41
    .sgpr_spill_count: 0
    .symbol:         _ZL11k_bin_bcastIXadL_ZL6op_mulffEEfffJPKfS1_S1_S1_S1_S1_EEvPKT0_PKT1_PT2_iii15HIP_vector_typeIjLj3EESB_SB_SB_SB_iiiiiiiiiiiDpT3_.kd
    .uniform_work_group_size: 1
    .uses_dynamic_stack: false
    .vgpr_count:     20
    .vgpr_spill_count: 0
    .wavefront_size: 32
  - .args:
      - .address_space:  global
        .offset:         0
        .size:           8
        .value_kind:     global_buffer
      - .address_space:  global
        .offset:         8
        .size:           8
        .value_kind:     global_buffer
      - .address_space:  global
        .offset:         16
        .size:           8
        .value_kind:     global_buffer
      - .offset:         24
        .size:           12
        .value_kind:     by_value
      - .offset:         36
        .size:           12
        .value_kind:     by_value
      - .offset:         48
        .size:           12
        .value_kind:     by_value
      - .offset:         60
        .size:           4
        .value_kind:     by_value
      - .offset:         64
        .size:           12
        .value_kind:     by_value
      - .offset:         76
        .size:           12
        .value_kind:     by_value
      - .offset:         88
        .size:           12
        .value_kind:     by_value
      - .offset:         100
        .size:           12
        .value_kind:     by_value
      - .offset:         112
        .size:           12
        .value_kind:     by_value
      - .offset:         124
        .size:           12
        .value_kind:     by_value
      - .offset:         136
        .size:           4
        .value_kind:     by_value
      - .offset:         140
        .size:           4
        .value_kind:     by_value
      - .offset:         144
        .size:           4
        .value_kind:     by_value
      - .offset:         148
        .size:           4
        .value_kind:     by_value
      - .offset:         152
        .size:           4
        .value_kind:     by_value
      - .offset:         156
        .size:           4
        .value_kind:     by_value
      - .offset:         160
        .size:           4
        .value_kind:     by_value
      - .offset:         164
        .size:           4
        .value_kind:     by_value
      - .offset:         168
        .size:           4
        .value_kind:     by_value
      - .offset:         172
        .size:           4
        .value_kind:     by_value
      - .offset:         176
        .size:           4
        .value_kind:     by_value
      - .address_space:  global
        .offset:         184
        .size:           8
        .value_kind:     global_buffer
      - .address_space:  global
        .offset:         192
        .size:           8
        .value_kind:     global_buffer
      - .address_space:  global
        .offset:         200
        .size:           8
        .value_kind:     global_buffer
      - .address_space:  global
        .offset:         208
        .size:           8
        .value_kind:     global_buffer
      - .address_space:  global
        .offset:         216
        .size:           8
        .value_kind:     global_buffer
      - .address_space:  global
        .offset:         224
        .size:           8
        .value_kind:     global_buffer
      - .offset:         232
        .size:           4
        .value_kind:     hidden_block_count_x
      - .offset:         236
        .size:           4
        .value_kind:     hidden_block_count_y
      - .offset:         240
        .size:           4
        .value_kind:     hidden_block_count_z
      - .offset:         244
        .size:           2
        .value_kind:     hidden_group_size_x
      - .offset:         246
        .size:           2
        .value_kind:     hidden_group_size_y
      - .offset:         248
        .size:           2
        .value_kind:     hidden_group_size_z
      - .offset:         250
        .size:           2
        .value_kind:     hidden_remainder_x
      - .offset:         252
        .size:           2
        .value_kind:     hidden_remainder_y
      - .offset:         254
        .size:           2
        .value_kind:     hidden_remainder_z
      - .offset:         272
        .size:           8
        .value_kind:     hidden_global_offset_x
      - .offset:         280
        .size:           8
        .value_kind:     hidden_global_offset_y
      - .offset:         288
        .size:           8
        .value_kind:     hidden_global_offset_z
      - .offset:         296
        .size:           2
        .value_kind:     hidden_grid_dims
    .group_segment_fixed_size: 0
    .kernarg_segment_align: 8
    .kernarg_segment_size: 488
    .language:       OpenCL C
    .language_version:
      - 2
      - 0
    .max_flat_workgroup_size: 1024
    .name:           _ZL19k_bin_bcast_unravelIXadL_ZL6op_mulffEE6__halfS0_S0_JPKS0_S2_S2_S2_S2_S2_EEvPKT0_PKT1_PT2_15HIP_vector_typeIjLj3EESC_SC_jSC_SC_SC_SC_SC_SC_iiiiiiiiiiiDpT3_
    .private_segment_fixed_size: 0
    .sgpr_count:     29
    .sgpr_spill_count: 0
    .symbol:         _ZL19k_bin_bcast_unravelIXadL_ZL6op_mulffEE6__halfS0_S0_JPKS0_S2_S2_S2_S2_S2_EEvPKT0_PKT1_PT2_15HIP_vector_typeIjLj3EESC_SC_jSC_SC_SC_SC_SC_SC_iiiiiiiiiiiDpT3_.kd
    .uniform_work_group_size: 1
    .uses_dynamic_stack: false
    .vgpr_count:     17
    .vgpr_spill_count: 0
    .wavefront_size: 32
  - .args:
      - .address_space:  global
        .offset:         0
        .size:           8
        .value_kind:     global_buffer
      - .address_space:  global
        .offset:         8
        .size:           8
        .value_kind:     global_buffer
      - .address_space:  global
        .offset:         16
        .size:           8
        .value_kind:     global_buffer
      - .offset:         24
        .size:           4
        .value_kind:     by_value
      - .offset:         28
        .size:           4
        .value_kind:     by_value
      - .offset:         32
        .size:           4
        .value_kind:     by_value
      - .offset:         36
        .size:           12
        .value_kind:     by_value
      - .offset:         48
        .size:           12
        .value_kind:     by_value
      - .offset:         60
        .size:           12
        .value_kind:     by_value
      - .offset:         72
        .size:           12
        .value_kind:     by_value
      - .offset:         84
        .size:           12
        .value_kind:     by_value
      - .offset:         96
        .size:           4
        .value_kind:     by_value
      - .offset:         100
        .size:           4
        .value_kind:     by_value
      - .offset:         104
        .size:           4
        .value_kind:     by_value
      - .offset:         108
        .size:           4
        .value_kind:     by_value
      - .offset:         112
        .size:           4
        .value_kind:     by_value
      - .offset:         116
        .size:           4
        .value_kind:     by_value
      - .offset:         120
        .size:           4
        .value_kind:     by_value
      - .offset:         124
        .size:           4
        .value_kind:     by_value
      - .offset:         128
        .size:           4
        .value_kind:     by_value
      - .offset:         132
        .size:           4
        .value_kind:     by_value
      - .offset:         136
        .size:           4
        .value_kind:     by_value
      - .address_space:  global
        .offset:         144
        .size:           8
        .value_kind:     global_buffer
      - .address_space:  global
        .offset:         152
        .size:           8
        .value_kind:     global_buffer
      - .address_space:  global
        .offset:         160
        .size:           8
        .value_kind:     global_buffer
      - .address_space:  global
        .offset:         168
        .size:           8
        .value_kind:     global_buffer
      - .address_space:  global
        .offset:         176
        .size:           8
        .value_kind:     global_buffer
      - .address_space:  global
        .offset:         184
        .size:           8
        .value_kind:     global_buffer
      - .offset:         192
        .size:           4
        .value_kind:     hidden_block_count_x
      - .offset:         196
        .size:           4
        .value_kind:     hidden_block_count_y
      - .offset:         200
        .size:           4
        .value_kind:     hidden_block_count_z
      - .offset:         204
        .size:           2
        .value_kind:     hidden_group_size_x
      - .offset:         206
        .size:           2
        .value_kind:     hidden_group_size_y
      - .offset:         208
        .size:           2
        .value_kind:     hidden_group_size_z
      - .offset:         210
        .size:           2
        .value_kind:     hidden_remainder_x
      - .offset:         212
        .size:           2
        .value_kind:     hidden_remainder_y
      - .offset:         214
        .size:           2
        .value_kind:     hidden_remainder_z
      - .offset:         232
        .size:           8
        .value_kind:     hidden_global_offset_x
      - .offset:         240
        .size:           8
        .value_kind:     hidden_global_offset_y
      - .offset:         248
        .size:           8
        .value_kind:     hidden_global_offset_z
      - .offset:         256
        .size:           2
        .value_kind:     hidden_grid_dims
    .group_segment_fixed_size: 0
    .kernarg_segment_align: 8
    .kernarg_segment_size: 448
    .language:       OpenCL C
    .language_version:
      - 2
      - 0
    .max_flat_workgroup_size: 1024
    .name:           _ZL11k_bin_bcastIXadL_ZL6op_mulffEE6__halfS0_S0_JPKS0_S2_S2_S2_S2_S2_EEvPKT0_PKT1_PT2_iii15HIP_vector_typeIjLj3EESC_SC_SC_SC_iiiiiiiiiiiDpT3_
    .private_segment_fixed_size: 0
    .sgpr_count:     41
    .sgpr_spill_count: 0
    .symbol:         _ZL11k_bin_bcastIXadL_ZL6op_mulffEE6__halfS0_S0_JPKS0_S2_S2_S2_S2_S2_EEvPKT0_PKT1_PT2_iii15HIP_vector_typeIjLj3EESC_SC_SC_SC_iiiiiiiiiiiDpT3_.kd
    .uniform_work_group_size: 1
    .uses_dynamic_stack: false
    .vgpr_count:     21
    .vgpr_spill_count: 0
    .wavefront_size: 32
  - .args:
      - .address_space:  global
        .offset:         0
        .size:           8
        .value_kind:     global_buffer
      - .address_space:  global
        .offset:         8
        .size:           8
        .value_kind:     global_buffer
      - .address_space:  global
        .offset:         16
        .size:           8
        .value_kind:     global_buffer
      - .offset:         24
        .size:           12
        .value_kind:     by_value
      - .offset:         36
        .size:           12
        .value_kind:     by_value
      - .offset:         48
        .size:           12
        .value_kind:     by_value
      - .offset:         60
        .size:           4
        .value_kind:     by_value
      - .offset:         64
        .size:           12
        .value_kind:     by_value
      - .offset:         76
        .size:           12
        .value_kind:     by_value
      - .offset:         88
        .size:           12
        .value_kind:     by_value
      - .offset:         100
        .size:           12
        .value_kind:     by_value
      - .offset:         112
        .size:           12
        .value_kind:     by_value
      - .offset:         124
        .size:           12
        .value_kind:     by_value
      - .offset:         136
        .size:           4
        .value_kind:     by_value
      - .offset:         140
        .size:           4
        .value_kind:     by_value
      - .offset:         144
        .size:           4
        .value_kind:     by_value
      - .offset:         148
        .size:           4
        .value_kind:     by_value
      - .offset:         152
        .size:           4
        .value_kind:     by_value
      - .offset:         156
        .size:           4
        .value_kind:     by_value
      - .offset:         160
        .size:           4
        .value_kind:     by_value
      - .offset:         164
        .size:           4
        .value_kind:     by_value
      - .offset:         168
        .size:           4
        .value_kind:     by_value
      - .offset:         172
        .size:           4
        .value_kind:     by_value
      - .offset:         176
        .size:           4
        .value_kind:     by_value
      - .address_space:  global
        .offset:         184
        .size:           8
        .value_kind:     global_buffer
      - .address_space:  global
        .offset:         192
        .size:           8
        .value_kind:     global_buffer
      - .address_space:  global
        .offset:         200
        .size:           8
        .value_kind:     global_buffer
      - .address_space:  global
        .offset:         208
        .size:           8
        .value_kind:     global_buffer
      - .address_space:  global
        .offset:         216
        .size:           8
        .value_kind:     global_buffer
      - .address_space:  global
        .offset:         224
        .size:           8
        .value_kind:     global_buffer
      - .offset:         232
        .size:           4
        .value_kind:     hidden_block_count_x
      - .offset:         236
        .size:           4
        .value_kind:     hidden_block_count_y
      - .offset:         240
        .size:           4
        .value_kind:     hidden_block_count_z
      - .offset:         244
        .size:           2
        .value_kind:     hidden_group_size_x
      - .offset:         246
        .size:           2
        .value_kind:     hidden_group_size_y
      - .offset:         248
        .size:           2
        .value_kind:     hidden_group_size_z
      - .offset:         250
        .size:           2
        .value_kind:     hidden_remainder_x
      - .offset:         252
        .size:           2
        .value_kind:     hidden_remainder_y
      - .offset:         254
        .size:           2
        .value_kind:     hidden_remainder_z
      - .offset:         272
        .size:           8
        .value_kind:     hidden_global_offset_x
      - .offset:         280
        .size:           8
        .value_kind:     hidden_global_offset_y
      - .offset:         288
        .size:           8
        .value_kind:     hidden_global_offset_z
      - .offset:         296
        .size:           2
        .value_kind:     hidden_grid_dims
    .group_segment_fixed_size: 0
    .kernarg_segment_align: 8
    .kernarg_segment_size: 488
    .language:       OpenCL C
    .language_version:
      - 2
      - 0
    .max_flat_workgroup_size: 1024
    .name:           _ZL19k_bin_bcast_unravelIXadL_ZL6op_mulffEE6__halffS0_JPKfS2_S2_S2_S2_S2_EEvPKT0_PKT1_PT2_15HIP_vector_typeIjLj3EESC_SC_jSC_SC_SC_SC_SC_SC_iiiiiiiiiiiDpT3_
    .private_segment_fixed_size: 0
    .sgpr_count:     29
    .sgpr_spill_count: 0
    .symbol:         _ZL19k_bin_bcast_unravelIXadL_ZL6op_mulffEE6__halffS0_JPKfS2_S2_S2_S2_S2_EEvPKT0_PKT1_PT2_15HIP_vector_typeIjLj3EESC_SC_jSC_SC_SC_SC_SC_SC_iiiiiiiiiiiDpT3_.kd
    .uniform_work_group_size: 1
    .uses_dynamic_stack: false
    .vgpr_count:     16
    .vgpr_spill_count: 0
    .wavefront_size: 32
  - .args:
      - .address_space:  global
        .offset:         0
        .size:           8
        .value_kind:     global_buffer
      - .address_space:  global
        .offset:         8
        .size:           8
        .value_kind:     global_buffer
      - .address_space:  global
        .offset:         16
        .size:           8
        .value_kind:     global_buffer
      - .offset:         24
        .size:           4
        .value_kind:     by_value
      - .offset:         28
        .size:           4
        .value_kind:     by_value
      - .offset:         32
        .size:           4
        .value_kind:     by_value
      - .offset:         36
        .size:           12
        .value_kind:     by_value
      - .offset:         48
        .size:           12
        .value_kind:     by_value
      - .offset:         60
        .size:           12
        .value_kind:     by_value
      - .offset:         72
        .size:           12
        .value_kind:     by_value
      - .offset:         84
        .size:           12
        .value_kind:     by_value
      - .offset:         96
        .size:           4
        .value_kind:     by_value
      - .offset:         100
        .size:           4
        .value_kind:     by_value
      - .offset:         104
        .size:           4
        .value_kind:     by_value
      - .offset:         108
        .size:           4
        .value_kind:     by_value
      - .offset:         112
        .size:           4
        .value_kind:     by_value
      - .offset:         116
        .size:           4
        .value_kind:     by_value
      - .offset:         120
        .size:           4
        .value_kind:     by_value
      - .offset:         124
        .size:           4
        .value_kind:     by_value
      - .offset:         128
        .size:           4
        .value_kind:     by_value
      - .offset:         132
        .size:           4
        .value_kind:     by_value
      - .offset:         136
        .size:           4
        .value_kind:     by_value
      - .address_space:  global
        .offset:         144
        .size:           8
        .value_kind:     global_buffer
      - .address_space:  global
        .offset:         152
        .size:           8
        .value_kind:     global_buffer
      - .address_space:  global
        .offset:         160
        .size:           8
        .value_kind:     global_buffer
      - .address_space:  global
        .offset:         168
        .size:           8
        .value_kind:     global_buffer
      - .address_space:  global
        .offset:         176
        .size:           8
        .value_kind:     global_buffer
      - .address_space:  global
        .offset:         184
        .size:           8
        .value_kind:     global_buffer
      - .offset:         192
        .size:           4
        .value_kind:     hidden_block_count_x
      - .offset:         196
        .size:           4
        .value_kind:     hidden_block_count_y
      - .offset:         200
        .size:           4
        .value_kind:     hidden_block_count_z
      - .offset:         204
        .size:           2
        .value_kind:     hidden_group_size_x
      - .offset:         206
        .size:           2
        .value_kind:     hidden_group_size_y
      - .offset:         208
        .size:           2
        .value_kind:     hidden_group_size_z
      - .offset:         210
        .size:           2
        .value_kind:     hidden_remainder_x
      - .offset:         212
        .size:           2
        .value_kind:     hidden_remainder_y
      - .offset:         214
        .size:           2
        .value_kind:     hidden_remainder_z
      - .offset:         232
        .size:           8
        .value_kind:     hidden_global_offset_x
      - .offset:         240
        .size:           8
        .value_kind:     hidden_global_offset_y
      - .offset:         248
        .size:           8
        .value_kind:     hidden_global_offset_z
      - .offset:         256
        .size:           2
        .value_kind:     hidden_grid_dims
    .group_segment_fixed_size: 0
    .kernarg_segment_align: 8
    .kernarg_segment_size: 448
    .language:       OpenCL C
    .language_version:
      - 2
      - 0
    .max_flat_workgroup_size: 1024
    .name:           _ZL11k_bin_bcastIXadL_ZL6op_mulffEE6__halffS0_JPKfS2_S2_S2_S2_S2_EEvPKT0_PKT1_PT2_iii15HIP_vector_typeIjLj3EESC_SC_SC_SC_iiiiiiiiiiiDpT3_
    .private_segment_fixed_size: 0
    .sgpr_count:     41
    .sgpr_spill_count: 0
    .symbol:         _ZL11k_bin_bcastIXadL_ZL6op_mulffEE6__halffS0_JPKfS2_S2_S2_S2_S2_EEvPKT0_PKT1_PT2_iii15HIP_vector_typeIjLj3EESC_SC_SC_SC_iiiiiiiiiiiDpT3_.kd
    .uniform_work_group_size: 1
    .uses_dynamic_stack: false
    .vgpr_count:     20
    .vgpr_spill_count: 0
    .wavefront_size: 32
  - .args:
      - .address_space:  global
        .offset:         0
        .size:           8
        .value_kind:     global_buffer
      - .address_space:  global
        .offset:         8
        .size:           8
        .value_kind:     global_buffer
      - .address_space:  global
        .offset:         16
        .size:           8
        .value_kind:     global_buffer
      - .offset:         24
        .size:           12
        .value_kind:     by_value
      - .offset:         36
        .size:           12
        .value_kind:     by_value
      - .offset:         48
        .size:           12
        .value_kind:     by_value
      - .offset:         60
        .size:           4
        .value_kind:     by_value
      - .offset:         64
        .size:           12
        .value_kind:     by_value
      - .offset:         76
        .size:           12
        .value_kind:     by_value
      - .offset:         88
        .size:           12
        .value_kind:     by_value
      - .offset:         100
        .size:           12
        .value_kind:     by_value
      - .offset:         112
        .size:           12
        .value_kind:     by_value
      - .offset:         124
        .size:           12
        .value_kind:     by_value
      - .offset:         136
        .size:           4
        .value_kind:     by_value
      - .offset:         140
        .size:           4
        .value_kind:     by_value
      - .offset:         144
        .size:           4
        .value_kind:     by_value
      - .offset:         148
        .size:           4
        .value_kind:     by_value
      - .offset:         152
        .size:           4
        .value_kind:     by_value
      - .offset:         156
        .size:           4
        .value_kind:     by_value
      - .offset:         160
        .size:           4
        .value_kind:     by_value
      - .offset:         164
        .size:           4
        .value_kind:     by_value
      - .offset:         168
        .size:           4
        .value_kind:     by_value
      - .offset:         172
        .size:           4
        .value_kind:     by_value
      - .offset:         176
        .size:           4
        .value_kind:     by_value
      - .address_space:  global
        .offset:         184
        .size:           8
        .value_kind:     global_buffer
      - .address_space:  global
        .offset:         192
        .size:           8
        .value_kind:     global_buffer
      - .address_space:  global
        .offset:         200
        .size:           8
        .value_kind:     global_buffer
      - .address_space:  global
        .offset:         208
        .size:           8
        .value_kind:     global_buffer
      - .address_space:  global
        .offset:         216
        .size:           8
        .value_kind:     global_buffer
      - .address_space:  global
        .offset:         224
        .size:           8
        .value_kind:     global_buffer
      - .offset:         232
        .size:           4
        .value_kind:     hidden_block_count_x
      - .offset:         236
        .size:           4
        .value_kind:     hidden_block_count_y
      - .offset:         240
        .size:           4
        .value_kind:     hidden_block_count_z
      - .offset:         244
        .size:           2
        .value_kind:     hidden_group_size_x
      - .offset:         246
        .size:           2
        .value_kind:     hidden_group_size_y
      - .offset:         248
        .size:           2
        .value_kind:     hidden_group_size_z
      - .offset:         250
        .size:           2
        .value_kind:     hidden_remainder_x
      - .offset:         252
        .size:           2
        .value_kind:     hidden_remainder_y
      - .offset:         254
        .size:           2
        .value_kind:     hidden_remainder_z
      - .offset:         272
        .size:           8
        .value_kind:     hidden_global_offset_x
      - .offset:         280
        .size:           8
        .value_kind:     hidden_global_offset_y
      - .offset:         288
        .size:           8
        .value_kind:     hidden_global_offset_z
      - .offset:         296
        .size:           2
        .value_kind:     hidden_grid_dims
    .group_segment_fixed_size: 0
    .kernarg_segment_align: 8
    .kernarg_segment_size: 488
    .language:       OpenCL C
    .language_version:
      - 2
      - 0
    .max_flat_workgroup_size: 1024
    .name:           _ZL19k_bin_bcast_unravelIXadL_ZL6op_mulffEE6__halfffJPKfS2_S2_S2_S2_S2_EEvPKT0_PKT1_PT2_15HIP_vector_typeIjLj3EESC_SC_jSC_SC_SC_SC_SC_SC_iiiiiiiiiiiDpT3_
    .private_segment_fixed_size: 0
    .sgpr_count:     29
    .sgpr_spill_count: 0
    .symbol:         _ZL19k_bin_bcast_unravelIXadL_ZL6op_mulffEE6__halfffJPKfS2_S2_S2_S2_S2_EEvPKT0_PKT1_PT2_15HIP_vector_typeIjLj3EESC_SC_jSC_SC_SC_SC_SC_SC_iiiiiiiiiiiDpT3_.kd
    .uniform_work_group_size: 1
    .uses_dynamic_stack: false
    .vgpr_count:     16
    .vgpr_spill_count: 0
    .wavefront_size: 32
  - .args:
      - .address_space:  global
        .offset:         0
        .size:           8
        .value_kind:     global_buffer
      - .address_space:  global
        .offset:         8
        .size:           8
        .value_kind:     global_buffer
      - .address_space:  global
        .offset:         16
        .size:           8
        .value_kind:     global_buffer
      - .offset:         24
        .size:           4
        .value_kind:     by_value
      - .offset:         28
        .size:           4
        .value_kind:     by_value
      - .offset:         32
        .size:           4
        .value_kind:     by_value
      - .offset:         36
        .size:           12
        .value_kind:     by_value
      - .offset:         48
        .size:           12
        .value_kind:     by_value
      - .offset:         60
        .size:           12
        .value_kind:     by_value
      - .offset:         72
        .size:           12
        .value_kind:     by_value
      - .offset:         84
        .size:           12
        .value_kind:     by_value
      - .offset:         96
        .size:           4
        .value_kind:     by_value
      - .offset:         100
        .size:           4
        .value_kind:     by_value
      - .offset:         104
        .size:           4
        .value_kind:     by_value
      - .offset:         108
        .size:           4
        .value_kind:     by_value
      - .offset:         112
        .size:           4
        .value_kind:     by_value
      - .offset:         116
        .size:           4
        .value_kind:     by_value
      - .offset:         120
        .size:           4
        .value_kind:     by_value
      - .offset:         124
        .size:           4
        .value_kind:     by_value
      - .offset:         128
        .size:           4
        .value_kind:     by_value
      - .offset:         132
        .size:           4
        .value_kind:     by_value
      - .offset:         136
        .size:           4
        .value_kind:     by_value
      - .address_space:  global
        .offset:         144
        .size:           8
        .value_kind:     global_buffer
      - .address_space:  global
        .offset:         152
        .size:           8
        .value_kind:     global_buffer
      - .address_space:  global
        .offset:         160
        .size:           8
        .value_kind:     global_buffer
      - .address_space:  global
        .offset:         168
        .size:           8
        .value_kind:     global_buffer
      - .address_space:  global
        .offset:         176
        .size:           8
        .value_kind:     global_buffer
      - .address_space:  global
        .offset:         184
        .size:           8
        .value_kind:     global_buffer
      - .offset:         192
        .size:           4
        .value_kind:     hidden_block_count_x
      - .offset:         196
        .size:           4
        .value_kind:     hidden_block_count_y
      - .offset:         200
        .size:           4
        .value_kind:     hidden_block_count_z
      - .offset:         204
        .size:           2
        .value_kind:     hidden_group_size_x
      - .offset:         206
        .size:           2
        .value_kind:     hidden_group_size_y
      - .offset:         208
        .size:           2
        .value_kind:     hidden_group_size_z
      - .offset:         210
        .size:           2
        .value_kind:     hidden_remainder_x
      - .offset:         212
        .size:           2
        .value_kind:     hidden_remainder_y
      - .offset:         214
        .size:           2
        .value_kind:     hidden_remainder_z
      - .offset:         232
        .size:           8
        .value_kind:     hidden_global_offset_x
      - .offset:         240
        .size:           8
        .value_kind:     hidden_global_offset_y
      - .offset:         248
        .size:           8
        .value_kind:     hidden_global_offset_z
      - .offset:         256
        .size:           2
        .value_kind:     hidden_grid_dims
    .group_segment_fixed_size: 0
    .kernarg_segment_align: 8
    .kernarg_segment_size: 448
    .language:       OpenCL C
    .language_version:
      - 2
      - 0
    .max_flat_workgroup_size: 1024
    .name:           _ZL11k_bin_bcastIXadL_ZL6op_mulffEE6__halfffJPKfS2_S2_S2_S2_S2_EEvPKT0_PKT1_PT2_iii15HIP_vector_typeIjLj3EESC_SC_SC_SC_iiiiiiiiiiiDpT3_
    .private_segment_fixed_size: 0
    .sgpr_count:     41
    .sgpr_spill_count: 0
    .symbol:         _ZL11k_bin_bcastIXadL_ZL6op_mulffEE6__halfffJPKfS2_S2_S2_S2_S2_EEvPKT0_PKT1_PT2_iii15HIP_vector_typeIjLj3EESC_SC_SC_SC_iiiiiiiiiiiDpT3_.kd
    .uniform_work_group_size: 1
    .uses_dynamic_stack: false
    .vgpr_count:     20
    .vgpr_spill_count: 0
    .wavefront_size: 32
  - .args:
      - .address_space:  global
        .offset:         0
        .size:           8
        .value_kind:     global_buffer
      - .address_space:  global
        .offset:         8
        .size:           8
        .value_kind:     global_buffer
      - .address_space:  global
        .offset:         16
        .size:           8
        .value_kind:     global_buffer
      - .offset:         24
        .size:           12
        .value_kind:     by_value
      - .offset:         36
        .size:           12
        .value_kind:     by_value
      - .offset:         48
        .size:           12
        .value_kind:     by_value
      - .offset:         60
        .size:           4
        .value_kind:     by_value
      - .offset:         64
        .size:           12
        .value_kind:     by_value
      - .offset:         76
        .size:           12
        .value_kind:     by_value
      - .offset:         88
        .size:           12
        .value_kind:     by_value
      - .offset:         100
        .size:           12
        .value_kind:     by_value
      - .offset:         112
        .size:           12
        .value_kind:     by_value
      - .offset:         124
        .size:           12
        .value_kind:     by_value
      - .offset:         136
        .size:           4
        .value_kind:     by_value
      - .offset:         140
        .size:           4
        .value_kind:     by_value
      - .offset:         144
        .size:           4
        .value_kind:     by_value
      - .offset:         148
        .size:           4
        .value_kind:     by_value
      - .offset:         152
        .size:           4
        .value_kind:     by_value
      - .offset:         156
        .size:           4
        .value_kind:     by_value
      - .offset:         160
        .size:           4
        .value_kind:     by_value
      - .offset:         164
        .size:           4
        .value_kind:     by_value
      - .offset:         168
        .size:           4
        .value_kind:     by_value
      - .offset:         172
        .size:           4
        .value_kind:     by_value
      - .offset:         176
        .size:           4
        .value_kind:     by_value
      - .address_space:  global
        .offset:         184
        .size:           8
        .value_kind:     global_buffer
      - .address_space:  global
        .offset:         192
        .size:           8
        .value_kind:     global_buffer
      - .address_space:  global
        .offset:         200
        .size:           8
        .value_kind:     global_buffer
      - .address_space:  global
        .offset:         208
        .size:           8
        .value_kind:     global_buffer
      - .address_space:  global
        .offset:         216
        .size:           8
        .value_kind:     global_buffer
      - .address_space:  global
        .offset:         224
        .size:           8
        .value_kind:     global_buffer
      - .address_space:  global
        .offset:         232
        .size:           8
        .value_kind:     global_buffer
      - .offset:         240
        .size:           4
        .value_kind:     hidden_block_count_x
      - .offset:         244
        .size:           4
        .value_kind:     hidden_block_count_y
      - .offset:         248
        .size:           4
        .value_kind:     hidden_block_count_z
      - .offset:         252
        .size:           2
        .value_kind:     hidden_group_size_x
      - .offset:         254
        .size:           2
        .value_kind:     hidden_group_size_y
      - .offset:         256
        .size:           2
        .value_kind:     hidden_group_size_z
      - .offset:         258
        .size:           2
        .value_kind:     hidden_remainder_x
      - .offset:         260
        .size:           2
        .value_kind:     hidden_remainder_y
      - .offset:         262
        .size:           2
        .value_kind:     hidden_remainder_z
      - .offset:         280
        .size:           8
        .value_kind:     hidden_global_offset_x
      - .offset:         288
        .size:           8
        .value_kind:     hidden_global_offset_y
      - .offset:         296
        .size:           8
        .value_kind:     hidden_global_offset_z
      - .offset:         304
        .size:           2
        .value_kind:     hidden_grid_dims
    .group_segment_fixed_size: 0
    .kernarg_segment_align: 8
    .kernarg_segment_size: 496
    .language:       OpenCL C
    .language_version:
      - 2
      - 0
    .max_flat_workgroup_size: 1024
    .name:           _ZL19k_bin_bcast_unravelIXadL_ZL6op_mulffEEfffJPKfS1_S1_S1_S1_S1_S1_EEvPKT0_PKT1_PT2_15HIP_vector_typeIjLj3EESB_SB_jSB_SB_SB_SB_SB_SB_iiiiiiiiiiiDpT3_
    .private_segment_fixed_size: 0
    .sgpr_count:     29
    .sgpr_spill_count: 0
    .symbol:         _ZL19k_bin_bcast_unravelIXadL_ZL6op_mulffEEfffJPKfS1_S1_S1_S1_S1_S1_EEvPKT0_PKT1_PT2_15HIP_vector_typeIjLj3EESB_SB_jSB_SB_SB_SB_SB_SB_iiiiiiiiiiiDpT3_.kd
    .uniform_work_group_size: 1
    .uses_dynamic_stack: false
    .vgpr_count:     17
    .vgpr_spill_count: 0
    .wavefront_size: 32
  - .args:
      - .address_space:  global
        .offset:         0
        .size:           8
        .value_kind:     global_buffer
      - .address_space:  global
        .offset:         8
        .size:           8
        .value_kind:     global_buffer
      - .address_space:  global
        .offset:         16
        .size:           8
        .value_kind:     global_buffer
      - .offset:         24
        .size:           4
        .value_kind:     by_value
      - .offset:         28
        .size:           4
        .value_kind:     by_value
      - .offset:         32
        .size:           4
        .value_kind:     by_value
      - .offset:         36
        .size:           12
        .value_kind:     by_value
      - .offset:         48
        .size:           12
        .value_kind:     by_value
      - .offset:         60
        .size:           12
        .value_kind:     by_value
      - .offset:         72
        .size:           12
        .value_kind:     by_value
      - .offset:         84
        .size:           12
        .value_kind:     by_value
      - .offset:         96
        .size:           4
        .value_kind:     by_value
      - .offset:         100
        .size:           4
        .value_kind:     by_value
      - .offset:         104
        .size:           4
        .value_kind:     by_value
      - .offset:         108
        .size:           4
        .value_kind:     by_value
      - .offset:         112
        .size:           4
        .value_kind:     by_value
      - .offset:         116
        .size:           4
        .value_kind:     by_value
      - .offset:         120
        .size:           4
        .value_kind:     by_value
      - .offset:         124
        .size:           4
        .value_kind:     by_value
      - .offset:         128
        .size:           4
        .value_kind:     by_value
      - .offset:         132
        .size:           4
        .value_kind:     by_value
      - .offset:         136
        .size:           4
        .value_kind:     by_value
      - .address_space:  global
        .offset:         144
        .size:           8
        .value_kind:     global_buffer
      - .address_space:  global
        .offset:         152
        .size:           8
        .value_kind:     global_buffer
      - .address_space:  global
        .offset:         160
        .size:           8
        .value_kind:     global_buffer
      - .address_space:  global
        .offset:         168
        .size:           8
        .value_kind:     global_buffer
      - .address_space:  global
        .offset:         176
        .size:           8
        .value_kind:     global_buffer
      - .address_space:  global
        .offset:         184
        .size:           8
        .value_kind:     global_buffer
      - .address_space:  global
        .offset:         192
        .size:           8
        .value_kind:     global_buffer
      - .offset:         200
        .size:           4
        .value_kind:     hidden_block_count_x
      - .offset:         204
        .size:           4
        .value_kind:     hidden_block_count_y
      - .offset:         208
        .size:           4
        .value_kind:     hidden_block_count_z
      - .offset:         212
        .size:           2
        .value_kind:     hidden_group_size_x
      - .offset:         214
        .size:           2
        .value_kind:     hidden_group_size_y
      - .offset:         216
        .size:           2
        .value_kind:     hidden_group_size_z
      - .offset:         218
        .size:           2
        .value_kind:     hidden_remainder_x
      - .offset:         220
        .size:           2
        .value_kind:     hidden_remainder_y
      - .offset:         222
        .size:           2
        .value_kind:     hidden_remainder_z
      - .offset:         240
        .size:           8
        .value_kind:     hidden_global_offset_x
      - .offset:         248
        .size:           8
        .value_kind:     hidden_global_offset_y
      - .offset:         256
        .size:           8
        .value_kind:     hidden_global_offset_z
      - .offset:         264
        .size:           2
        .value_kind:     hidden_grid_dims
    .group_segment_fixed_size: 0
    .kernarg_segment_align: 8
    .kernarg_segment_size: 456
    .language:       OpenCL C
    .language_version:
      - 2
      - 0
    .max_flat_workgroup_size: 1024
    .name:           _ZL11k_bin_bcastIXadL_ZL6op_mulffEEfffJPKfS1_S1_S1_S1_S1_S1_EEvPKT0_PKT1_PT2_iii15HIP_vector_typeIjLj3EESB_SB_SB_SB_iiiiiiiiiiiDpT3_
    .private_segment_fixed_size: 0
    .sgpr_count:     46
    .sgpr_spill_count: 0
    .symbol:         _ZL11k_bin_bcastIXadL_ZL6op_mulffEEfffJPKfS1_S1_S1_S1_S1_S1_EEvPKT0_PKT1_PT2_iii15HIP_vector_typeIjLj3EESB_SB_SB_SB_iiiiiiiiiiiDpT3_.kd
    .uniform_work_group_size: 1
    .uses_dynamic_stack: false
    .vgpr_count:     21
    .vgpr_spill_count: 0
    .wavefront_size: 32
  - .args:
      - .address_space:  global
        .offset:         0
        .size:           8
        .value_kind:     global_buffer
      - .address_space:  global
        .offset:         8
        .size:           8
        .value_kind:     global_buffer
      - .address_space:  global
        .offset:         16
        .size:           8
        .value_kind:     global_buffer
      - .offset:         24
        .size:           12
        .value_kind:     by_value
      - .offset:         36
        .size:           12
        .value_kind:     by_value
      - .offset:         48
        .size:           12
        .value_kind:     by_value
      - .offset:         60
        .size:           4
        .value_kind:     by_value
      - .offset:         64
        .size:           12
        .value_kind:     by_value
      - .offset:         76
        .size:           12
        .value_kind:     by_value
      - .offset:         88
        .size:           12
        .value_kind:     by_value
      - .offset:         100
        .size:           12
        .value_kind:     by_value
      - .offset:         112
        .size:           12
        .value_kind:     by_value
      - .offset:         124
        .size:           12
        .value_kind:     by_value
      - .offset:         136
        .size:           4
        .value_kind:     by_value
      - .offset:         140
        .size:           4
        .value_kind:     by_value
      - .offset:         144
        .size:           4
        .value_kind:     by_value
      - .offset:         148
        .size:           4
        .value_kind:     by_value
      - .offset:         152
        .size:           4
        .value_kind:     by_value
      - .offset:         156
        .size:           4
        .value_kind:     by_value
      - .offset:         160
        .size:           4
        .value_kind:     by_value
      - .offset:         164
        .size:           4
        .value_kind:     by_value
      - .offset:         168
        .size:           4
        .value_kind:     by_value
      - .offset:         172
        .size:           4
        .value_kind:     by_value
      - .offset:         176
        .size:           4
        .value_kind:     by_value
      - .address_space:  global
        .offset:         184
        .size:           8
        .value_kind:     global_buffer
      - .address_space:  global
        .offset:         192
        .size:           8
        .value_kind:     global_buffer
      - .address_space:  global
        .offset:         200
        .size:           8
        .value_kind:     global_buffer
      - .address_space:  global
        .offset:         208
        .size:           8
        .value_kind:     global_buffer
      - .address_space:  global
        .offset:         216
        .size:           8
        .value_kind:     global_buffer
      - .address_space:  global
        .offset:         224
        .size:           8
        .value_kind:     global_buffer
      - .address_space:  global
        .offset:         232
        .size:           8
        .value_kind:     global_buffer
      - .offset:         240
        .size:           4
        .value_kind:     hidden_block_count_x
      - .offset:         244
        .size:           4
        .value_kind:     hidden_block_count_y
      - .offset:         248
        .size:           4
        .value_kind:     hidden_block_count_z
      - .offset:         252
        .size:           2
        .value_kind:     hidden_group_size_x
      - .offset:         254
        .size:           2
        .value_kind:     hidden_group_size_y
      - .offset:         256
        .size:           2
        .value_kind:     hidden_group_size_z
      - .offset:         258
        .size:           2
        .value_kind:     hidden_remainder_x
      - .offset:         260
        .size:           2
        .value_kind:     hidden_remainder_y
      - .offset:         262
        .size:           2
        .value_kind:     hidden_remainder_z
      - .offset:         280
        .size:           8
        .value_kind:     hidden_global_offset_x
      - .offset:         288
        .size:           8
        .value_kind:     hidden_global_offset_y
      - .offset:         296
        .size:           8
        .value_kind:     hidden_global_offset_z
      - .offset:         304
        .size:           2
        .value_kind:     hidden_grid_dims
    .group_segment_fixed_size: 0
    .kernarg_segment_align: 8
    .kernarg_segment_size: 496
    .language:       OpenCL C
    .language_version:
      - 2
      - 0
    .max_flat_workgroup_size: 1024
    .name:           _ZL19k_bin_bcast_unravelIXadL_ZL6op_mulffEE6__halfS0_S0_JPKS0_S2_S2_S2_S2_S2_S2_EEvPKT0_PKT1_PT2_15HIP_vector_typeIjLj3EESC_SC_jSC_SC_SC_SC_SC_SC_iiiiiiiiiiiDpT3_
    .private_segment_fixed_size: 0
    .sgpr_count:     29
    .sgpr_spill_count: 0
    .symbol:         _ZL19k_bin_bcast_unravelIXadL_ZL6op_mulffEE6__halfS0_S0_JPKS0_S2_S2_S2_S2_S2_S2_EEvPKT0_PKT1_PT2_15HIP_vector_typeIjLj3EESC_SC_jSC_SC_SC_SC_SC_SC_iiiiiiiiiiiDpT3_.kd
    .uniform_work_group_size: 1
    .uses_dynamic_stack: false
    .vgpr_count:     18
    .vgpr_spill_count: 0
    .wavefront_size: 32
  - .args:
      - .address_space:  global
        .offset:         0
        .size:           8
        .value_kind:     global_buffer
      - .address_space:  global
        .offset:         8
        .size:           8
        .value_kind:     global_buffer
      - .address_space:  global
        .offset:         16
        .size:           8
        .value_kind:     global_buffer
      - .offset:         24
        .size:           4
        .value_kind:     by_value
      - .offset:         28
        .size:           4
        .value_kind:     by_value
      - .offset:         32
        .size:           4
        .value_kind:     by_value
      - .offset:         36
        .size:           12
        .value_kind:     by_value
      - .offset:         48
        .size:           12
        .value_kind:     by_value
      - .offset:         60
        .size:           12
        .value_kind:     by_value
      - .offset:         72
        .size:           12
        .value_kind:     by_value
      - .offset:         84
        .size:           12
        .value_kind:     by_value
      - .offset:         96
        .size:           4
        .value_kind:     by_value
      - .offset:         100
        .size:           4
        .value_kind:     by_value
      - .offset:         104
        .size:           4
        .value_kind:     by_value
      - .offset:         108
        .size:           4
        .value_kind:     by_value
      - .offset:         112
        .size:           4
        .value_kind:     by_value
      - .offset:         116
        .size:           4
        .value_kind:     by_value
      - .offset:         120
        .size:           4
        .value_kind:     by_value
      - .offset:         124
        .size:           4
        .value_kind:     by_value
      - .offset:         128
        .size:           4
        .value_kind:     by_value
      - .offset:         132
        .size:           4
        .value_kind:     by_value
      - .offset:         136
        .size:           4
        .value_kind:     by_value
      - .address_space:  global
        .offset:         144
        .size:           8
        .value_kind:     global_buffer
      - .address_space:  global
        .offset:         152
        .size:           8
        .value_kind:     global_buffer
      - .address_space:  global
        .offset:         160
        .size:           8
        .value_kind:     global_buffer
      - .address_space:  global
        .offset:         168
        .size:           8
        .value_kind:     global_buffer
      - .address_space:  global
        .offset:         176
        .size:           8
        .value_kind:     global_buffer
      - .address_space:  global
        .offset:         184
        .size:           8
        .value_kind:     global_buffer
      - .address_space:  global
        .offset:         192
        .size:           8
        .value_kind:     global_buffer
      - .offset:         200
        .size:           4
        .value_kind:     hidden_block_count_x
      - .offset:         204
        .size:           4
        .value_kind:     hidden_block_count_y
      - .offset:         208
        .size:           4
        .value_kind:     hidden_block_count_z
      - .offset:         212
        .size:           2
        .value_kind:     hidden_group_size_x
      - .offset:         214
        .size:           2
        .value_kind:     hidden_group_size_y
      - .offset:         216
        .size:           2
        .value_kind:     hidden_group_size_z
      - .offset:         218
        .size:           2
        .value_kind:     hidden_remainder_x
      - .offset:         220
        .size:           2
        .value_kind:     hidden_remainder_y
      - .offset:         222
        .size:           2
        .value_kind:     hidden_remainder_z
      - .offset:         240
        .size:           8
        .value_kind:     hidden_global_offset_x
      - .offset:         248
        .size:           8
        .value_kind:     hidden_global_offset_y
      - .offset:         256
        .size:           8
        .value_kind:     hidden_global_offset_z
      - .offset:         264
        .size:           2
        .value_kind:     hidden_grid_dims
    .group_segment_fixed_size: 0
    .kernarg_segment_align: 8
    .kernarg_segment_size: 456
    .language:       OpenCL C
    .language_version:
      - 2
      - 0
    .max_flat_workgroup_size: 1024
    .name:           _ZL11k_bin_bcastIXadL_ZL6op_mulffEE6__halfS0_S0_JPKS0_S2_S2_S2_S2_S2_S2_EEvPKT0_PKT1_PT2_iii15HIP_vector_typeIjLj3EESC_SC_SC_SC_iiiiiiiiiiiDpT3_
    .private_segment_fixed_size: 0
    .sgpr_count:     46
    .sgpr_spill_count: 0
    .symbol:         _ZL11k_bin_bcastIXadL_ZL6op_mulffEE6__halfS0_S0_JPKS0_S2_S2_S2_S2_S2_S2_EEvPKT0_PKT1_PT2_iii15HIP_vector_typeIjLj3EESC_SC_SC_SC_iiiiiiiiiiiDpT3_.kd
    .uniform_work_group_size: 1
    .uses_dynamic_stack: false
    .vgpr_count:     22
    .vgpr_spill_count: 0
    .wavefront_size: 32
  - .args:
      - .address_space:  global
        .offset:         0
        .size:           8
        .value_kind:     global_buffer
      - .address_space:  global
        .offset:         8
        .size:           8
        .value_kind:     global_buffer
      - .address_space:  global
        .offset:         16
        .size:           8
        .value_kind:     global_buffer
      - .offset:         24
        .size:           12
        .value_kind:     by_value
      - .offset:         36
        .size:           12
        .value_kind:     by_value
      - .offset:         48
        .size:           12
        .value_kind:     by_value
      - .offset:         60
        .size:           4
        .value_kind:     by_value
      - .offset:         64
        .size:           12
        .value_kind:     by_value
      - .offset:         76
        .size:           12
        .value_kind:     by_value
      - .offset:         88
        .size:           12
        .value_kind:     by_value
      - .offset:         100
        .size:           12
        .value_kind:     by_value
      - .offset:         112
        .size:           12
        .value_kind:     by_value
      - .offset:         124
        .size:           12
        .value_kind:     by_value
      - .offset:         136
        .size:           4
        .value_kind:     by_value
      - .offset:         140
        .size:           4
        .value_kind:     by_value
      - .offset:         144
        .size:           4
        .value_kind:     by_value
      - .offset:         148
        .size:           4
        .value_kind:     by_value
      - .offset:         152
        .size:           4
        .value_kind:     by_value
      - .offset:         156
        .size:           4
        .value_kind:     by_value
      - .offset:         160
        .size:           4
        .value_kind:     by_value
      - .offset:         164
        .size:           4
        .value_kind:     by_value
      - .offset:         168
        .size:           4
        .value_kind:     by_value
      - .offset:         172
        .size:           4
        .value_kind:     by_value
      - .offset:         176
        .size:           4
        .value_kind:     by_value
      - .address_space:  global
        .offset:         184
        .size:           8
        .value_kind:     global_buffer
      - .address_space:  global
        .offset:         192
        .size:           8
        .value_kind:     global_buffer
      - .address_space:  global
        .offset:         200
        .size:           8
        .value_kind:     global_buffer
      - .address_space:  global
        .offset:         208
        .size:           8
        .value_kind:     global_buffer
      - .address_space:  global
        .offset:         216
        .size:           8
        .value_kind:     global_buffer
      - .address_space:  global
        .offset:         224
        .size:           8
        .value_kind:     global_buffer
      - .address_space:  global
        .offset:         232
        .size:           8
        .value_kind:     global_buffer
      - .offset:         240
        .size:           4
        .value_kind:     hidden_block_count_x
      - .offset:         244
        .size:           4
        .value_kind:     hidden_block_count_y
      - .offset:         248
        .size:           4
        .value_kind:     hidden_block_count_z
      - .offset:         252
        .size:           2
        .value_kind:     hidden_group_size_x
      - .offset:         254
        .size:           2
        .value_kind:     hidden_group_size_y
      - .offset:         256
        .size:           2
        .value_kind:     hidden_group_size_z
      - .offset:         258
        .size:           2
        .value_kind:     hidden_remainder_x
      - .offset:         260
        .size:           2
        .value_kind:     hidden_remainder_y
      - .offset:         262
        .size:           2
        .value_kind:     hidden_remainder_z
      - .offset:         280
        .size:           8
        .value_kind:     hidden_global_offset_x
      - .offset:         288
        .size:           8
        .value_kind:     hidden_global_offset_y
      - .offset:         296
        .size:           8
        .value_kind:     hidden_global_offset_z
      - .offset:         304
        .size:           2
        .value_kind:     hidden_grid_dims
    .group_segment_fixed_size: 0
    .kernarg_segment_align: 8
    .kernarg_segment_size: 496
    .language:       OpenCL C
    .language_version:
      - 2
      - 0
    .max_flat_workgroup_size: 1024
    .name:           _ZL19k_bin_bcast_unravelIXadL_ZL6op_mulffEE6__halffS0_JPKfS2_S2_S2_S2_S2_S2_EEvPKT0_PKT1_PT2_15HIP_vector_typeIjLj3EESC_SC_jSC_SC_SC_SC_SC_SC_iiiiiiiiiiiDpT3_
    .private_segment_fixed_size: 0
    .sgpr_count:     29
    .sgpr_spill_count: 0
    .symbol:         _ZL19k_bin_bcast_unravelIXadL_ZL6op_mulffEE6__halffS0_JPKfS2_S2_S2_S2_S2_S2_EEvPKT0_PKT1_PT2_15HIP_vector_typeIjLj3EESC_SC_jSC_SC_SC_SC_SC_SC_iiiiiiiiiiiDpT3_.kd
    .uniform_work_group_size: 1
    .uses_dynamic_stack: false
    .vgpr_count:     17
    .vgpr_spill_count: 0
    .wavefront_size: 32
  - .args:
      - .address_space:  global
        .offset:         0
        .size:           8
        .value_kind:     global_buffer
      - .address_space:  global
        .offset:         8
        .size:           8
        .value_kind:     global_buffer
      - .address_space:  global
        .offset:         16
        .size:           8
        .value_kind:     global_buffer
      - .offset:         24
        .size:           4
        .value_kind:     by_value
      - .offset:         28
        .size:           4
        .value_kind:     by_value
      - .offset:         32
        .size:           4
        .value_kind:     by_value
      - .offset:         36
        .size:           12
        .value_kind:     by_value
      - .offset:         48
        .size:           12
        .value_kind:     by_value
      - .offset:         60
        .size:           12
        .value_kind:     by_value
      - .offset:         72
        .size:           12
        .value_kind:     by_value
      - .offset:         84
        .size:           12
        .value_kind:     by_value
      - .offset:         96
        .size:           4
        .value_kind:     by_value
      - .offset:         100
        .size:           4
        .value_kind:     by_value
      - .offset:         104
        .size:           4
        .value_kind:     by_value
      - .offset:         108
        .size:           4
        .value_kind:     by_value
      - .offset:         112
        .size:           4
        .value_kind:     by_value
      - .offset:         116
        .size:           4
        .value_kind:     by_value
      - .offset:         120
        .size:           4
        .value_kind:     by_value
      - .offset:         124
        .size:           4
        .value_kind:     by_value
      - .offset:         128
        .size:           4
        .value_kind:     by_value
      - .offset:         132
        .size:           4
        .value_kind:     by_value
      - .offset:         136
        .size:           4
        .value_kind:     by_value
      - .address_space:  global
        .offset:         144
        .size:           8
        .value_kind:     global_buffer
      - .address_space:  global
        .offset:         152
        .size:           8
        .value_kind:     global_buffer
      - .address_space:  global
        .offset:         160
        .size:           8
        .value_kind:     global_buffer
      - .address_space:  global
        .offset:         168
        .size:           8
        .value_kind:     global_buffer
      - .address_space:  global
        .offset:         176
        .size:           8
        .value_kind:     global_buffer
      - .address_space:  global
        .offset:         184
        .size:           8
        .value_kind:     global_buffer
      - .address_space:  global
        .offset:         192
        .size:           8
        .value_kind:     global_buffer
      - .offset:         200
        .size:           4
        .value_kind:     hidden_block_count_x
      - .offset:         204
        .size:           4
        .value_kind:     hidden_block_count_y
      - .offset:         208
        .size:           4
        .value_kind:     hidden_block_count_z
      - .offset:         212
        .size:           2
        .value_kind:     hidden_group_size_x
      - .offset:         214
        .size:           2
        .value_kind:     hidden_group_size_y
      - .offset:         216
        .size:           2
        .value_kind:     hidden_group_size_z
      - .offset:         218
        .size:           2
        .value_kind:     hidden_remainder_x
      - .offset:         220
        .size:           2
        .value_kind:     hidden_remainder_y
      - .offset:         222
        .size:           2
        .value_kind:     hidden_remainder_z
      - .offset:         240
        .size:           8
        .value_kind:     hidden_global_offset_x
      - .offset:         248
        .size:           8
        .value_kind:     hidden_global_offset_y
      - .offset:         256
        .size:           8
        .value_kind:     hidden_global_offset_z
      - .offset:         264
        .size:           2
        .value_kind:     hidden_grid_dims
    .group_segment_fixed_size: 0
    .kernarg_segment_align: 8
    .kernarg_segment_size: 456
    .language:       OpenCL C
    .language_version:
      - 2
      - 0
    .max_flat_workgroup_size: 1024
    .name:           _ZL11k_bin_bcastIXadL_ZL6op_mulffEE6__halffS0_JPKfS2_S2_S2_S2_S2_S2_EEvPKT0_PKT1_PT2_iii15HIP_vector_typeIjLj3EESC_SC_SC_SC_iiiiiiiiiiiDpT3_
    .private_segment_fixed_size: 0
    .sgpr_count:     46
    .sgpr_spill_count: 0
    .symbol:         _ZL11k_bin_bcastIXadL_ZL6op_mulffEE6__halffS0_JPKfS2_S2_S2_S2_S2_S2_EEvPKT0_PKT1_PT2_iii15HIP_vector_typeIjLj3EESC_SC_SC_SC_iiiiiiiiiiiDpT3_.kd
    .uniform_work_group_size: 1
    .uses_dynamic_stack: false
    .vgpr_count:     21
    .vgpr_spill_count: 0
    .wavefront_size: 32
  - .args:
      - .address_space:  global
        .offset:         0
        .size:           8
        .value_kind:     global_buffer
      - .address_space:  global
        .offset:         8
        .size:           8
        .value_kind:     global_buffer
      - .address_space:  global
        .offset:         16
        .size:           8
        .value_kind:     global_buffer
      - .offset:         24
        .size:           12
        .value_kind:     by_value
      - .offset:         36
        .size:           12
        .value_kind:     by_value
      - .offset:         48
        .size:           12
        .value_kind:     by_value
      - .offset:         60
        .size:           4
        .value_kind:     by_value
      - .offset:         64
        .size:           12
        .value_kind:     by_value
      - .offset:         76
        .size:           12
        .value_kind:     by_value
      - .offset:         88
        .size:           12
        .value_kind:     by_value
      - .offset:         100
        .size:           12
        .value_kind:     by_value
      - .offset:         112
        .size:           12
        .value_kind:     by_value
      - .offset:         124
        .size:           12
        .value_kind:     by_value
      - .offset:         136
        .size:           4
        .value_kind:     by_value
      - .offset:         140
        .size:           4
        .value_kind:     by_value
      - .offset:         144
        .size:           4
        .value_kind:     by_value
      - .offset:         148
        .size:           4
        .value_kind:     by_value
      - .offset:         152
        .size:           4
        .value_kind:     by_value
      - .offset:         156
        .size:           4
        .value_kind:     by_value
      - .offset:         160
        .size:           4
        .value_kind:     by_value
      - .offset:         164
        .size:           4
        .value_kind:     by_value
      - .offset:         168
        .size:           4
        .value_kind:     by_value
      - .offset:         172
        .size:           4
        .value_kind:     by_value
      - .offset:         176
        .size:           4
        .value_kind:     by_value
      - .address_space:  global
        .offset:         184
        .size:           8
        .value_kind:     global_buffer
      - .address_space:  global
        .offset:         192
        .size:           8
        .value_kind:     global_buffer
      - .address_space:  global
        .offset:         200
        .size:           8
        .value_kind:     global_buffer
      - .address_space:  global
        .offset:         208
        .size:           8
        .value_kind:     global_buffer
      - .address_space:  global
        .offset:         216
        .size:           8
        .value_kind:     global_buffer
      - .address_space:  global
        .offset:         224
        .size:           8
        .value_kind:     global_buffer
      - .address_space:  global
        .offset:         232
        .size:           8
        .value_kind:     global_buffer
      - .offset:         240
        .size:           4
        .value_kind:     hidden_block_count_x
      - .offset:         244
        .size:           4
        .value_kind:     hidden_block_count_y
      - .offset:         248
        .size:           4
        .value_kind:     hidden_block_count_z
      - .offset:         252
        .size:           2
        .value_kind:     hidden_group_size_x
      - .offset:         254
        .size:           2
        .value_kind:     hidden_group_size_y
      - .offset:         256
        .size:           2
        .value_kind:     hidden_group_size_z
      - .offset:         258
        .size:           2
        .value_kind:     hidden_remainder_x
      - .offset:         260
        .size:           2
        .value_kind:     hidden_remainder_y
      - .offset:         262
        .size:           2
        .value_kind:     hidden_remainder_z
      - .offset:         280
        .size:           8
        .value_kind:     hidden_global_offset_x
      - .offset:         288
        .size:           8
        .value_kind:     hidden_global_offset_y
      - .offset:         296
        .size:           8
        .value_kind:     hidden_global_offset_z
      - .offset:         304
        .size:           2
        .value_kind:     hidden_grid_dims
    .group_segment_fixed_size: 0
    .kernarg_segment_align: 8
    .kernarg_segment_size: 496
    .language:       OpenCL C
    .language_version:
      - 2
      - 0
    .max_flat_workgroup_size: 1024
    .name:           _ZL19k_bin_bcast_unravelIXadL_ZL6op_mulffEE6__halfffJPKfS2_S2_S2_S2_S2_S2_EEvPKT0_PKT1_PT2_15HIP_vector_typeIjLj3EESC_SC_jSC_SC_SC_SC_SC_SC_iiiiiiiiiiiDpT3_
    .private_segment_fixed_size: 0
    .sgpr_count:     29
    .sgpr_spill_count: 0
    .symbol:         _ZL19k_bin_bcast_unravelIXadL_ZL6op_mulffEE6__halfffJPKfS2_S2_S2_S2_S2_S2_EEvPKT0_PKT1_PT2_15HIP_vector_typeIjLj3EESC_SC_jSC_SC_SC_SC_SC_SC_iiiiiiiiiiiDpT3_.kd
    .uniform_work_group_size: 1
    .uses_dynamic_stack: false
    .vgpr_count:     17
    .vgpr_spill_count: 0
    .wavefront_size: 32
  - .args:
      - .address_space:  global
        .offset:         0
        .size:           8
        .value_kind:     global_buffer
      - .address_space:  global
        .offset:         8
        .size:           8
        .value_kind:     global_buffer
      - .address_space:  global
        .offset:         16
        .size:           8
        .value_kind:     global_buffer
      - .offset:         24
        .size:           4
        .value_kind:     by_value
      - .offset:         28
        .size:           4
        .value_kind:     by_value
      - .offset:         32
        .size:           4
        .value_kind:     by_value
      - .offset:         36
        .size:           12
        .value_kind:     by_value
      - .offset:         48
        .size:           12
        .value_kind:     by_value
      - .offset:         60
        .size:           12
        .value_kind:     by_value
      - .offset:         72
        .size:           12
        .value_kind:     by_value
      - .offset:         84
        .size:           12
        .value_kind:     by_value
      - .offset:         96
        .size:           4
        .value_kind:     by_value
      - .offset:         100
        .size:           4
        .value_kind:     by_value
      - .offset:         104
        .size:           4
        .value_kind:     by_value
      - .offset:         108
        .size:           4
        .value_kind:     by_value
      - .offset:         112
        .size:           4
        .value_kind:     by_value
      - .offset:         116
        .size:           4
        .value_kind:     by_value
      - .offset:         120
        .size:           4
        .value_kind:     by_value
      - .offset:         124
        .size:           4
        .value_kind:     by_value
      - .offset:         128
        .size:           4
        .value_kind:     by_value
      - .offset:         132
        .size:           4
        .value_kind:     by_value
      - .offset:         136
        .size:           4
        .value_kind:     by_value
      - .address_space:  global
        .offset:         144
        .size:           8
        .value_kind:     global_buffer
      - .address_space:  global
        .offset:         152
        .size:           8
        .value_kind:     global_buffer
      - .address_space:  global
        .offset:         160
        .size:           8
        .value_kind:     global_buffer
      - .address_space:  global
        .offset:         168
        .size:           8
        .value_kind:     global_buffer
      - .address_space:  global
        .offset:         176
        .size:           8
        .value_kind:     global_buffer
      - .address_space:  global
        .offset:         184
        .size:           8
        .value_kind:     global_buffer
      - .address_space:  global
        .offset:         192
        .size:           8
        .value_kind:     global_buffer
      - .offset:         200
        .size:           4
        .value_kind:     hidden_block_count_x
      - .offset:         204
        .size:           4
        .value_kind:     hidden_block_count_y
      - .offset:         208
        .size:           4
        .value_kind:     hidden_block_count_z
      - .offset:         212
        .size:           2
        .value_kind:     hidden_group_size_x
      - .offset:         214
        .size:           2
        .value_kind:     hidden_group_size_y
      - .offset:         216
        .size:           2
        .value_kind:     hidden_group_size_z
      - .offset:         218
        .size:           2
        .value_kind:     hidden_remainder_x
      - .offset:         220
        .size:           2
        .value_kind:     hidden_remainder_y
      - .offset:         222
        .size:           2
        .value_kind:     hidden_remainder_z
      - .offset:         240
        .size:           8
        .value_kind:     hidden_global_offset_x
      - .offset:         248
        .size:           8
        .value_kind:     hidden_global_offset_y
      - .offset:         256
        .size:           8
        .value_kind:     hidden_global_offset_z
      - .offset:         264
        .size:           2
        .value_kind:     hidden_grid_dims
    .group_segment_fixed_size: 0
    .kernarg_segment_align: 8
    .kernarg_segment_size: 456
    .language:       OpenCL C
    .language_version:
      - 2
      - 0
    .max_flat_workgroup_size: 1024
    .name:           _ZL11k_bin_bcastIXadL_ZL6op_mulffEE6__halfffJPKfS2_S2_S2_S2_S2_S2_EEvPKT0_PKT1_PT2_iii15HIP_vector_typeIjLj3EESC_SC_SC_SC_iiiiiiiiiiiDpT3_
    .private_segment_fixed_size: 0
    .sgpr_count:     46
    .sgpr_spill_count: 0
    .symbol:         _ZL11k_bin_bcastIXadL_ZL6op_mulffEE6__halfffJPKfS2_S2_S2_S2_S2_S2_EEvPKT0_PKT1_PT2_iii15HIP_vector_typeIjLj3EESC_SC_SC_SC_iiiiiiiiiiiDpT3_.kd
    .uniform_work_group_size: 1
    .uses_dynamic_stack: false
    .vgpr_count:     21
    .vgpr_spill_count: 0
    .wavefront_size: 32
  - .args:
      - .address_space:  global
        .offset:         0
        .size:           8
        .value_kind:     global_buffer
      - .address_space:  global
        .offset:         8
        .size:           8
        .value_kind:     global_buffer
      - .address_space:  global
        .offset:         16
        .size:           8
        .value_kind:     global_buffer
      - .offset:         24
        .size:           12
        .value_kind:     by_value
      - .offset:         36
        .size:           12
        .value_kind:     by_value
      - .offset:         48
        .size:           12
        .value_kind:     by_value
      - .offset:         60
        .size:           4
        .value_kind:     by_value
      - .offset:         64
        .size:           12
        .value_kind:     by_value
      - .offset:         76
        .size:           12
        .value_kind:     by_value
      - .offset:         88
        .size:           12
        .value_kind:     by_value
      - .offset:         100
        .size:           12
        .value_kind:     by_value
      - .offset:         112
        .size:           12
        .value_kind:     by_value
      - .offset:         124
        .size:           12
        .value_kind:     by_value
      - .offset:         136
        .size:           4
        .value_kind:     by_value
      - .offset:         140
        .size:           4
        .value_kind:     by_value
      - .offset:         144
        .size:           4
        .value_kind:     by_value
      - .offset:         148
        .size:           4
        .value_kind:     by_value
      - .offset:         152
        .size:           4
        .value_kind:     by_value
      - .offset:         156
        .size:           4
        .value_kind:     by_value
      - .offset:         160
        .size:           4
        .value_kind:     by_value
      - .offset:         164
        .size:           4
        .value_kind:     by_value
      - .offset:         168
        .size:           4
        .value_kind:     by_value
      - .offset:         172
        .size:           4
        .value_kind:     by_value
      - .offset:         176
        .size:           4
        .value_kind:     by_value
      - .address_space:  global
        .offset:         184
        .size:           8
        .value_kind:     global_buffer
      - .address_space:  global
        .offset:         192
        .size:           8
        .value_kind:     global_buffer
      - .address_space:  global
        .offset:         200
        .size:           8
        .value_kind:     global_buffer
      - .address_space:  global
        .offset:         208
        .size:           8
        .value_kind:     global_buffer
      - .address_space:  global
        .offset:         216
        .size:           8
        .value_kind:     global_buffer
      - .address_space:  global
        .offset:         224
        .size:           8
        .value_kind:     global_buffer
      - .address_space:  global
        .offset:         232
        .size:           8
        .value_kind:     global_buffer
      - .address_space:  global
        .offset:         240
        .size:           8
        .value_kind:     global_buffer
      - .offset:         248
        .size:           4
        .value_kind:     hidden_block_count_x
      - .offset:         252
        .size:           4
        .value_kind:     hidden_block_count_y
      - .offset:         256
        .size:           4
        .value_kind:     hidden_block_count_z
      - .offset:         260
        .size:           2
        .value_kind:     hidden_group_size_x
      - .offset:         262
        .size:           2
        .value_kind:     hidden_group_size_y
      - .offset:         264
        .size:           2
        .value_kind:     hidden_group_size_z
      - .offset:         266
        .size:           2
        .value_kind:     hidden_remainder_x
      - .offset:         268
        .size:           2
        .value_kind:     hidden_remainder_y
      - .offset:         270
        .size:           2
        .value_kind:     hidden_remainder_z
      - .offset:         288
        .size:           8
        .value_kind:     hidden_global_offset_x
      - .offset:         296
        .size:           8
        .value_kind:     hidden_global_offset_y
      - .offset:         304
        .size:           8
        .value_kind:     hidden_global_offset_z
      - .offset:         312
        .size:           2
        .value_kind:     hidden_grid_dims
    .group_segment_fixed_size: 0
    .kernarg_segment_align: 8
    .kernarg_segment_size: 504
    .language:       OpenCL C
    .language_version:
      - 2
      - 0
    .max_flat_workgroup_size: 1024
    .name:           _ZL19k_bin_bcast_unravelIXadL_ZL6op_mulffEEfffJPKfS1_S1_S1_S1_S1_S1_S1_EEvPKT0_PKT1_PT2_15HIP_vector_typeIjLj3EESB_SB_jSB_SB_SB_SB_SB_SB_iiiiiiiiiiiDpT3_
    .private_segment_fixed_size: 0
    .sgpr_count:     30
    .sgpr_spill_count: 0
    .symbol:         _ZL19k_bin_bcast_unravelIXadL_ZL6op_mulffEEfffJPKfS1_S1_S1_S1_S1_S1_S1_EEvPKT0_PKT1_PT2_15HIP_vector_typeIjLj3EESB_SB_jSB_SB_SB_SB_SB_SB_iiiiiiiiiiiDpT3_.kd
    .uniform_work_group_size: 1
    .uses_dynamic_stack: false
    .vgpr_count:     18
    .vgpr_spill_count: 0
    .wavefront_size: 32
  - .args:
      - .address_space:  global
        .offset:         0
        .size:           8
        .value_kind:     global_buffer
      - .address_space:  global
        .offset:         8
        .size:           8
        .value_kind:     global_buffer
      - .address_space:  global
        .offset:         16
        .size:           8
        .value_kind:     global_buffer
      - .offset:         24
        .size:           4
        .value_kind:     by_value
      - .offset:         28
        .size:           4
        .value_kind:     by_value
      - .offset:         32
        .size:           4
        .value_kind:     by_value
      - .offset:         36
        .size:           12
        .value_kind:     by_value
      - .offset:         48
        .size:           12
        .value_kind:     by_value
      - .offset:         60
        .size:           12
        .value_kind:     by_value
      - .offset:         72
        .size:           12
        .value_kind:     by_value
      - .offset:         84
        .size:           12
        .value_kind:     by_value
      - .offset:         96
        .size:           4
        .value_kind:     by_value
      - .offset:         100
        .size:           4
        .value_kind:     by_value
      - .offset:         104
        .size:           4
        .value_kind:     by_value
      - .offset:         108
        .size:           4
        .value_kind:     by_value
      - .offset:         112
        .size:           4
        .value_kind:     by_value
      - .offset:         116
        .size:           4
        .value_kind:     by_value
      - .offset:         120
        .size:           4
        .value_kind:     by_value
      - .offset:         124
        .size:           4
        .value_kind:     by_value
      - .offset:         128
        .size:           4
        .value_kind:     by_value
      - .offset:         132
        .size:           4
        .value_kind:     by_value
      - .offset:         136
        .size:           4
        .value_kind:     by_value
      - .address_space:  global
        .offset:         144
        .size:           8
        .value_kind:     global_buffer
      - .address_space:  global
        .offset:         152
        .size:           8
        .value_kind:     global_buffer
      - .address_space:  global
        .offset:         160
        .size:           8
        .value_kind:     global_buffer
      - .address_space:  global
        .offset:         168
        .size:           8
        .value_kind:     global_buffer
      - .address_space:  global
        .offset:         176
        .size:           8
        .value_kind:     global_buffer
      - .address_space:  global
        .offset:         184
        .size:           8
        .value_kind:     global_buffer
      - .address_space:  global
        .offset:         192
        .size:           8
        .value_kind:     global_buffer
      - .address_space:  global
        .offset:         200
        .size:           8
        .value_kind:     global_buffer
      - .offset:         208
        .size:           4
        .value_kind:     hidden_block_count_x
      - .offset:         212
        .size:           4
        .value_kind:     hidden_block_count_y
      - .offset:         216
        .size:           4
        .value_kind:     hidden_block_count_z
      - .offset:         220
        .size:           2
        .value_kind:     hidden_group_size_x
      - .offset:         222
        .size:           2
        .value_kind:     hidden_group_size_y
      - .offset:         224
        .size:           2
        .value_kind:     hidden_group_size_z
      - .offset:         226
        .size:           2
        .value_kind:     hidden_remainder_x
      - .offset:         228
        .size:           2
        .value_kind:     hidden_remainder_y
      - .offset:         230
        .size:           2
        .value_kind:     hidden_remainder_z
      - .offset:         248
        .size:           8
        .value_kind:     hidden_global_offset_x
      - .offset:         256
        .size:           8
        .value_kind:     hidden_global_offset_y
      - .offset:         264
        .size:           8
        .value_kind:     hidden_global_offset_z
      - .offset:         272
        .size:           2
        .value_kind:     hidden_grid_dims
    .group_segment_fixed_size: 0
    .kernarg_segment_align: 8
    .kernarg_segment_size: 464
    .language:       OpenCL C
    .language_version:
      - 2
      - 0
    .max_flat_workgroup_size: 1024
    .name:           _ZL11k_bin_bcastIXadL_ZL6op_mulffEEfffJPKfS1_S1_S1_S1_S1_S1_S1_EEvPKT0_PKT1_PT2_iii15HIP_vector_typeIjLj3EESB_SB_SB_SB_iiiiiiiiiiiDpT3_
    .private_segment_fixed_size: 0
    .sgpr_count:     49
    .sgpr_spill_count: 0
    .symbol:         _ZL11k_bin_bcastIXadL_ZL6op_mulffEEfffJPKfS1_S1_S1_S1_S1_S1_S1_EEvPKT0_PKT1_PT2_iii15HIP_vector_typeIjLj3EESB_SB_SB_SB_iiiiiiiiiiiDpT3_.kd
    .uniform_work_group_size: 1
    .uses_dynamic_stack: false
    .vgpr_count:     22
    .vgpr_spill_count: 0
    .wavefront_size: 32
  - .args:
      - .address_space:  global
        .offset:         0
        .size:           8
        .value_kind:     global_buffer
      - .address_space:  global
        .offset:         8
        .size:           8
        .value_kind:     global_buffer
      - .address_space:  global
        .offset:         16
        .size:           8
        .value_kind:     global_buffer
      - .offset:         24
        .size:           12
        .value_kind:     by_value
      - .offset:         36
        .size:           12
        .value_kind:     by_value
      - .offset:         48
        .size:           12
        .value_kind:     by_value
      - .offset:         60
        .size:           4
        .value_kind:     by_value
      - .offset:         64
        .size:           12
        .value_kind:     by_value
      - .offset:         76
        .size:           12
        .value_kind:     by_value
      - .offset:         88
        .size:           12
        .value_kind:     by_value
      - .offset:         100
        .size:           12
        .value_kind:     by_value
      - .offset:         112
        .size:           12
        .value_kind:     by_value
      - .offset:         124
        .size:           12
        .value_kind:     by_value
      - .offset:         136
        .size:           4
        .value_kind:     by_value
      - .offset:         140
        .size:           4
        .value_kind:     by_value
      - .offset:         144
        .size:           4
        .value_kind:     by_value
      - .offset:         148
        .size:           4
        .value_kind:     by_value
      - .offset:         152
        .size:           4
        .value_kind:     by_value
      - .offset:         156
        .size:           4
        .value_kind:     by_value
      - .offset:         160
        .size:           4
        .value_kind:     by_value
      - .offset:         164
        .size:           4
        .value_kind:     by_value
      - .offset:         168
        .size:           4
        .value_kind:     by_value
      - .offset:         172
        .size:           4
        .value_kind:     by_value
      - .offset:         176
        .size:           4
        .value_kind:     by_value
      - .address_space:  global
        .offset:         184
        .size:           8
        .value_kind:     global_buffer
      - .address_space:  global
        .offset:         192
        .size:           8
        .value_kind:     global_buffer
      - .address_space:  global
        .offset:         200
        .size:           8
        .value_kind:     global_buffer
      - .address_space:  global
        .offset:         208
        .size:           8
        .value_kind:     global_buffer
      - .address_space:  global
        .offset:         216
        .size:           8
        .value_kind:     global_buffer
      - .address_space:  global
        .offset:         224
        .size:           8
        .value_kind:     global_buffer
      - .address_space:  global
        .offset:         232
        .size:           8
        .value_kind:     global_buffer
      - .address_space:  global
        .offset:         240
        .size:           8
        .value_kind:     global_buffer
      - .offset:         248
        .size:           4
        .value_kind:     hidden_block_count_x
      - .offset:         252
        .size:           4
        .value_kind:     hidden_block_count_y
      - .offset:         256
        .size:           4
        .value_kind:     hidden_block_count_z
      - .offset:         260
        .size:           2
        .value_kind:     hidden_group_size_x
      - .offset:         262
        .size:           2
        .value_kind:     hidden_group_size_y
      - .offset:         264
        .size:           2
        .value_kind:     hidden_group_size_z
      - .offset:         266
        .size:           2
        .value_kind:     hidden_remainder_x
      - .offset:         268
        .size:           2
        .value_kind:     hidden_remainder_y
      - .offset:         270
        .size:           2
        .value_kind:     hidden_remainder_z
      - .offset:         288
        .size:           8
        .value_kind:     hidden_global_offset_x
      - .offset:         296
        .size:           8
        .value_kind:     hidden_global_offset_y
      - .offset:         304
        .size:           8
        .value_kind:     hidden_global_offset_z
      - .offset:         312
        .size:           2
        .value_kind:     hidden_grid_dims
    .group_segment_fixed_size: 0
    .kernarg_segment_align: 8
    .kernarg_segment_size: 504
    .language:       OpenCL C
    .language_version:
      - 2
      - 0
    .max_flat_workgroup_size: 1024
    .name:           _ZL19k_bin_bcast_unravelIXadL_ZL6op_mulffEE6__halfS0_S0_JPKS0_S2_S2_S2_S2_S2_S2_S2_EEvPKT0_PKT1_PT2_15HIP_vector_typeIjLj3EESC_SC_jSC_SC_SC_SC_SC_SC_iiiiiiiiiiiDpT3_
    .private_segment_fixed_size: 0
    .sgpr_count:     30
    .sgpr_spill_count: 0
    .symbol:         _ZL19k_bin_bcast_unravelIXadL_ZL6op_mulffEE6__halfS0_S0_JPKS0_S2_S2_S2_S2_S2_S2_S2_EEvPKT0_PKT1_PT2_15HIP_vector_typeIjLj3EESC_SC_jSC_SC_SC_SC_SC_SC_iiiiiiiiiiiDpT3_.kd
    .uniform_work_group_size: 1
    .uses_dynamic_stack: false
    .vgpr_count:     19
    .vgpr_spill_count: 0
    .wavefront_size: 32
  - .args:
      - .address_space:  global
        .offset:         0
        .size:           8
        .value_kind:     global_buffer
      - .address_space:  global
        .offset:         8
        .size:           8
        .value_kind:     global_buffer
      - .address_space:  global
        .offset:         16
        .size:           8
        .value_kind:     global_buffer
      - .offset:         24
        .size:           4
        .value_kind:     by_value
      - .offset:         28
        .size:           4
        .value_kind:     by_value
      - .offset:         32
        .size:           4
        .value_kind:     by_value
      - .offset:         36
        .size:           12
        .value_kind:     by_value
      - .offset:         48
        .size:           12
        .value_kind:     by_value
      - .offset:         60
        .size:           12
        .value_kind:     by_value
      - .offset:         72
        .size:           12
        .value_kind:     by_value
      - .offset:         84
        .size:           12
        .value_kind:     by_value
      - .offset:         96
        .size:           4
        .value_kind:     by_value
      - .offset:         100
        .size:           4
        .value_kind:     by_value
      - .offset:         104
        .size:           4
        .value_kind:     by_value
      - .offset:         108
        .size:           4
        .value_kind:     by_value
      - .offset:         112
        .size:           4
        .value_kind:     by_value
      - .offset:         116
        .size:           4
        .value_kind:     by_value
      - .offset:         120
        .size:           4
        .value_kind:     by_value
      - .offset:         124
        .size:           4
        .value_kind:     by_value
      - .offset:         128
        .size:           4
        .value_kind:     by_value
      - .offset:         132
        .size:           4
        .value_kind:     by_value
      - .offset:         136
        .size:           4
        .value_kind:     by_value
      - .address_space:  global
        .offset:         144
        .size:           8
        .value_kind:     global_buffer
      - .address_space:  global
        .offset:         152
        .size:           8
        .value_kind:     global_buffer
      - .address_space:  global
        .offset:         160
        .size:           8
        .value_kind:     global_buffer
      - .address_space:  global
        .offset:         168
        .size:           8
        .value_kind:     global_buffer
      - .address_space:  global
        .offset:         176
        .size:           8
        .value_kind:     global_buffer
      - .address_space:  global
        .offset:         184
        .size:           8
        .value_kind:     global_buffer
      - .address_space:  global
        .offset:         192
        .size:           8
        .value_kind:     global_buffer
      - .address_space:  global
        .offset:         200
        .size:           8
        .value_kind:     global_buffer
      - .offset:         208
        .size:           4
        .value_kind:     hidden_block_count_x
      - .offset:         212
        .size:           4
        .value_kind:     hidden_block_count_y
      - .offset:         216
        .size:           4
        .value_kind:     hidden_block_count_z
      - .offset:         220
        .size:           2
        .value_kind:     hidden_group_size_x
      - .offset:         222
        .size:           2
        .value_kind:     hidden_group_size_y
      - .offset:         224
        .size:           2
        .value_kind:     hidden_group_size_z
      - .offset:         226
        .size:           2
        .value_kind:     hidden_remainder_x
      - .offset:         228
        .size:           2
        .value_kind:     hidden_remainder_y
      - .offset:         230
        .size:           2
        .value_kind:     hidden_remainder_z
      - .offset:         248
        .size:           8
        .value_kind:     hidden_global_offset_x
      - .offset:         256
        .size:           8
        .value_kind:     hidden_global_offset_y
      - .offset:         264
        .size:           8
        .value_kind:     hidden_global_offset_z
      - .offset:         272
        .size:           2
        .value_kind:     hidden_grid_dims
    .group_segment_fixed_size: 0
    .kernarg_segment_align: 8
    .kernarg_segment_size: 464
    .language:       OpenCL C
    .language_version:
      - 2
      - 0
    .max_flat_workgroup_size: 1024
    .name:           _ZL11k_bin_bcastIXadL_ZL6op_mulffEE6__halfS0_S0_JPKS0_S2_S2_S2_S2_S2_S2_S2_EEvPKT0_PKT1_PT2_iii15HIP_vector_typeIjLj3EESC_SC_SC_SC_iiiiiiiiiiiDpT3_
    .private_segment_fixed_size: 0
    .sgpr_count:     49
    .sgpr_spill_count: 0
    .symbol:         _ZL11k_bin_bcastIXadL_ZL6op_mulffEE6__halfS0_S0_JPKS0_S2_S2_S2_S2_S2_S2_S2_EEvPKT0_PKT1_PT2_iii15HIP_vector_typeIjLj3EESC_SC_SC_SC_iiiiiiiiiiiDpT3_.kd
    .uniform_work_group_size: 1
    .uses_dynamic_stack: false
    .vgpr_count:     23
    .vgpr_spill_count: 0
    .wavefront_size: 32
  - .args:
      - .address_space:  global
        .offset:         0
        .size:           8
        .value_kind:     global_buffer
      - .address_space:  global
        .offset:         8
        .size:           8
        .value_kind:     global_buffer
      - .address_space:  global
        .offset:         16
        .size:           8
        .value_kind:     global_buffer
      - .offset:         24
        .size:           12
        .value_kind:     by_value
      - .offset:         36
        .size:           12
        .value_kind:     by_value
      - .offset:         48
        .size:           12
        .value_kind:     by_value
      - .offset:         60
        .size:           4
        .value_kind:     by_value
      - .offset:         64
        .size:           12
        .value_kind:     by_value
      - .offset:         76
        .size:           12
        .value_kind:     by_value
      - .offset:         88
        .size:           12
        .value_kind:     by_value
      - .offset:         100
        .size:           12
        .value_kind:     by_value
      - .offset:         112
        .size:           12
        .value_kind:     by_value
      - .offset:         124
        .size:           12
        .value_kind:     by_value
      - .offset:         136
        .size:           4
        .value_kind:     by_value
      - .offset:         140
        .size:           4
        .value_kind:     by_value
      - .offset:         144
        .size:           4
        .value_kind:     by_value
      - .offset:         148
        .size:           4
        .value_kind:     by_value
      - .offset:         152
        .size:           4
        .value_kind:     by_value
      - .offset:         156
        .size:           4
        .value_kind:     by_value
      - .offset:         160
        .size:           4
        .value_kind:     by_value
      - .offset:         164
        .size:           4
        .value_kind:     by_value
      - .offset:         168
        .size:           4
        .value_kind:     by_value
      - .offset:         172
        .size:           4
        .value_kind:     by_value
      - .offset:         176
        .size:           4
        .value_kind:     by_value
      - .address_space:  global
        .offset:         184
        .size:           8
        .value_kind:     global_buffer
      - .address_space:  global
        .offset:         192
        .size:           8
        .value_kind:     global_buffer
      - .address_space:  global
        .offset:         200
        .size:           8
        .value_kind:     global_buffer
      - .address_space:  global
        .offset:         208
        .size:           8
        .value_kind:     global_buffer
      - .address_space:  global
        .offset:         216
        .size:           8
        .value_kind:     global_buffer
      - .address_space:  global
        .offset:         224
        .size:           8
        .value_kind:     global_buffer
      - .address_space:  global
        .offset:         232
        .size:           8
        .value_kind:     global_buffer
      - .address_space:  global
        .offset:         240
        .size:           8
        .value_kind:     global_buffer
      - .offset:         248
        .size:           4
        .value_kind:     hidden_block_count_x
      - .offset:         252
        .size:           4
        .value_kind:     hidden_block_count_y
      - .offset:         256
        .size:           4
        .value_kind:     hidden_block_count_z
      - .offset:         260
        .size:           2
        .value_kind:     hidden_group_size_x
      - .offset:         262
        .size:           2
        .value_kind:     hidden_group_size_y
      - .offset:         264
        .size:           2
        .value_kind:     hidden_group_size_z
      - .offset:         266
        .size:           2
        .value_kind:     hidden_remainder_x
      - .offset:         268
        .size:           2
        .value_kind:     hidden_remainder_y
      - .offset:         270
        .size:           2
        .value_kind:     hidden_remainder_z
      - .offset:         288
        .size:           8
        .value_kind:     hidden_global_offset_x
      - .offset:         296
        .size:           8
        .value_kind:     hidden_global_offset_y
      - .offset:         304
        .size:           8
        .value_kind:     hidden_global_offset_z
      - .offset:         312
        .size:           2
        .value_kind:     hidden_grid_dims
    .group_segment_fixed_size: 0
    .kernarg_segment_align: 8
    .kernarg_segment_size: 504
    .language:       OpenCL C
    .language_version:
      - 2
      - 0
    .max_flat_workgroup_size: 1024
    .name:           _ZL19k_bin_bcast_unravelIXadL_ZL6op_mulffEE6__halffS0_JPKfS2_S2_S2_S2_S2_S2_S2_EEvPKT0_PKT1_PT2_15HIP_vector_typeIjLj3EESC_SC_jSC_SC_SC_SC_SC_SC_iiiiiiiiiiiDpT3_
    .private_segment_fixed_size: 0
    .sgpr_count:     30
    .sgpr_spill_count: 0
    .symbol:         _ZL19k_bin_bcast_unravelIXadL_ZL6op_mulffEE6__halffS0_JPKfS2_S2_S2_S2_S2_S2_S2_EEvPKT0_PKT1_PT2_15HIP_vector_typeIjLj3EESC_SC_jSC_SC_SC_SC_SC_SC_iiiiiiiiiiiDpT3_.kd
    .uniform_work_group_size: 1
    .uses_dynamic_stack: false
    .vgpr_count:     18
    .vgpr_spill_count: 0
    .wavefront_size: 32
  - .args:
      - .address_space:  global
        .offset:         0
        .size:           8
        .value_kind:     global_buffer
      - .address_space:  global
        .offset:         8
        .size:           8
        .value_kind:     global_buffer
      - .address_space:  global
        .offset:         16
        .size:           8
        .value_kind:     global_buffer
      - .offset:         24
        .size:           4
        .value_kind:     by_value
      - .offset:         28
        .size:           4
        .value_kind:     by_value
      - .offset:         32
        .size:           4
        .value_kind:     by_value
      - .offset:         36
        .size:           12
        .value_kind:     by_value
      - .offset:         48
        .size:           12
        .value_kind:     by_value
      - .offset:         60
        .size:           12
        .value_kind:     by_value
      - .offset:         72
        .size:           12
        .value_kind:     by_value
      - .offset:         84
        .size:           12
        .value_kind:     by_value
      - .offset:         96
        .size:           4
        .value_kind:     by_value
      - .offset:         100
        .size:           4
        .value_kind:     by_value
      - .offset:         104
        .size:           4
        .value_kind:     by_value
      - .offset:         108
        .size:           4
        .value_kind:     by_value
      - .offset:         112
        .size:           4
        .value_kind:     by_value
      - .offset:         116
        .size:           4
        .value_kind:     by_value
      - .offset:         120
        .size:           4
        .value_kind:     by_value
      - .offset:         124
        .size:           4
        .value_kind:     by_value
      - .offset:         128
        .size:           4
        .value_kind:     by_value
      - .offset:         132
        .size:           4
        .value_kind:     by_value
      - .offset:         136
        .size:           4
        .value_kind:     by_value
      - .address_space:  global
        .offset:         144
        .size:           8
        .value_kind:     global_buffer
      - .address_space:  global
        .offset:         152
        .size:           8
        .value_kind:     global_buffer
      - .address_space:  global
        .offset:         160
        .size:           8
        .value_kind:     global_buffer
      - .address_space:  global
        .offset:         168
        .size:           8
        .value_kind:     global_buffer
      - .address_space:  global
        .offset:         176
        .size:           8
        .value_kind:     global_buffer
      - .address_space:  global
        .offset:         184
        .size:           8
        .value_kind:     global_buffer
      - .address_space:  global
        .offset:         192
        .size:           8
        .value_kind:     global_buffer
      - .address_space:  global
        .offset:         200
        .size:           8
        .value_kind:     global_buffer
      - .offset:         208
        .size:           4
        .value_kind:     hidden_block_count_x
      - .offset:         212
        .size:           4
        .value_kind:     hidden_block_count_y
      - .offset:         216
        .size:           4
        .value_kind:     hidden_block_count_z
      - .offset:         220
        .size:           2
        .value_kind:     hidden_group_size_x
      - .offset:         222
        .size:           2
        .value_kind:     hidden_group_size_y
      - .offset:         224
        .size:           2
        .value_kind:     hidden_group_size_z
      - .offset:         226
        .size:           2
        .value_kind:     hidden_remainder_x
      - .offset:         228
        .size:           2
        .value_kind:     hidden_remainder_y
      - .offset:         230
        .size:           2
        .value_kind:     hidden_remainder_z
      - .offset:         248
        .size:           8
        .value_kind:     hidden_global_offset_x
      - .offset:         256
        .size:           8
        .value_kind:     hidden_global_offset_y
      - .offset:         264
        .size:           8
        .value_kind:     hidden_global_offset_z
      - .offset:         272
        .size:           2
        .value_kind:     hidden_grid_dims
    .group_segment_fixed_size: 0
    .kernarg_segment_align: 8
    .kernarg_segment_size: 464
    .language:       OpenCL C
    .language_version:
      - 2
      - 0
    .max_flat_workgroup_size: 1024
    .name:           _ZL11k_bin_bcastIXadL_ZL6op_mulffEE6__halffS0_JPKfS2_S2_S2_S2_S2_S2_S2_EEvPKT0_PKT1_PT2_iii15HIP_vector_typeIjLj3EESC_SC_SC_SC_iiiiiiiiiiiDpT3_
    .private_segment_fixed_size: 0
    .sgpr_count:     49
    .sgpr_spill_count: 0
    .symbol:         _ZL11k_bin_bcastIXadL_ZL6op_mulffEE6__halffS0_JPKfS2_S2_S2_S2_S2_S2_S2_EEvPKT0_PKT1_PT2_iii15HIP_vector_typeIjLj3EESC_SC_SC_SC_iiiiiiiiiiiDpT3_.kd
    .uniform_work_group_size: 1
    .uses_dynamic_stack: false
    .vgpr_count:     22
    .vgpr_spill_count: 0
    .wavefront_size: 32
  - .args:
      - .address_space:  global
        .offset:         0
        .size:           8
        .value_kind:     global_buffer
      - .address_space:  global
        .offset:         8
        .size:           8
        .value_kind:     global_buffer
      - .address_space:  global
        .offset:         16
        .size:           8
        .value_kind:     global_buffer
      - .offset:         24
        .size:           12
        .value_kind:     by_value
      - .offset:         36
        .size:           12
        .value_kind:     by_value
      - .offset:         48
        .size:           12
        .value_kind:     by_value
      - .offset:         60
        .size:           4
        .value_kind:     by_value
      - .offset:         64
        .size:           12
        .value_kind:     by_value
      - .offset:         76
        .size:           12
        .value_kind:     by_value
      - .offset:         88
        .size:           12
        .value_kind:     by_value
      - .offset:         100
        .size:           12
        .value_kind:     by_value
      - .offset:         112
        .size:           12
        .value_kind:     by_value
      - .offset:         124
        .size:           12
        .value_kind:     by_value
      - .offset:         136
        .size:           4
        .value_kind:     by_value
      - .offset:         140
        .size:           4
        .value_kind:     by_value
      - .offset:         144
        .size:           4
        .value_kind:     by_value
      - .offset:         148
        .size:           4
        .value_kind:     by_value
      - .offset:         152
        .size:           4
        .value_kind:     by_value
      - .offset:         156
        .size:           4
        .value_kind:     by_value
      - .offset:         160
        .size:           4
        .value_kind:     by_value
      - .offset:         164
        .size:           4
        .value_kind:     by_value
      - .offset:         168
        .size:           4
        .value_kind:     by_value
      - .offset:         172
        .size:           4
        .value_kind:     by_value
      - .offset:         176
        .size:           4
        .value_kind:     by_value
      - .address_space:  global
        .offset:         184
        .size:           8
        .value_kind:     global_buffer
      - .address_space:  global
        .offset:         192
        .size:           8
        .value_kind:     global_buffer
      - .address_space:  global
        .offset:         200
        .size:           8
        .value_kind:     global_buffer
      - .address_space:  global
        .offset:         208
        .size:           8
        .value_kind:     global_buffer
      - .address_space:  global
        .offset:         216
        .size:           8
        .value_kind:     global_buffer
      - .address_space:  global
        .offset:         224
        .size:           8
        .value_kind:     global_buffer
      - .address_space:  global
        .offset:         232
        .size:           8
        .value_kind:     global_buffer
      - .address_space:  global
        .offset:         240
        .size:           8
        .value_kind:     global_buffer
      - .offset:         248
        .size:           4
        .value_kind:     hidden_block_count_x
      - .offset:         252
        .size:           4
        .value_kind:     hidden_block_count_y
      - .offset:         256
        .size:           4
        .value_kind:     hidden_block_count_z
      - .offset:         260
        .size:           2
        .value_kind:     hidden_group_size_x
      - .offset:         262
        .size:           2
        .value_kind:     hidden_group_size_y
      - .offset:         264
        .size:           2
        .value_kind:     hidden_group_size_z
      - .offset:         266
        .size:           2
        .value_kind:     hidden_remainder_x
      - .offset:         268
        .size:           2
        .value_kind:     hidden_remainder_y
      - .offset:         270
        .size:           2
        .value_kind:     hidden_remainder_z
      - .offset:         288
        .size:           8
        .value_kind:     hidden_global_offset_x
      - .offset:         296
        .size:           8
        .value_kind:     hidden_global_offset_y
      - .offset:         304
        .size:           8
        .value_kind:     hidden_global_offset_z
      - .offset:         312
        .size:           2
        .value_kind:     hidden_grid_dims
    .group_segment_fixed_size: 0
    .kernarg_segment_align: 8
    .kernarg_segment_size: 504
    .language:       OpenCL C
    .language_version:
      - 2
      - 0
    .max_flat_workgroup_size: 1024
    .name:           _ZL19k_bin_bcast_unravelIXadL_ZL6op_mulffEE6__halfffJPKfS2_S2_S2_S2_S2_S2_S2_EEvPKT0_PKT1_PT2_15HIP_vector_typeIjLj3EESC_SC_jSC_SC_SC_SC_SC_SC_iiiiiiiiiiiDpT3_
    .private_segment_fixed_size: 0
    .sgpr_count:     30
    .sgpr_spill_count: 0
    .symbol:         _ZL19k_bin_bcast_unravelIXadL_ZL6op_mulffEE6__halfffJPKfS2_S2_S2_S2_S2_S2_S2_EEvPKT0_PKT1_PT2_15HIP_vector_typeIjLj3EESC_SC_jSC_SC_SC_SC_SC_SC_iiiiiiiiiiiDpT3_.kd
    .uniform_work_group_size: 1
    .uses_dynamic_stack: false
    .vgpr_count:     18
    .vgpr_spill_count: 0
    .wavefront_size: 32
  - .args:
      - .address_space:  global
        .offset:         0
        .size:           8
        .value_kind:     global_buffer
      - .address_space:  global
        .offset:         8
        .size:           8
        .value_kind:     global_buffer
      - .address_space:  global
        .offset:         16
        .size:           8
        .value_kind:     global_buffer
      - .offset:         24
        .size:           4
        .value_kind:     by_value
      - .offset:         28
        .size:           4
        .value_kind:     by_value
      - .offset:         32
        .size:           4
        .value_kind:     by_value
      - .offset:         36
        .size:           12
        .value_kind:     by_value
      - .offset:         48
        .size:           12
        .value_kind:     by_value
      - .offset:         60
        .size:           12
        .value_kind:     by_value
      - .offset:         72
        .size:           12
        .value_kind:     by_value
      - .offset:         84
        .size:           12
        .value_kind:     by_value
      - .offset:         96
        .size:           4
        .value_kind:     by_value
      - .offset:         100
        .size:           4
        .value_kind:     by_value
      - .offset:         104
        .size:           4
        .value_kind:     by_value
      - .offset:         108
        .size:           4
        .value_kind:     by_value
      - .offset:         112
        .size:           4
        .value_kind:     by_value
      - .offset:         116
        .size:           4
        .value_kind:     by_value
      - .offset:         120
        .size:           4
        .value_kind:     by_value
      - .offset:         124
        .size:           4
        .value_kind:     by_value
      - .offset:         128
        .size:           4
        .value_kind:     by_value
      - .offset:         132
        .size:           4
        .value_kind:     by_value
      - .offset:         136
        .size:           4
        .value_kind:     by_value
      - .address_space:  global
        .offset:         144
        .size:           8
        .value_kind:     global_buffer
      - .address_space:  global
        .offset:         152
        .size:           8
        .value_kind:     global_buffer
      - .address_space:  global
        .offset:         160
        .size:           8
        .value_kind:     global_buffer
      - .address_space:  global
        .offset:         168
        .size:           8
        .value_kind:     global_buffer
      - .address_space:  global
        .offset:         176
        .size:           8
        .value_kind:     global_buffer
      - .address_space:  global
        .offset:         184
        .size:           8
        .value_kind:     global_buffer
      - .address_space:  global
        .offset:         192
        .size:           8
        .value_kind:     global_buffer
      - .address_space:  global
        .offset:         200
        .size:           8
        .value_kind:     global_buffer
      - .offset:         208
        .size:           4
        .value_kind:     hidden_block_count_x
      - .offset:         212
        .size:           4
        .value_kind:     hidden_block_count_y
      - .offset:         216
        .size:           4
        .value_kind:     hidden_block_count_z
      - .offset:         220
        .size:           2
        .value_kind:     hidden_group_size_x
      - .offset:         222
        .size:           2
        .value_kind:     hidden_group_size_y
      - .offset:         224
        .size:           2
        .value_kind:     hidden_group_size_z
      - .offset:         226
        .size:           2
        .value_kind:     hidden_remainder_x
      - .offset:         228
        .size:           2
        .value_kind:     hidden_remainder_y
      - .offset:         230
        .size:           2
        .value_kind:     hidden_remainder_z
      - .offset:         248
        .size:           8
        .value_kind:     hidden_global_offset_x
      - .offset:         256
        .size:           8
        .value_kind:     hidden_global_offset_y
      - .offset:         264
        .size:           8
        .value_kind:     hidden_global_offset_z
      - .offset:         272
        .size:           2
        .value_kind:     hidden_grid_dims
    .group_segment_fixed_size: 0
    .kernarg_segment_align: 8
    .kernarg_segment_size: 464
    .language:       OpenCL C
    .language_version:
      - 2
      - 0
    .max_flat_workgroup_size: 1024
    .name:           _ZL11k_bin_bcastIXadL_ZL6op_mulffEE6__halfffJPKfS2_S2_S2_S2_S2_S2_S2_EEvPKT0_PKT1_PT2_iii15HIP_vector_typeIjLj3EESC_SC_SC_SC_iiiiiiiiiiiDpT3_
    .private_segment_fixed_size: 0
    .sgpr_count:     49
    .sgpr_spill_count: 0
    .symbol:         _ZL11k_bin_bcastIXadL_ZL6op_mulffEE6__halfffJPKfS2_S2_S2_S2_S2_S2_S2_EEvPKT0_PKT1_PT2_iii15HIP_vector_typeIjLj3EESC_SC_SC_SC_iiiiiiiiiiiDpT3_.kd
    .uniform_work_group_size: 1
    .uses_dynamic_stack: false
    .vgpr_count:     22
    .vgpr_spill_count: 0
    .wavefront_size: 32
  - .args:
      - .actual_access:  read_only
        .address_space:  global
        .offset:         0
        .size:           8
        .value_kind:     global_buffer
      - .actual_access:  write_only
        .address_space:  global
        .offset:         8
        .size:           8
        .value_kind:     global_buffer
      - .offset:         16
        .size:           8
        .value_kind:     by_value
      - .offset:         24
        .size:           8
        .value_kind:     by_value
      - .offset:         32
        .size:           8
        .value_kind:     by_value
      - .offset:         40
        .size:           8
        .value_kind:     by_value
      - .offset:         48
        .size:           8
        .value_kind:     by_value
      - .offset:         56
        .size:           8
        .value_kind:     by_value
      - .offset:         64
        .size:           8
        .value_kind:     by_value
      - .offset:         72
        .size:           8
        .value_kind:     by_value
      - .offset:         80
        .size:           8
        .value_kind:     by_value
      - .offset:         88
        .size:           8
        .value_kind:     by_value
      - .offset:         96
        .size:           8
        .value_kind:     by_value
      - .offset:         104
        .size:           8
        .value_kind:     by_value
      - .offset:         112
        .size:           4
        .value_kind:     hidden_block_count_x
      - .offset:         116
        .size:           4
        .value_kind:     hidden_block_count_y
      - .offset:         120
        .size:           4
        .value_kind:     hidden_block_count_z
      - .offset:         124
        .size:           2
        .value_kind:     hidden_group_size_x
      - .offset:         126
        .size:           2
        .value_kind:     hidden_group_size_y
      - .offset:         128
        .size:           2
        .value_kind:     hidden_group_size_z
      - .offset:         130
        .size:           2
        .value_kind:     hidden_remainder_x
      - .offset:         132
        .size:           2
        .value_kind:     hidden_remainder_y
      - .offset:         134
        .size:           2
        .value_kind:     hidden_remainder_z
      - .offset:         152
        .size:           8
        .value_kind:     hidden_global_offset_x
      - .offset:         160
        .size:           8
        .value_kind:     hidden_global_offset_y
      - .offset:         168
        .size:           8
        .value_kind:     hidden_global_offset_z
      - .offset:         176
        .size:           2
        .value_kind:     hidden_grid_dims
    .group_segment_fixed_size: 0
    .kernarg_segment_align: 8
    .kernarg_segment_size: 368
    .language:       OpenCL C
    .language_version:
      - 2
      - 0
    .max_flat_workgroup_size: 1024
    .name:           _ZL13k_repeat_backIfEvPKT_PS0_llllmmmmllll
    .private_segment_fixed_size: 0
    .sgpr_count:     40
    .sgpr_spill_count: 0
    .symbol:         _ZL13k_repeat_backIfEvPKT_PS0_llllmmmmllll.kd
    .uniform_work_group_size: 1
    .uses_dynamic_stack: false
    .vgpr_count:     26
    .vgpr_spill_count: 0
    .wavefront_size: 32
amdhsa.target:   amdgcn-amd-amdhsa--gfx1250
amdhsa.version:
  - 1
  - 2
...

	.end_amdgpu_metadata
